;; amdgpu-corpus repo=ROCm/hipCUB kind=compiled arch=gfx90a opt=O3
	.text
	.amdgcn_target "amdgcn-amd-amdhsa--gfx90a"
	.amdhsa_code_object_version 6
	.section	.text._Z21inclusive_scan_kernelILj377ELN6hipcub18BlockScanAlgorithmE1EhEvPT1_,"axG",@progbits,_Z21inclusive_scan_kernelILj377ELN6hipcub18BlockScanAlgorithmE1EhEvPT1_,comdat
	.protected	_Z21inclusive_scan_kernelILj377ELN6hipcub18BlockScanAlgorithmE1EhEvPT1_ ; -- Begin function _Z21inclusive_scan_kernelILj377ELN6hipcub18BlockScanAlgorithmE1EhEvPT1_
	.globl	_Z21inclusive_scan_kernelILj377ELN6hipcub18BlockScanAlgorithmE1EhEvPT1_
	.p2align	8
	.type	_Z21inclusive_scan_kernelILj377ELN6hipcub18BlockScanAlgorithmE1EhEvPT1_,@function
_Z21inclusive_scan_kernelILj377ELN6hipcub18BlockScanAlgorithmE1EhEvPT1_: ; @_Z21inclusive_scan_kernelILj377ELN6hipcub18BlockScanAlgorithmE1EhEvPT1_
; %bb.0:
	s_load_dwordx2 s[0:1], s[4:5], 0x0
	s_mulk_i32 s6, 0x179
	v_add_u32_e32 v2, s6, v0
	s_waitcnt lgkmcnt(0)
	global_load_ubyte v1, v2, s[0:1]
	v_mov_b32_e32 v3, s1
	v_add_co_u32_e32 v2, vcc, s0, v2
	v_addc_co_u32_e32 v3, vcc, 0, v3, vcc
	v_cmp_gt_u32_e32 vcc, 64, v0
	s_waitcnt vmcnt(0)
	ds_write_b8 v0, v1
	s_waitcnt lgkmcnt(0)
	s_barrier
	s_and_saveexec_b64 s[0:1], vcc
	s_cbranch_execz .LBB0_2
; %bb.1:
	v_mul_u32_u24_e32 v4, 6, v0
	ds_read_u8 v5, v4
	ds_read_u8 v6, v4 offset:1
	ds_read_u8 v7, v4 offset:2
	;; [unrolled: 1-line block ×5, first 2 shown]
	s_waitcnt lgkmcnt(4)
	v_add_u16_e32 v11, v6, v5
	s_waitcnt lgkmcnt(3)
	v_add_u16_e32 v11, v11, v7
	;; [unrolled: 2-line block ×4, first 2 shown]
	v_mbcnt_lo_u32_b32 v12, -1, 0
	s_waitcnt lgkmcnt(0)
	v_add_u16_e32 v11, v11, v10
	v_mbcnt_hi_u32_b32 v12, -1, v12
	v_and_b32_e32 v13, 15, v12
	v_and_b32_e32 v14, 0xff, v11
	v_cmp_ne_u32_e32 vcc, 0, v13
	s_nop 0
	v_mov_b32_dpp v14, v14 row_shr:1 row_mask:0xf bank_mask:0xf
	v_cndmask_b32_e32 v14, 0, v14, vcc
	v_add_u16_e32 v11, v14, v11
	v_and_b32_e32 v14, 0xff, v11
	v_cmp_lt_u32_e32 vcc, 1, v13
	s_nop 0
	v_mov_b32_dpp v14, v14 row_shr:2 row_mask:0xf bank_mask:0xf
	v_cndmask_b32_e32 v14, 0, v14, vcc
	v_add_u16_e32 v11, v11, v14
	v_and_b32_e32 v14, 0xff, v11
	v_cmp_lt_u32_e32 vcc, 3, v13
	;; [unrolled: 6-line block ×3, first 2 shown]
	s_nop 0
	v_mov_b32_dpp v14, v14 row_shr:8 row_mask:0xf bank_mask:0xf
	v_cndmask_b32_e32 v13, 0, v14, vcc
	v_add_u16_e32 v11, v11, v13
	v_and_b32_e32 v13, 0xff, v11
	v_and_b32_e32 v14, 16, v12
	v_cmp_ne_u32_e32 vcc, 0, v14
	v_mov_b32_dpp v13, v13 row_bcast:15 row_mask:0xf bank_mask:0xf
	v_cndmask_b32_e32 v13, 0, v13, vcc
	v_add_u16_e32 v11, v11, v13
	v_and_b32_e32 v13, 0xff, v11
	v_cmp_lt_u32_e32 vcc, 31, v12
	v_and_b32_e32 v14, 64, v12
	v_mov_b32_dpp v13, v13 row_bcast:31 row_mask:0xf bank_mask:0xf
	v_cndmask_b32_e32 v13, 0, v13, vcc
	v_add_u16_e32 v11, v11, v13
	v_add_u32_e32 v13, -1, v12
	v_cmp_lt_i32_e32 vcc, v13, v14
	v_cndmask_b32_e32 v12, v13, v12, vcc
	v_and_b32_e32 v11, 0xff, v11
	v_lshlrev_b32_e32 v12, 2, v12
	ds_bpermute_b32 v11, v12, v11
	v_cmp_eq_u32_e32 vcc, 0, v0
	s_waitcnt lgkmcnt(0)
	v_add_u16_e32 v5, v5, v11
	v_cndmask_b32_e32 v1, v5, v1, vcc
	ds_write_b8 v4, v1
	v_add_u16_e32 v1, v1, v6
	ds_write_b8 v4, v1 offset:1
	v_add_u16_e32 v1, v1, v7
	ds_write_b8 v4, v1 offset:2
	;; [unrolled: 2-line block ×5, first 2 shown]
.LBB0_2:
	s_or_b64 exec, exec, s[0:1]
	s_waitcnt lgkmcnt(0)
	s_barrier
	ds_read_u8 v0, v0
	s_waitcnt lgkmcnt(0)
	global_store_byte v[2:3], v0, off
	s_endpgm
	.section	.rodata,"a",@progbits
	.p2align	6, 0x0
	.amdhsa_kernel _Z21inclusive_scan_kernelILj377ELN6hipcub18BlockScanAlgorithmE1EhEvPT1_
		.amdhsa_group_segment_fixed_size 384
		.amdhsa_private_segment_fixed_size 0
		.amdhsa_kernarg_size 8
		.amdhsa_user_sgpr_count 6
		.amdhsa_user_sgpr_private_segment_buffer 1
		.amdhsa_user_sgpr_dispatch_ptr 0
		.amdhsa_user_sgpr_queue_ptr 0
		.amdhsa_user_sgpr_kernarg_segment_ptr 1
		.amdhsa_user_sgpr_dispatch_id 0
		.amdhsa_user_sgpr_flat_scratch_init 0
		.amdhsa_user_sgpr_kernarg_preload_length 0
		.amdhsa_user_sgpr_kernarg_preload_offset 0
		.amdhsa_user_sgpr_private_segment_size 0
		.amdhsa_uses_dynamic_stack 0
		.amdhsa_system_sgpr_private_segment_wavefront_offset 0
		.amdhsa_system_sgpr_workgroup_id_x 1
		.amdhsa_system_sgpr_workgroup_id_y 0
		.amdhsa_system_sgpr_workgroup_id_z 0
		.amdhsa_system_sgpr_workgroup_info 0
		.amdhsa_system_vgpr_workitem_id 0
		.amdhsa_next_free_vgpr 15
		.amdhsa_next_free_sgpr 7
		.amdhsa_accum_offset 16
		.amdhsa_reserve_vcc 1
		.amdhsa_reserve_flat_scratch 0
		.amdhsa_float_round_mode_32 0
		.amdhsa_float_round_mode_16_64 0
		.amdhsa_float_denorm_mode_32 3
		.amdhsa_float_denorm_mode_16_64 3
		.amdhsa_dx10_clamp 1
		.amdhsa_ieee_mode 1
		.amdhsa_fp16_overflow 0
		.amdhsa_tg_split 0
		.amdhsa_exception_fp_ieee_invalid_op 0
		.amdhsa_exception_fp_denorm_src 0
		.amdhsa_exception_fp_ieee_div_zero 0
		.amdhsa_exception_fp_ieee_overflow 0
		.amdhsa_exception_fp_ieee_underflow 0
		.amdhsa_exception_fp_ieee_inexact 0
		.amdhsa_exception_int_div_zero 0
	.end_amdhsa_kernel
	.section	.text._Z21inclusive_scan_kernelILj377ELN6hipcub18BlockScanAlgorithmE1EhEvPT1_,"axG",@progbits,_Z21inclusive_scan_kernelILj377ELN6hipcub18BlockScanAlgorithmE1EhEvPT1_,comdat
.Lfunc_end0:
	.size	_Z21inclusive_scan_kernelILj377ELN6hipcub18BlockScanAlgorithmE1EhEvPT1_, .Lfunc_end0-_Z21inclusive_scan_kernelILj377ELN6hipcub18BlockScanAlgorithmE1EhEvPT1_
                                        ; -- End function
	.section	.AMDGPU.csdata,"",@progbits
; Kernel info:
; codeLenInByte = 528
; NumSgprs: 11
; NumVgprs: 15
; NumAgprs: 0
; TotalNumVgprs: 15
; ScratchSize: 0
; MemoryBound: 0
; FloatMode: 240
; IeeeMode: 1
; LDSByteSize: 384 bytes/workgroup (compile time only)
; SGPRBlocks: 1
; VGPRBlocks: 1
; NumSGPRsForWavesPerEU: 11
; NumVGPRsForWavesPerEU: 15
; AccumOffset: 16
; Occupancy: 8
; WaveLimiterHint : 0
; COMPUTE_PGM_RSRC2:SCRATCH_EN: 0
; COMPUTE_PGM_RSRC2:USER_SGPR: 6
; COMPUTE_PGM_RSRC2:TRAP_HANDLER: 0
; COMPUTE_PGM_RSRC2:TGID_X_EN: 1
; COMPUTE_PGM_RSRC2:TGID_Y_EN: 0
; COMPUTE_PGM_RSRC2:TGID_Z_EN: 0
; COMPUTE_PGM_RSRC2:TIDIG_COMP_CNT: 0
; COMPUTE_PGM_RSRC3_GFX90A:ACCUM_OFFSET: 3
; COMPUTE_PGM_RSRC3_GFX90A:TG_SPLIT: 0
	.section	.text._Z21inclusive_scan_kernelILj377ELN6hipcub18BlockScanAlgorithmE1EiEvPT1_,"axG",@progbits,_Z21inclusive_scan_kernelILj377ELN6hipcub18BlockScanAlgorithmE1EiEvPT1_,comdat
	.protected	_Z21inclusive_scan_kernelILj377ELN6hipcub18BlockScanAlgorithmE1EiEvPT1_ ; -- Begin function _Z21inclusive_scan_kernelILj377ELN6hipcub18BlockScanAlgorithmE1EiEvPT1_
	.globl	_Z21inclusive_scan_kernelILj377ELN6hipcub18BlockScanAlgorithmE1EiEvPT1_
	.p2align	8
	.type	_Z21inclusive_scan_kernelILj377ELN6hipcub18BlockScanAlgorithmE1EiEvPT1_,@function
_Z21inclusive_scan_kernelILj377ELN6hipcub18BlockScanAlgorithmE1EiEvPT1_: ; @_Z21inclusive_scan_kernelILj377ELN6hipcub18BlockScanAlgorithmE1EiEvPT1_
; %bb.0:
	s_load_dwordx2 s[0:1], s[4:5], 0x0
	s_mulk_i32 s6, 0x179
	v_add_u32_e32 v2, s6, v0
	v_mov_b32_e32 v3, 0
	v_lshlrev_b64 v[2:3], 2, v[2:3]
	s_waitcnt lgkmcnt(0)
	v_mov_b32_e32 v1, s1
	v_add_co_u32_e32 v2, vcc, s0, v2
	v_addc_co_u32_e32 v3, vcc, v1, v3, vcc
	global_load_dword v4, v[2:3], off
	v_lshlrev_b32_e32 v1, 2, v0
	v_cmp_gt_u32_e32 vcc, 64, v0
	s_waitcnt vmcnt(0)
	ds_write_b32 v1, v4
	s_waitcnt lgkmcnt(0)
	s_barrier
	s_and_saveexec_b64 s[0:1], vcc
	s_cbranch_execz .LBB1_2
; %bb.1:
	v_mul_u32_u24_e32 v5, 6, v0
	v_lshlrev_b32_e32 v5, 2, v5
	ds_read2_b32 v[6:7], v5 offset1:1
	ds_read2_b32 v[8:9], v5 offset0:2 offset1:3
	ds_read2_b32 v[10:11], v5 offset0:4 offset1:5
	v_mbcnt_lo_u32_b32 v12, -1, 0
	v_mbcnt_hi_u32_b32 v12, -1, v12
	s_waitcnt lgkmcnt(2)
	v_add_u32_e32 v13, v7, v6
	s_waitcnt lgkmcnt(1)
	v_add3_u32 v13, v13, v8, v9
	s_waitcnt lgkmcnt(0)
	v_add3_u32 v13, v13, v10, v11
	v_and_b32_e32 v14, 15, v12
	v_cmp_ne_u32_e32 vcc, 0, v14
	v_mov_b32_dpp v15, v13 row_shr:1 row_mask:0xf bank_mask:0xf
	v_cndmask_b32_e32 v15, 0, v15, vcc
	v_add_u32_e32 v13, v15, v13
	v_cmp_lt_u32_e32 vcc, 1, v14
	s_nop 0
	v_mov_b32_dpp v15, v13 row_shr:2 row_mask:0xf bank_mask:0xf
	v_cndmask_b32_e32 v15, 0, v15, vcc
	v_add_u32_e32 v13, v13, v15
	v_cmp_lt_u32_e32 vcc, 3, v14
	s_nop 0
	;; [unrolled: 5-line block ×3, first 2 shown]
	v_mov_b32_dpp v15, v13 row_shr:8 row_mask:0xf bank_mask:0xf
	v_cndmask_b32_e32 v14, 0, v15, vcc
	v_add_u32_e32 v13, v13, v14
	v_bfe_i32 v15, v12, 4, 1
	v_cmp_lt_u32_e32 vcc, 31, v12
	v_mov_b32_dpp v14, v13 row_bcast:15 row_mask:0xf bank_mask:0xf
	v_and_b32_e32 v14, v15, v14
	v_add_u32_e32 v13, v13, v14
	v_and_b32_e32 v15, 64, v12
	s_nop 0
	v_mov_b32_dpp v14, v13 row_bcast:31 row_mask:0xf bank_mask:0xf
	v_cndmask_b32_e32 v14, 0, v14, vcc
	v_add_u32_e32 v13, v13, v14
	v_add_u32_e32 v14, -1, v12
	v_cmp_lt_i32_e32 vcc, v14, v15
	v_cndmask_b32_e32 v12, v14, v12, vcc
	v_lshlrev_b32_e32 v12, 2, v12
	ds_bpermute_b32 v12, v12, v13
	v_cmp_eq_u32_e32 vcc, 0, v0
	s_waitcnt lgkmcnt(0)
	v_add_u32_e32 v6, v12, v6
	v_cndmask_b32_e32 v0, v6, v4, vcc
	v_add_u32_e32 v4, v0, v7
	ds_write2_b32 v5, v0, v4 offset1:1
	v_add_u32_e32 v0, v4, v8
	v_add_u32_e32 v4, v0, v9
	ds_write2_b32 v5, v0, v4 offset0:2 offset1:3
	v_add_u32_e32 v0, v4, v10
	v_add_u32_e32 v4, v0, v11
	ds_write2_b32 v5, v0, v4 offset0:4 offset1:5
.LBB1_2:
	s_or_b64 exec, exec, s[0:1]
	s_waitcnt lgkmcnt(0)
	s_barrier
	ds_read_b32 v0, v1
	s_waitcnt lgkmcnt(0)
	global_store_dword v[2:3], v0, off
	s_endpgm
	.section	.rodata,"a",@progbits
	.p2align	6, 0x0
	.amdhsa_kernel _Z21inclusive_scan_kernelILj377ELN6hipcub18BlockScanAlgorithmE1EiEvPT1_
		.amdhsa_group_segment_fixed_size 1536
		.amdhsa_private_segment_fixed_size 0
		.amdhsa_kernarg_size 8
		.amdhsa_user_sgpr_count 6
		.amdhsa_user_sgpr_private_segment_buffer 1
		.amdhsa_user_sgpr_dispatch_ptr 0
		.amdhsa_user_sgpr_queue_ptr 0
		.amdhsa_user_sgpr_kernarg_segment_ptr 1
		.amdhsa_user_sgpr_dispatch_id 0
		.amdhsa_user_sgpr_flat_scratch_init 0
		.amdhsa_user_sgpr_kernarg_preload_length 0
		.amdhsa_user_sgpr_kernarg_preload_offset 0
		.amdhsa_user_sgpr_private_segment_size 0
		.amdhsa_uses_dynamic_stack 0
		.amdhsa_system_sgpr_private_segment_wavefront_offset 0
		.amdhsa_system_sgpr_workgroup_id_x 1
		.amdhsa_system_sgpr_workgroup_id_y 0
		.amdhsa_system_sgpr_workgroup_id_z 0
		.amdhsa_system_sgpr_workgroup_info 0
		.amdhsa_system_vgpr_workitem_id 0
		.amdhsa_next_free_vgpr 16
		.amdhsa_next_free_sgpr 7
		.amdhsa_accum_offset 16
		.amdhsa_reserve_vcc 1
		.amdhsa_reserve_flat_scratch 0
		.amdhsa_float_round_mode_32 0
		.amdhsa_float_round_mode_16_64 0
		.amdhsa_float_denorm_mode_32 3
		.amdhsa_float_denorm_mode_16_64 3
		.amdhsa_dx10_clamp 1
		.amdhsa_ieee_mode 1
		.amdhsa_fp16_overflow 0
		.amdhsa_tg_split 0
		.amdhsa_exception_fp_ieee_invalid_op 0
		.amdhsa_exception_fp_denorm_src 0
		.amdhsa_exception_fp_ieee_div_zero 0
		.amdhsa_exception_fp_ieee_overflow 0
		.amdhsa_exception_fp_ieee_underflow 0
		.amdhsa_exception_fp_ieee_inexact 0
		.amdhsa_exception_int_div_zero 0
	.end_amdhsa_kernel
	.section	.text._Z21inclusive_scan_kernelILj377ELN6hipcub18BlockScanAlgorithmE1EiEvPT1_,"axG",@progbits,_Z21inclusive_scan_kernelILj377ELN6hipcub18BlockScanAlgorithmE1EiEvPT1_,comdat
.Lfunc_end1:
	.size	_Z21inclusive_scan_kernelILj377ELN6hipcub18BlockScanAlgorithmE1EiEvPT1_, .Lfunc_end1-_Z21inclusive_scan_kernelILj377ELN6hipcub18BlockScanAlgorithmE1EiEvPT1_
                                        ; -- End function
	.section	.AMDGPU.csdata,"",@progbits
; Kernel info:
; codeLenInByte = 436
; NumSgprs: 11
; NumVgprs: 16
; NumAgprs: 0
; TotalNumVgprs: 16
; ScratchSize: 0
; MemoryBound: 0
; FloatMode: 240
; IeeeMode: 1
; LDSByteSize: 1536 bytes/workgroup (compile time only)
; SGPRBlocks: 1
; VGPRBlocks: 1
; NumSGPRsForWavesPerEU: 11
; NumVGPRsForWavesPerEU: 16
; AccumOffset: 16
; Occupancy: 8
; WaveLimiterHint : 0
; COMPUTE_PGM_RSRC2:SCRATCH_EN: 0
; COMPUTE_PGM_RSRC2:USER_SGPR: 6
; COMPUTE_PGM_RSRC2:TRAP_HANDLER: 0
; COMPUTE_PGM_RSRC2:TGID_X_EN: 1
; COMPUTE_PGM_RSRC2:TGID_Y_EN: 0
; COMPUTE_PGM_RSRC2:TGID_Z_EN: 0
; COMPUTE_PGM_RSRC2:TIDIG_COMP_CNT: 0
; COMPUTE_PGM_RSRC3_GFX90A:ACCUM_OFFSET: 3
; COMPUTE_PGM_RSRC3_GFX90A:TG_SPLIT: 0
	.section	.text._Z21inclusive_scan_kernelILj255ELN6hipcub18BlockScanAlgorithmE1EjEvPT1_,"axG",@progbits,_Z21inclusive_scan_kernelILj255ELN6hipcub18BlockScanAlgorithmE1EjEvPT1_,comdat
	.protected	_Z21inclusive_scan_kernelILj255ELN6hipcub18BlockScanAlgorithmE1EjEvPT1_ ; -- Begin function _Z21inclusive_scan_kernelILj255ELN6hipcub18BlockScanAlgorithmE1EjEvPT1_
	.globl	_Z21inclusive_scan_kernelILj255ELN6hipcub18BlockScanAlgorithmE1EjEvPT1_
	.p2align	8
	.type	_Z21inclusive_scan_kernelILj255ELN6hipcub18BlockScanAlgorithmE1EjEvPT1_,@function
_Z21inclusive_scan_kernelILj255ELN6hipcub18BlockScanAlgorithmE1EjEvPT1_: ; @_Z21inclusive_scan_kernelILj255ELN6hipcub18BlockScanAlgorithmE1EjEvPT1_
; %bb.0:
	s_load_dwordx2 s[0:1], s[4:5], 0x0
	s_mulk_i32 s6, 0xff
	v_add_u32_e32 v2, s6, v0
	v_mov_b32_e32 v3, 0
	v_lshlrev_b64 v[2:3], 2, v[2:3]
	s_waitcnt lgkmcnt(0)
	v_mov_b32_e32 v1, s1
	v_add_co_u32_e32 v2, vcc, s0, v2
	v_addc_co_u32_e32 v3, vcc, v1, v3, vcc
	global_load_dword v4, v[2:3], off
	v_lshrrev_b32_e32 v1, 5, v0
	v_add_lshl_u32 v1, v1, v0, 2
	v_cmp_gt_u32_e32 vcc, 64, v0
	s_waitcnt vmcnt(0)
	ds_write_b32 v1, v4
	s_waitcnt lgkmcnt(0)
	s_barrier
	s_and_saveexec_b64 s[0:1], vcc
	s_cbranch_execz .LBB2_2
; %bb.1:
	v_lshlrev_b32_e32 v5, 2, v0
	v_lshrrev_b32_e32 v6, 3, v0
	v_add_lshl_u32 v5, v6, v5, 2
	ds_read2_b32 v[6:7], v5 offset1:1
	ds_read2_b32 v[8:9], v5 offset0:2 offset1:3
	v_mbcnt_lo_u32_b32 v10, -1, 0
	v_mbcnt_hi_u32_b32 v10, -1, v10
	v_and_b32_e32 v12, 15, v10
	s_waitcnt lgkmcnt(1)
	v_add_u32_e32 v11, v7, v6
	s_waitcnt lgkmcnt(0)
	v_add3_u32 v11, v11, v8, v9
	v_cmp_ne_u32_e32 vcc, 0, v12
	s_nop 0
	v_mov_b32_dpp v13, v11 row_shr:1 row_mask:0xf bank_mask:0xf
	v_cndmask_b32_e32 v13, 0, v13, vcc
	v_add_u32_e32 v11, v13, v11
	v_cmp_lt_u32_e32 vcc, 1, v12
	s_nop 0
	v_mov_b32_dpp v13, v11 row_shr:2 row_mask:0xf bank_mask:0xf
	v_cndmask_b32_e32 v13, 0, v13, vcc
	v_add_u32_e32 v11, v11, v13
	v_cmp_lt_u32_e32 vcc, 3, v12
	;; [unrolled: 5-line block ×3, first 2 shown]
	s_nop 0
	v_mov_b32_dpp v13, v11 row_shr:8 row_mask:0xf bank_mask:0xf
	v_cndmask_b32_e32 v12, 0, v13, vcc
	v_add_u32_e32 v11, v11, v12
	v_bfe_i32 v13, v10, 4, 1
	v_cmp_lt_u32_e32 vcc, 31, v10
	v_mov_b32_dpp v12, v11 row_bcast:15 row_mask:0xf bank_mask:0xf
	v_and_b32_e32 v12, v13, v12
	v_add_u32_e32 v11, v11, v12
	v_and_b32_e32 v13, 64, v10
	s_nop 0
	v_mov_b32_dpp v12, v11 row_bcast:31 row_mask:0xf bank_mask:0xf
	v_cndmask_b32_e32 v12, 0, v12, vcc
	v_add_u32_e32 v11, v11, v12
	v_add_u32_e32 v12, -1, v10
	v_cmp_lt_i32_e32 vcc, v12, v13
	v_cndmask_b32_e32 v10, v12, v10, vcc
	v_lshlrev_b32_e32 v10, 2, v10
	ds_bpermute_b32 v10, v10, v11
	v_cmp_eq_u32_e32 vcc, 0, v0
	s_waitcnt lgkmcnt(0)
	v_add_u32_e32 v6, v10, v6
	v_cndmask_b32_e32 v0, v6, v4, vcc
	v_add_u32_e32 v4, v0, v7
	ds_write2_b32 v5, v0, v4 offset1:1
	v_add_u32_e32 v0, v4, v8
	v_add_u32_e32 v4, v0, v9
	ds_write2_b32 v5, v0, v4 offset0:2 offset1:3
.LBB2_2:
	s_or_b64 exec, exec, s[0:1]
	s_waitcnt lgkmcnt(0)
	s_barrier
	ds_read_b32 v0, v1
	s_waitcnt lgkmcnt(0)
	global_store_dword v[2:3], v0, off
	s_endpgm
	.section	.rodata,"a",@progbits
	.p2align	6, 0x0
	.amdhsa_kernel _Z21inclusive_scan_kernelILj255ELN6hipcub18BlockScanAlgorithmE1EjEvPT1_
		.amdhsa_group_segment_fixed_size 1056
		.amdhsa_private_segment_fixed_size 0
		.amdhsa_kernarg_size 8
		.amdhsa_user_sgpr_count 6
		.amdhsa_user_sgpr_private_segment_buffer 1
		.amdhsa_user_sgpr_dispatch_ptr 0
		.amdhsa_user_sgpr_queue_ptr 0
		.amdhsa_user_sgpr_kernarg_segment_ptr 1
		.amdhsa_user_sgpr_dispatch_id 0
		.amdhsa_user_sgpr_flat_scratch_init 0
		.amdhsa_user_sgpr_kernarg_preload_length 0
		.amdhsa_user_sgpr_kernarg_preload_offset 0
		.amdhsa_user_sgpr_private_segment_size 0
		.amdhsa_uses_dynamic_stack 0
		.amdhsa_system_sgpr_private_segment_wavefront_offset 0
		.amdhsa_system_sgpr_workgroup_id_x 1
		.amdhsa_system_sgpr_workgroup_id_y 0
		.amdhsa_system_sgpr_workgroup_id_z 0
		.amdhsa_system_sgpr_workgroup_info 0
		.amdhsa_system_vgpr_workitem_id 0
		.amdhsa_next_free_vgpr 14
		.amdhsa_next_free_sgpr 7
		.amdhsa_accum_offset 16
		.amdhsa_reserve_vcc 1
		.amdhsa_reserve_flat_scratch 0
		.amdhsa_float_round_mode_32 0
		.amdhsa_float_round_mode_16_64 0
		.amdhsa_float_denorm_mode_32 3
		.amdhsa_float_denorm_mode_16_64 3
		.amdhsa_dx10_clamp 1
		.amdhsa_ieee_mode 1
		.amdhsa_fp16_overflow 0
		.amdhsa_tg_split 0
		.amdhsa_exception_fp_ieee_invalid_op 0
		.amdhsa_exception_fp_denorm_src 0
		.amdhsa_exception_fp_ieee_div_zero 0
		.amdhsa_exception_fp_ieee_overflow 0
		.amdhsa_exception_fp_ieee_underflow 0
		.amdhsa_exception_fp_ieee_inexact 0
		.amdhsa_exception_int_div_zero 0
	.end_amdhsa_kernel
	.section	.text._Z21inclusive_scan_kernelILj255ELN6hipcub18BlockScanAlgorithmE1EjEvPT1_,"axG",@progbits,_Z21inclusive_scan_kernelILj255ELN6hipcub18BlockScanAlgorithmE1EjEvPT1_,comdat
.Lfunc_end2:
	.size	_Z21inclusive_scan_kernelILj255ELN6hipcub18BlockScanAlgorithmE1EjEvPT1_, .Lfunc_end2-_Z21inclusive_scan_kernelILj255ELN6hipcub18BlockScanAlgorithmE1EjEvPT1_
                                        ; -- End function
	.section	.AMDGPU.csdata,"",@progbits
; Kernel info:
; codeLenInByte = 420
; NumSgprs: 11
; NumVgprs: 14
; NumAgprs: 0
; TotalNumVgprs: 14
; ScratchSize: 0
; MemoryBound: 0
; FloatMode: 240
; IeeeMode: 1
; LDSByteSize: 1056 bytes/workgroup (compile time only)
; SGPRBlocks: 1
; VGPRBlocks: 1
; NumSGPRsForWavesPerEU: 11
; NumVGPRsForWavesPerEU: 14
; AccumOffset: 16
; Occupancy: 8
; WaveLimiterHint : 0
; COMPUTE_PGM_RSRC2:SCRATCH_EN: 0
; COMPUTE_PGM_RSRC2:USER_SGPR: 6
; COMPUTE_PGM_RSRC2:TRAP_HANDLER: 0
; COMPUTE_PGM_RSRC2:TGID_X_EN: 1
; COMPUTE_PGM_RSRC2:TGID_Y_EN: 0
; COMPUTE_PGM_RSRC2:TGID_Z_EN: 0
; COMPUTE_PGM_RSRC2:TIDIG_COMP_CNT: 0
; COMPUTE_PGM_RSRC3_GFX90A:ACCUM_OFFSET: 3
; COMPUTE_PGM_RSRC3_GFX90A:TG_SPLIT: 0
	.section	.text._Z21inclusive_scan_kernelILj162ELN6hipcub18BlockScanAlgorithmE1EsEvPT1_,"axG",@progbits,_Z21inclusive_scan_kernelILj162ELN6hipcub18BlockScanAlgorithmE1EsEvPT1_,comdat
	.protected	_Z21inclusive_scan_kernelILj162ELN6hipcub18BlockScanAlgorithmE1EsEvPT1_ ; -- Begin function _Z21inclusive_scan_kernelILj162ELN6hipcub18BlockScanAlgorithmE1EsEvPT1_
	.globl	_Z21inclusive_scan_kernelILj162ELN6hipcub18BlockScanAlgorithmE1EsEvPT1_
	.p2align	8
	.type	_Z21inclusive_scan_kernelILj162ELN6hipcub18BlockScanAlgorithmE1EsEvPT1_,@function
_Z21inclusive_scan_kernelILj162ELN6hipcub18BlockScanAlgorithmE1EsEvPT1_: ; @_Z21inclusive_scan_kernelILj162ELN6hipcub18BlockScanAlgorithmE1EsEvPT1_
; %bb.0:
	s_load_dwordx2 s[0:1], s[4:5], 0x0
	s_mulk_i32 s6, 0xa2
	v_add_u32_e32 v2, s6, v0
	v_mov_b32_e32 v3, 0
	v_lshlrev_b64 v[2:3], 1, v[2:3]
	s_waitcnt lgkmcnt(0)
	v_mov_b32_e32 v1, s1
	v_add_co_u32_e32 v2, vcc, s0, v2
	v_addc_co_u32_e32 v3, vcc, v1, v3, vcc
	global_load_ushort v4, v[2:3], off
	v_lshlrev_b32_e32 v1, 1, v0
	v_cmp_gt_u32_e32 vcc, 64, v0
	s_waitcnt vmcnt(0)
	ds_write_b16 v1, v4
	s_waitcnt lgkmcnt(0)
	s_barrier
	s_and_saveexec_b64 s[0:1], vcc
	s_cbranch_execz .LBB3_2
; %bb.1:
	v_mul_u32_u24_e32 v5, 3, v0
	v_lshlrev_b32_e32 v5, 1, v5
	ds_read_u16 v6, v5
	ds_read_u16 v7, v5 offset:2
	ds_read_u16 v8, v5 offset:4
	v_mbcnt_lo_u32_b32 v9, -1, 0
	v_mbcnt_hi_u32_b32 v9, -1, v9
	v_and_b32_e32 v11, 15, v9
	s_waitcnt lgkmcnt(1)
	v_add_u16_e32 v10, v7, v6
	s_waitcnt lgkmcnt(0)
	v_add_u16_e32 v10, v10, v8
	v_cmp_ne_u32_e32 vcc, 0, v11
	s_nop 0
	v_mov_b32_dpp v12, v10 row_shr:1 row_mask:0xf bank_mask:0xf
	v_cndmask_b32_e32 v12, 0, v12, vcc
	v_add_u16_e32 v10, v12, v10
	v_cmp_lt_u32_e32 vcc, 1, v11
	s_nop 0
	v_mov_b32_dpp v12, v10 row_shr:2 row_mask:0xf bank_mask:0xf
	v_cndmask_b32_e32 v12, 0, v12, vcc
	v_add_u16_e32 v10, v10, v12
	v_cmp_lt_u32_e32 vcc, 3, v11
	;; [unrolled: 5-line block ×3, first 2 shown]
	s_nop 0
	v_mov_b32_dpp v12, v10 row_shr:8 row_mask:0xf bank_mask:0xf
	v_cndmask_b32_e32 v11, 0, v12, vcc
	v_add_u16_e32 v10, v10, v11
	v_and_b32_e32 v12, 16, v9
	v_cmp_ne_u32_e32 vcc, 0, v12
	v_mov_b32_dpp v11, v10 row_bcast:15 row_mask:0xf bank_mask:0xf
	v_cndmask_b32_e32 v11, 0, v11, vcc
	v_add_u16_e32 v10, v10, v11
	v_cmp_lt_u32_e32 vcc, 31, v9
	v_and_b32_e32 v12, 64, v9
	v_mov_b32_dpp v11, v10 row_bcast:31 row_mask:0xf bank_mask:0xf
	v_cndmask_b32_e32 v11, 0, v11, vcc
	v_add_u16_e32 v10, v10, v11
	v_add_u32_e32 v11, -1, v9
	v_cmp_lt_i32_e32 vcc, v11, v12
	v_cndmask_b32_e32 v9, v11, v9, vcc
	v_lshlrev_b32_e32 v9, 2, v9
	ds_bpermute_b32 v9, v9, v10
	v_cmp_eq_u32_e32 vcc, 0, v0
	s_waitcnt lgkmcnt(0)
	v_add_u16_e32 v6, v6, v9
	v_cndmask_b32_e32 v0, v6, v4, vcc
	ds_write_b16 v5, v0
	v_add_u16_e32 v0, v0, v7
	ds_write_b16 v5, v0 offset:2
	v_add_u16_e32 v0, v0, v8
	ds_write_b16 v5, v0 offset:4
.LBB3_2:
	s_or_b64 exec, exec, s[0:1]
	s_waitcnt lgkmcnt(0)
	s_barrier
	ds_read_u16 v0, v1
	s_waitcnt lgkmcnt(0)
	global_store_short v[2:3], v0, off
	s_endpgm
	.section	.rodata,"a",@progbits
	.p2align	6, 0x0
	.amdhsa_kernel _Z21inclusive_scan_kernelILj162ELN6hipcub18BlockScanAlgorithmE1EsEvPT1_
		.amdhsa_group_segment_fixed_size 384
		.amdhsa_private_segment_fixed_size 0
		.amdhsa_kernarg_size 8
		.amdhsa_user_sgpr_count 6
		.amdhsa_user_sgpr_private_segment_buffer 1
		.amdhsa_user_sgpr_dispatch_ptr 0
		.amdhsa_user_sgpr_queue_ptr 0
		.amdhsa_user_sgpr_kernarg_segment_ptr 1
		.amdhsa_user_sgpr_dispatch_id 0
		.amdhsa_user_sgpr_flat_scratch_init 0
		.amdhsa_user_sgpr_kernarg_preload_length 0
		.amdhsa_user_sgpr_kernarg_preload_offset 0
		.amdhsa_user_sgpr_private_segment_size 0
		.amdhsa_uses_dynamic_stack 0
		.amdhsa_system_sgpr_private_segment_wavefront_offset 0
		.amdhsa_system_sgpr_workgroup_id_x 1
		.amdhsa_system_sgpr_workgroup_id_y 0
		.amdhsa_system_sgpr_workgroup_id_z 0
		.amdhsa_system_sgpr_workgroup_info 0
		.amdhsa_system_vgpr_workitem_id 0
		.amdhsa_next_free_vgpr 13
		.amdhsa_next_free_sgpr 7
		.amdhsa_accum_offset 16
		.amdhsa_reserve_vcc 1
		.amdhsa_reserve_flat_scratch 0
		.amdhsa_float_round_mode_32 0
		.amdhsa_float_round_mode_16_64 0
		.amdhsa_float_denorm_mode_32 3
		.amdhsa_float_denorm_mode_16_64 3
		.amdhsa_dx10_clamp 1
		.amdhsa_ieee_mode 1
		.amdhsa_fp16_overflow 0
		.amdhsa_tg_split 0
		.amdhsa_exception_fp_ieee_invalid_op 0
		.amdhsa_exception_fp_denorm_src 0
		.amdhsa_exception_fp_ieee_div_zero 0
		.amdhsa_exception_fp_ieee_overflow 0
		.amdhsa_exception_fp_ieee_underflow 0
		.amdhsa_exception_fp_ieee_inexact 0
		.amdhsa_exception_int_div_zero 0
	.end_amdhsa_kernel
	.section	.text._Z21inclusive_scan_kernelILj162ELN6hipcub18BlockScanAlgorithmE1EsEvPT1_,"axG",@progbits,_Z21inclusive_scan_kernelILj162ELN6hipcub18BlockScanAlgorithmE1EsEvPT1_,comdat
.Lfunc_end3:
	.size	_Z21inclusive_scan_kernelILj162ELN6hipcub18BlockScanAlgorithmE1EsEvPT1_, .Lfunc_end3-_Z21inclusive_scan_kernelILj162ELN6hipcub18BlockScanAlgorithmE1EsEvPT1_
                                        ; -- End function
	.section	.AMDGPU.csdata,"",@progbits
; Kernel info:
; codeLenInByte = 408
; NumSgprs: 11
; NumVgprs: 13
; NumAgprs: 0
; TotalNumVgprs: 13
; ScratchSize: 0
; MemoryBound: 0
; FloatMode: 240
; IeeeMode: 1
; LDSByteSize: 384 bytes/workgroup (compile time only)
; SGPRBlocks: 1
; VGPRBlocks: 1
; NumSGPRsForWavesPerEU: 11
; NumVGPRsForWavesPerEU: 13
; AccumOffset: 16
; Occupancy: 8
; WaveLimiterHint : 0
; COMPUTE_PGM_RSRC2:SCRATCH_EN: 0
; COMPUTE_PGM_RSRC2:USER_SGPR: 6
; COMPUTE_PGM_RSRC2:TRAP_HANDLER: 0
; COMPUTE_PGM_RSRC2:TGID_X_EN: 1
; COMPUTE_PGM_RSRC2:TGID_Y_EN: 0
; COMPUTE_PGM_RSRC2:TGID_Z_EN: 0
; COMPUTE_PGM_RSRC2:TIDIG_COMP_CNT: 0
; COMPUTE_PGM_RSRC3_GFX90A:ACCUM_OFFSET: 3
; COMPUTE_PGM_RSRC3_GFX90A:TG_SPLIT: 0
	.section	.text._Z21inclusive_scan_kernelILj37ELN6hipcub18BlockScanAlgorithmE1ElEvPT1_,"axG",@progbits,_Z21inclusive_scan_kernelILj37ELN6hipcub18BlockScanAlgorithmE1ElEvPT1_,comdat
	.protected	_Z21inclusive_scan_kernelILj37ELN6hipcub18BlockScanAlgorithmE1ElEvPT1_ ; -- Begin function _Z21inclusive_scan_kernelILj37ELN6hipcub18BlockScanAlgorithmE1ElEvPT1_
	.globl	_Z21inclusive_scan_kernelILj37ELN6hipcub18BlockScanAlgorithmE1ElEvPT1_
	.p2align	8
	.type	_Z21inclusive_scan_kernelILj37ELN6hipcub18BlockScanAlgorithmE1ElEvPT1_,@function
_Z21inclusive_scan_kernelILj37ELN6hipcub18BlockScanAlgorithmE1ElEvPT1_: ; @_Z21inclusive_scan_kernelILj37ELN6hipcub18BlockScanAlgorithmE1ElEvPT1_
; %bb.0:
	s_load_dwordx2 s[0:1], s[4:5], 0x0
	v_mad_u64_u32 v[2:3], s[2:3], s6, 37, v[0:1]
	v_mov_b32_e32 v3, 0
	v_lshlrev_b64 v[2:3], 3, v[2:3]
	s_waitcnt lgkmcnt(0)
	v_mov_b32_e32 v1, s1
	v_add_co_u32_e32 v2, vcc, s0, v2
	v_addc_co_u32_e32 v3, vcc, v1, v3, vcc
	global_load_dwordx2 v[4:5], v[2:3], off
	v_mbcnt_lo_u32_b32 v1, -1, 0
	v_mbcnt_hi_u32_b32 v7, -1, v1
	v_and_b32_e32 v1, 15, v7
	v_and_b32_e32 v9, 16, v7
	v_cmp_ne_u32_e64 s[0:1], 0, v7
	s_waitcnt vmcnt(0)
	v_mov_b32_dpp v6, v4 row_shr:1 row_mask:0xf bank_mask:0xf
	v_add_co_u32_e32 v6, vcc, v4, v6
	v_addc_co_u32_e32 v10, vcc, 0, v5, vcc
	v_mov_b32_dpp v8, v5 row_shr:1 row_mask:0xf bank_mask:0xf
	v_add_co_u32_e32 v11, vcc, 0, v6
	v_addc_co_u32_e32 v8, vcc, v8, v10, vcc
	v_cmp_eq_u32_e32 vcc, 0, v1
	v_cndmask_b32_e32 v6, v6, v4, vcc
	v_cndmask_b32_e32 v8, v8, v5, vcc
	v_cndmask_b32_e32 v10, v11, v4, vcc
	v_mov_b32_dpp v11, v6 row_shr:2 row_mask:0xf bank_mask:0xf
	v_mov_b32_dpp v12, v8 row_shr:2 row_mask:0xf bank_mask:0xf
	v_add_co_u32_e32 v11, vcc, v11, v10
	v_addc_co_u32_e32 v12, vcc, v12, v8, vcc
	v_cmp_lt_u32_e32 vcc, 1, v1
	v_cndmask_b32_e32 v6, v6, v11, vcc
	v_cndmask_b32_e32 v8, v8, v12, vcc
	v_cndmask_b32_e32 v10, v10, v11, vcc
	v_mov_b32_dpp v11, v6 row_shr:4 row_mask:0xf bank_mask:0xf
	v_mov_b32_dpp v12, v8 row_shr:4 row_mask:0xf bank_mask:0xf
	v_add_co_u32_e32 v11, vcc, v11, v10
	v_addc_co_u32_e32 v12, vcc, v12, v8, vcc
	v_cmp_lt_u32_e32 vcc, 3, v1
	;; [unrolled: 8-line block ×3, first 2 shown]
	v_cndmask_b32_e32 v13, v6, v11, vcc
	v_cndmask_b32_e32 v1, v8, v12, vcc
	v_cndmask_b32_e32 v6, v10, v11, vcc
	v_mov_b32_dpp v8, v13 row_bcast:15 row_mask:0xf bank_mask:0xf
	v_mov_b32_dpp v10, v1 row_bcast:15 row_mask:0xf bank_mask:0xf
	v_add_co_u32_e32 v8, vcc, v8, v6
	v_addc_co_u32_e32 v10, vcc, v10, v1, vcc
	v_cmp_eq_u32_e32 vcc, 0, v9
	v_cndmask_b32_e32 v11, v10, v1, vcc
	v_cndmask_b32_e32 v9, v8, v13, vcc
	s_nop 0
	v_mov_b32_dpp v11, v11 row_bcast:31 row_mask:0xf bank_mask:0xf
	v_mov_b32_dpp v9, v9 row_bcast:31 row_mask:0xf bank_mask:0xf
	s_and_saveexec_b64 s[2:3], s[0:1]
; %bb.1:
	v_cndmask_b32_e32 v1, v10, v1, vcc
	v_cndmask_b32_e32 v4, v8, v6, vcc
	v_cmp_lt_u32_e32 vcc, 31, v7
	v_cndmask_b32_e32 v6, 0, v9, vcc
	v_cndmask_b32_e32 v5, 0, v11, vcc
	v_add_co_u32_e32 v4, vcc, v6, v4
	v_addc_co_u32_e32 v5, vcc, v5, v1, vcc
; %bb.2:
	s_or_b64 exec, exec, s[2:3]
	v_cmp_eq_u32_e32 vcc, 36, v0
	s_and_saveexec_b64 s[0:1], vcc
	s_cbranch_execz .LBB4_4
; %bb.3:
	v_mov_b32_e32 v0, 0
	ds_write_b64 v0, v[4:5]
.LBB4_4:
	s_or_b64 exec, exec, s[0:1]
	s_waitcnt lgkmcnt(0)
	; wave barrier
	s_waitcnt lgkmcnt(0)
	global_store_dwordx2 v[2:3], v[4:5], off
	s_endpgm
	.section	.rodata,"a",@progbits
	.p2align	6, 0x0
	.amdhsa_kernel _Z21inclusive_scan_kernelILj37ELN6hipcub18BlockScanAlgorithmE1ElEvPT1_
		.amdhsa_group_segment_fixed_size 8
		.amdhsa_private_segment_fixed_size 0
		.amdhsa_kernarg_size 8
		.amdhsa_user_sgpr_count 6
		.amdhsa_user_sgpr_private_segment_buffer 1
		.amdhsa_user_sgpr_dispatch_ptr 0
		.amdhsa_user_sgpr_queue_ptr 0
		.amdhsa_user_sgpr_kernarg_segment_ptr 1
		.amdhsa_user_sgpr_dispatch_id 0
		.amdhsa_user_sgpr_flat_scratch_init 0
		.amdhsa_user_sgpr_kernarg_preload_length 0
		.amdhsa_user_sgpr_kernarg_preload_offset 0
		.amdhsa_user_sgpr_private_segment_size 0
		.amdhsa_uses_dynamic_stack 0
		.amdhsa_system_sgpr_private_segment_wavefront_offset 0
		.amdhsa_system_sgpr_workgroup_id_x 1
		.amdhsa_system_sgpr_workgroup_id_y 0
		.amdhsa_system_sgpr_workgroup_id_z 0
		.amdhsa_system_sgpr_workgroup_info 0
		.amdhsa_system_vgpr_workitem_id 0
		.amdhsa_next_free_vgpr 14
		.amdhsa_next_free_sgpr 7
		.amdhsa_accum_offset 16
		.amdhsa_reserve_vcc 1
		.amdhsa_reserve_flat_scratch 0
		.amdhsa_float_round_mode_32 0
		.amdhsa_float_round_mode_16_64 0
		.amdhsa_float_denorm_mode_32 3
		.amdhsa_float_denorm_mode_16_64 3
		.amdhsa_dx10_clamp 1
		.amdhsa_ieee_mode 1
		.amdhsa_fp16_overflow 0
		.amdhsa_tg_split 0
		.amdhsa_exception_fp_ieee_invalid_op 0
		.amdhsa_exception_fp_denorm_src 0
		.amdhsa_exception_fp_ieee_div_zero 0
		.amdhsa_exception_fp_ieee_overflow 0
		.amdhsa_exception_fp_ieee_underflow 0
		.amdhsa_exception_fp_ieee_inexact 0
		.amdhsa_exception_int_div_zero 0
	.end_amdhsa_kernel
	.section	.text._Z21inclusive_scan_kernelILj37ELN6hipcub18BlockScanAlgorithmE1ElEvPT1_,"axG",@progbits,_Z21inclusive_scan_kernelILj37ELN6hipcub18BlockScanAlgorithmE1ElEvPT1_,comdat
.Lfunc_end4:
	.size	_Z21inclusive_scan_kernelILj37ELN6hipcub18BlockScanAlgorithmE1ElEvPT1_, .Lfunc_end4-_Z21inclusive_scan_kernelILj37ELN6hipcub18BlockScanAlgorithmE1ElEvPT1_
                                        ; -- End function
	.section	.AMDGPU.csdata,"",@progbits
; Kernel info:
; codeLenInByte = 396
; NumSgprs: 11
; NumVgprs: 14
; NumAgprs: 0
; TotalNumVgprs: 14
; ScratchSize: 0
; MemoryBound: 0
; FloatMode: 240
; IeeeMode: 1
; LDSByteSize: 8 bytes/workgroup (compile time only)
; SGPRBlocks: 1
; VGPRBlocks: 1
; NumSGPRsForWavesPerEU: 11
; NumVGPRsForWavesPerEU: 14
; AccumOffset: 16
; Occupancy: 8
; WaveLimiterHint : 0
; COMPUTE_PGM_RSRC2:SCRATCH_EN: 0
; COMPUTE_PGM_RSRC2:USER_SGPR: 6
; COMPUTE_PGM_RSRC2:TRAP_HANDLER: 0
; COMPUTE_PGM_RSRC2:TGID_X_EN: 1
; COMPUTE_PGM_RSRC2:TGID_Y_EN: 0
; COMPUTE_PGM_RSRC2:TGID_Z_EN: 0
; COMPUTE_PGM_RSRC2:TIDIG_COMP_CNT: 0
; COMPUTE_PGM_RSRC3_GFX90A:ACCUM_OFFSET: 3
; COMPUTE_PGM_RSRC3_GFX90A:TG_SPLIT: 0
	.section	.text._Z21inclusive_scan_kernelILj65ELN6hipcub18BlockScanAlgorithmE1EmEvPT1_,"axG",@progbits,_Z21inclusive_scan_kernelILj65ELN6hipcub18BlockScanAlgorithmE1EmEvPT1_,comdat
	.protected	_Z21inclusive_scan_kernelILj65ELN6hipcub18BlockScanAlgorithmE1EmEvPT1_ ; -- Begin function _Z21inclusive_scan_kernelILj65ELN6hipcub18BlockScanAlgorithmE1EmEvPT1_
	.globl	_Z21inclusive_scan_kernelILj65ELN6hipcub18BlockScanAlgorithmE1EmEvPT1_
	.p2align	8
	.type	_Z21inclusive_scan_kernelILj65ELN6hipcub18BlockScanAlgorithmE1EmEvPT1_,@function
_Z21inclusive_scan_kernelILj65ELN6hipcub18BlockScanAlgorithmE1EmEvPT1_: ; @_Z21inclusive_scan_kernelILj65ELN6hipcub18BlockScanAlgorithmE1EmEvPT1_
; %bb.0:
	s_load_dwordx2 s[0:1], s[4:5], 0x0
	s_mulk_i32 s6, 0x41
	v_add_u32_e32 v2, s6, v0
	v_mov_b32_e32 v3, 0
	v_lshlrev_b64 v[2:3], 3, v[2:3]
	s_waitcnt lgkmcnt(0)
	v_mov_b32_e32 v1, s1
	v_add_co_u32_e32 v2, vcc, s0, v2
	v_addc_co_u32_e32 v3, vcc, v1, v3, vcc
	global_load_dwordx2 v[4:5], v[2:3], off
	v_lshrrev_b32_e32 v1, 5, v0
	v_add_lshl_u32 v1, v1, v0, 3
	v_cmp_gt_u32_e32 vcc, 64, v0
	s_waitcnt vmcnt(0)
	ds_write_b64 v1, v[4:5]
	s_waitcnt lgkmcnt(0)
	s_barrier
	s_and_saveexec_b64 s[2:3], vcc
	s_cbranch_execz .LBB5_2
; %bb.1:
	v_lshlrev_b32_e32 v6, 1, v0
	v_lshrrev_b32_e32 v7, 4, v0
	v_add_lshl_u32 v10, v7, v6, 3
	ds_read2_b64 v[6:9], v10 offset1:1
	v_mbcnt_lo_u32_b32 v13, -1, 0
	v_mbcnt_hi_u32_b32 v13, -1, v13
	v_and_b32_e32 v14, 15, v13
	s_waitcnt lgkmcnt(0)
	v_add_co_u32_e32 v11, vcc, v8, v6
	v_addc_co_u32_e32 v12, vcc, v9, v7, vcc
	s_nop 0
	v_mov_b32_dpp v15, v11 row_shr:1 row_mask:0xf bank_mask:0xf
	v_add_co_u32_e32 v15, vcc, v11, v15
	v_addc_co_u32_e32 v17, vcc, 0, v12, vcc
	v_mov_b32_dpp v16, v12 row_shr:1 row_mask:0xf bank_mask:0xf
	v_add_co_u32_e32 v18, vcc, 0, v15
	v_addc_co_u32_e32 v16, vcc, v16, v17, vcc
	v_cmp_eq_u32_e32 vcc, 0, v14
	v_cndmask_b32_e32 v15, v15, v11, vcc
	v_cndmask_b32_e32 v12, v16, v12, vcc
	v_cndmask_b32_e32 v11, v18, v11, vcc
	v_mov_b32_dpp v16, v15 row_shr:2 row_mask:0xf bank_mask:0xf
	v_add_co_u32_e32 v16, vcc, v11, v16
	v_addc_co_u32_e32 v18, vcc, 0, v12, vcc
	v_mov_b32_dpp v17, v12 row_shr:2 row_mask:0xf bank_mask:0xf
	v_add_co_u32_e32 v19, vcc, 0, v16
	v_addc_co_u32_e32 v17, vcc, v18, v17, vcc
	v_cmp_lt_u32_e32 vcc, 1, v14
	v_cndmask_b32_e32 v15, v15, v16, vcc
	v_cndmask_b32_e32 v11, v11, v19, vcc
	v_cndmask_b32_e32 v12, v12, v17, vcc
	v_mov_b32_dpp v16, v15 row_shr:4 row_mask:0xf bank_mask:0xf
	v_add_co_u32_e32 v16, vcc, v11, v16
	v_addc_co_u32_e32 v18, vcc, 0, v12, vcc
	v_mov_b32_dpp v17, v12 row_shr:4 row_mask:0xf bank_mask:0xf
	v_add_co_u32_e32 v19, vcc, 0, v16
	v_addc_co_u32_e32 v17, vcc, v18, v17, vcc
	v_cmp_lt_u32_e32 vcc, 3, v14
	;; [unrolled: 10-line block ×3, first 2 shown]
	v_cndmask_b32_e32 v14, v15, v16, vcc
	v_cndmask_b32_e32 v11, v11, v19, vcc
	;; [unrolled: 1-line block ×3, first 2 shown]
	v_mov_b32_dpp v15, v14 row_bcast:15 row_mask:0xf bank_mask:0xf
	v_add_co_u32_e32 v15, vcc, v11, v15
	v_addc_co_u32_e32 v18, vcc, 0, v12, vcc
	v_mov_b32_dpp v16, v12 row_bcast:15 row_mask:0xf bank_mask:0xf
	v_add_co_u32_e32 v19, vcc, 0, v15
	v_and_b32_e32 v17, 16, v13
	v_addc_co_u32_e32 v16, vcc, v18, v16, vcc
	v_cmp_eq_u32_e32 vcc, 0, v17
	v_cndmask_b32_e32 v14, v15, v14, vcc
	v_cndmask_b32_e32 v11, v19, v11, vcc
	;; [unrolled: 1-line block ×3, first 2 shown]
	v_mov_b32_dpp v15, v14 row_bcast:31 row_mask:0xf bank_mask:0xf
	v_add_co_u32_e32 v11, vcc, v11, v15
	v_addc_co_u32_e32 v15, vcc, 0, v12, vcc
	v_cmp_lt_u32_e32 vcc, 31, v13
	v_cndmask_b32_e32 v11, v14, v11, vcc
	v_add_u32_e32 v14, -1, v13
	v_and_b32_e32 v17, 64, v13
	v_cmp_lt_i32_e64 s[0:1], v14, v17
	v_cndmask_b32_e64 v13, v14, v13, s[0:1]
	v_lshlrev_b32_e32 v13, 2, v13
	v_mov_b32_dpp v16, v12 row_bcast:31 row_mask:0xf bank_mask:0xf
	ds_bpermute_b32 v11, v13, v11
	v_add_u32_e32 v14, v16, v15
	v_cndmask_b32_e32 v12, v12, v14, vcc
	ds_bpermute_b32 v12, v13, v12
	s_waitcnt lgkmcnt(1)
	v_add_co_u32_e32 v6, vcc, v6, v11
	v_addc_co_u32_e32 v7, vcc, 0, v7, vcc
	v_add_co_u32_e32 v6, vcc, 0, v6
	s_waitcnt lgkmcnt(0)
	v_addc_co_u32_e32 v7, vcc, v7, v12, vcc
	v_cmp_eq_u32_e32 vcc, 0, v0
	v_cndmask_b32_e32 v4, v6, v4, vcc
	v_cndmask_b32_e32 v5, v7, v5, vcc
	v_add_co_u32_e32 v6, vcc, v4, v8
	v_addc_co_u32_e32 v7, vcc, v5, v9, vcc
	ds_write2_b64 v10, v[4:5], v[6:7] offset1:1
.LBB5_2:
	s_or_b64 exec, exec, s[2:3]
	s_waitcnt lgkmcnt(0)
	s_barrier
	ds_read_b64 v[0:1], v1
	s_waitcnt lgkmcnt(0)
	global_store_dwordx2 v[2:3], v[0:1], off
	s_endpgm
	.section	.rodata,"a",@progbits
	.p2align	6, 0x0
	.amdhsa_kernel _Z21inclusive_scan_kernelILj65ELN6hipcub18BlockScanAlgorithmE1EmEvPT1_
		.amdhsa_group_segment_fixed_size 1056
		.amdhsa_private_segment_fixed_size 0
		.amdhsa_kernarg_size 8
		.amdhsa_user_sgpr_count 6
		.amdhsa_user_sgpr_private_segment_buffer 1
		.amdhsa_user_sgpr_dispatch_ptr 0
		.amdhsa_user_sgpr_queue_ptr 0
		.amdhsa_user_sgpr_kernarg_segment_ptr 1
		.amdhsa_user_sgpr_dispatch_id 0
		.amdhsa_user_sgpr_flat_scratch_init 0
		.amdhsa_user_sgpr_kernarg_preload_length 0
		.amdhsa_user_sgpr_kernarg_preload_offset 0
		.amdhsa_user_sgpr_private_segment_size 0
		.amdhsa_uses_dynamic_stack 0
		.amdhsa_system_sgpr_private_segment_wavefront_offset 0
		.amdhsa_system_sgpr_workgroup_id_x 1
		.amdhsa_system_sgpr_workgroup_id_y 0
		.amdhsa_system_sgpr_workgroup_id_z 0
		.amdhsa_system_sgpr_workgroup_info 0
		.amdhsa_system_vgpr_workitem_id 0
		.amdhsa_next_free_vgpr 20
		.amdhsa_next_free_sgpr 7
		.amdhsa_accum_offset 20
		.amdhsa_reserve_vcc 1
		.amdhsa_reserve_flat_scratch 0
		.amdhsa_float_round_mode_32 0
		.amdhsa_float_round_mode_16_64 0
		.amdhsa_float_denorm_mode_32 3
		.amdhsa_float_denorm_mode_16_64 3
		.amdhsa_dx10_clamp 1
		.amdhsa_ieee_mode 1
		.amdhsa_fp16_overflow 0
		.amdhsa_tg_split 0
		.amdhsa_exception_fp_ieee_invalid_op 0
		.amdhsa_exception_fp_denorm_src 0
		.amdhsa_exception_fp_ieee_div_zero 0
		.amdhsa_exception_fp_ieee_overflow 0
		.amdhsa_exception_fp_ieee_underflow 0
		.amdhsa_exception_fp_ieee_inexact 0
		.amdhsa_exception_int_div_zero 0
	.end_amdhsa_kernel
	.section	.text._Z21inclusive_scan_kernelILj65ELN6hipcub18BlockScanAlgorithmE1EmEvPT1_,"axG",@progbits,_Z21inclusive_scan_kernelILj65ELN6hipcub18BlockScanAlgorithmE1EmEvPT1_,comdat
.Lfunc_end5:
	.size	_Z21inclusive_scan_kernelILj65ELN6hipcub18BlockScanAlgorithmE1EmEvPT1_, .Lfunc_end5-_Z21inclusive_scan_kernelILj65ELN6hipcub18BlockScanAlgorithmE1EmEvPT1_
                                        ; -- End function
	.section	.AMDGPU.csdata,"",@progbits
; Kernel info:
; codeLenInByte = 572
; NumSgprs: 11
; NumVgprs: 20
; NumAgprs: 0
; TotalNumVgprs: 20
; ScratchSize: 0
; MemoryBound: 0
; FloatMode: 240
; IeeeMode: 1
; LDSByteSize: 1056 bytes/workgroup (compile time only)
; SGPRBlocks: 1
; VGPRBlocks: 2
; NumSGPRsForWavesPerEU: 11
; NumVGPRsForWavesPerEU: 20
; AccumOffset: 20
; Occupancy: 8
; WaveLimiterHint : 0
; COMPUTE_PGM_RSRC2:SCRATCH_EN: 0
; COMPUTE_PGM_RSRC2:USER_SGPR: 6
; COMPUTE_PGM_RSRC2:TRAP_HANDLER: 0
; COMPUTE_PGM_RSRC2:TGID_X_EN: 1
; COMPUTE_PGM_RSRC2:TGID_Y_EN: 0
; COMPUTE_PGM_RSRC2:TGID_Z_EN: 0
; COMPUTE_PGM_RSRC2:TIDIG_COMP_CNT: 0
; COMPUTE_PGM_RSRC3_GFX90A:ACCUM_OFFSET: 4
; COMPUTE_PGM_RSRC3_GFX90A:TG_SPLIT: 0
	.section	.text._Z21inclusive_scan_kernelILj512ELN6hipcub18BlockScanAlgorithmE1EiEvPT1_,"axG",@progbits,_Z21inclusive_scan_kernelILj512ELN6hipcub18BlockScanAlgorithmE1EiEvPT1_,comdat
	.protected	_Z21inclusive_scan_kernelILj512ELN6hipcub18BlockScanAlgorithmE1EiEvPT1_ ; -- Begin function _Z21inclusive_scan_kernelILj512ELN6hipcub18BlockScanAlgorithmE1EiEvPT1_
	.globl	_Z21inclusive_scan_kernelILj512ELN6hipcub18BlockScanAlgorithmE1EiEvPT1_
	.p2align	8
	.type	_Z21inclusive_scan_kernelILj512ELN6hipcub18BlockScanAlgorithmE1EiEvPT1_,@function
_Z21inclusive_scan_kernelILj512ELN6hipcub18BlockScanAlgorithmE1EiEvPT1_: ; @_Z21inclusive_scan_kernelILj512ELN6hipcub18BlockScanAlgorithmE1EiEvPT1_
; %bb.0:
	s_load_dwordx2 s[0:1], s[4:5], 0x0
	v_lshl_or_b32 v2, s6, 9, v0
	v_mov_b32_e32 v3, 0
	v_lshlrev_b64 v[2:3], 2, v[2:3]
	s_waitcnt lgkmcnt(0)
	v_mov_b32_e32 v1, s1
	v_add_co_u32_e32 v2, vcc, s0, v2
	v_addc_co_u32_e32 v3, vcc, v1, v3, vcc
	global_load_dword v4, v[2:3], off
	v_lshrrev_b32_e32 v1, 5, v0
	v_add_lshl_u32 v1, v1, v0, 2
	v_cmp_gt_u32_e32 vcc, 64, v0
	s_waitcnt vmcnt(0)
	ds_write_b32 v1, v4
	s_waitcnt lgkmcnt(0)
	s_barrier
	s_and_saveexec_b64 s[0:1], vcc
	s_cbranch_execz .LBB6_2
; %bb.1:
	v_lshlrev_b32_e32 v5, 3, v0
	v_lshrrev_b32_e32 v6, 2, v0
	v_add_lshl_u32 v5, v6, v5, 2
	ds_read2_b32 v[6:7], v5 offset1:1
	ds_read2_b32 v[8:9], v5 offset0:2 offset1:3
	ds_read2_b32 v[10:11], v5 offset0:4 offset1:5
	;; [unrolled: 1-line block ×3, first 2 shown]
	v_mbcnt_lo_u32_b32 v15, -1, 0
	s_waitcnt lgkmcnt(3)
	v_add_u32_e32 v14, v7, v6
	s_waitcnt lgkmcnt(2)
	v_add3_u32 v14, v14, v8, v9
	s_waitcnt lgkmcnt(1)
	v_add3_u32 v14, v14, v10, v11
	v_mbcnt_hi_u32_b32 v15, -1, v15
	s_waitcnt lgkmcnt(0)
	v_add3_u32 v14, v14, v12, v13
	v_and_b32_e32 v16, 15, v15
	v_cmp_ne_u32_e32 vcc, 0, v16
	v_mov_b32_dpp v17, v14 row_shr:1 row_mask:0xf bank_mask:0xf
	v_cndmask_b32_e32 v17, 0, v17, vcc
	v_add_u32_e32 v14, v17, v14
	v_cmp_lt_u32_e32 vcc, 1, v16
	s_nop 0
	v_mov_b32_dpp v17, v14 row_shr:2 row_mask:0xf bank_mask:0xf
	v_cndmask_b32_e32 v17, 0, v17, vcc
	v_add_u32_e32 v14, v14, v17
	v_cmp_lt_u32_e32 vcc, 3, v16
	s_nop 0
	;; [unrolled: 5-line block ×3, first 2 shown]
	v_mov_b32_dpp v17, v14 row_shr:8 row_mask:0xf bank_mask:0xf
	v_cndmask_b32_e32 v16, 0, v17, vcc
	v_add_u32_e32 v14, v14, v16
	v_bfe_i32 v17, v15, 4, 1
	v_cmp_lt_u32_e32 vcc, 31, v15
	v_mov_b32_dpp v16, v14 row_bcast:15 row_mask:0xf bank_mask:0xf
	v_and_b32_e32 v16, v17, v16
	v_add_u32_e32 v14, v14, v16
	v_and_b32_e32 v17, 64, v15
	s_nop 0
	v_mov_b32_dpp v16, v14 row_bcast:31 row_mask:0xf bank_mask:0xf
	v_cndmask_b32_e32 v16, 0, v16, vcc
	v_add_u32_e32 v14, v14, v16
	v_add_u32_e32 v16, -1, v15
	v_cmp_lt_i32_e32 vcc, v16, v17
	v_cndmask_b32_e32 v15, v16, v15, vcc
	v_lshlrev_b32_e32 v15, 2, v15
	ds_bpermute_b32 v14, v15, v14
	v_cmp_eq_u32_e32 vcc, 0, v0
	s_waitcnt lgkmcnt(0)
	v_add_u32_e32 v6, v14, v6
	v_cndmask_b32_e32 v0, v6, v4, vcc
	v_add_u32_e32 v4, v0, v7
	ds_write2_b32 v5, v0, v4 offset1:1
	v_add_u32_e32 v0, v4, v8
	v_add_u32_e32 v4, v0, v9
	ds_write2_b32 v5, v0, v4 offset0:2 offset1:3
	v_add_u32_e32 v0, v4, v10
	v_add_u32_e32 v4, v0, v11
	ds_write2_b32 v5, v0, v4 offset0:4 offset1:5
	;; [unrolled: 3-line block ×3, first 2 shown]
.LBB6_2:
	s_or_b64 exec, exec, s[0:1]
	s_waitcnt lgkmcnt(0)
	s_barrier
	ds_read_b32 v0, v1
	s_waitcnt lgkmcnt(0)
	global_store_dword v[2:3], v0, off
	s_endpgm
	.section	.rodata,"a",@progbits
	.p2align	6, 0x0
	.amdhsa_kernel _Z21inclusive_scan_kernelILj512ELN6hipcub18BlockScanAlgorithmE1EiEvPT1_
		.amdhsa_group_segment_fixed_size 2112
		.amdhsa_private_segment_fixed_size 0
		.amdhsa_kernarg_size 8
		.amdhsa_user_sgpr_count 6
		.amdhsa_user_sgpr_private_segment_buffer 1
		.amdhsa_user_sgpr_dispatch_ptr 0
		.amdhsa_user_sgpr_queue_ptr 0
		.amdhsa_user_sgpr_kernarg_segment_ptr 1
		.amdhsa_user_sgpr_dispatch_id 0
		.amdhsa_user_sgpr_flat_scratch_init 0
		.amdhsa_user_sgpr_kernarg_preload_length 0
		.amdhsa_user_sgpr_kernarg_preload_offset 0
		.amdhsa_user_sgpr_private_segment_size 0
		.amdhsa_uses_dynamic_stack 0
		.amdhsa_system_sgpr_private_segment_wavefront_offset 0
		.amdhsa_system_sgpr_workgroup_id_x 1
		.amdhsa_system_sgpr_workgroup_id_y 0
		.amdhsa_system_sgpr_workgroup_id_z 0
		.amdhsa_system_sgpr_workgroup_info 0
		.amdhsa_system_vgpr_workitem_id 0
		.amdhsa_next_free_vgpr 18
		.amdhsa_next_free_sgpr 7
		.amdhsa_accum_offset 20
		.amdhsa_reserve_vcc 1
		.amdhsa_reserve_flat_scratch 0
		.amdhsa_float_round_mode_32 0
		.amdhsa_float_round_mode_16_64 0
		.amdhsa_float_denorm_mode_32 3
		.amdhsa_float_denorm_mode_16_64 3
		.amdhsa_dx10_clamp 1
		.amdhsa_ieee_mode 1
		.amdhsa_fp16_overflow 0
		.amdhsa_tg_split 0
		.amdhsa_exception_fp_ieee_invalid_op 0
		.amdhsa_exception_fp_denorm_src 0
		.amdhsa_exception_fp_ieee_div_zero 0
		.amdhsa_exception_fp_ieee_overflow 0
		.amdhsa_exception_fp_ieee_underflow 0
		.amdhsa_exception_fp_ieee_inexact 0
		.amdhsa_exception_int_div_zero 0
	.end_amdhsa_kernel
	.section	.text._Z21inclusive_scan_kernelILj512ELN6hipcub18BlockScanAlgorithmE1EiEvPT1_,"axG",@progbits,_Z21inclusive_scan_kernelILj512ELN6hipcub18BlockScanAlgorithmE1EiEvPT1_,comdat
.Lfunc_end6:
	.size	_Z21inclusive_scan_kernelILj512ELN6hipcub18BlockScanAlgorithmE1EiEvPT1_, .Lfunc_end6-_Z21inclusive_scan_kernelILj512ELN6hipcub18BlockScanAlgorithmE1EiEvPT1_
                                        ; -- End function
	.section	.AMDGPU.csdata,"",@progbits
; Kernel info:
; codeLenInByte = 488
; NumSgprs: 11
; NumVgprs: 18
; NumAgprs: 0
; TotalNumVgprs: 18
; ScratchSize: 0
; MemoryBound: 0
; FloatMode: 240
; IeeeMode: 1
; LDSByteSize: 2112 bytes/workgroup (compile time only)
; SGPRBlocks: 1
; VGPRBlocks: 2
; NumSGPRsForWavesPerEU: 11
; NumVGPRsForWavesPerEU: 18
; AccumOffset: 20
; Occupancy: 8
; WaveLimiterHint : 0
; COMPUTE_PGM_RSRC2:SCRATCH_EN: 0
; COMPUTE_PGM_RSRC2:USER_SGPR: 6
; COMPUTE_PGM_RSRC2:TRAP_HANDLER: 0
; COMPUTE_PGM_RSRC2:TGID_X_EN: 1
; COMPUTE_PGM_RSRC2:TGID_Y_EN: 0
; COMPUTE_PGM_RSRC2:TGID_Z_EN: 0
; COMPUTE_PGM_RSRC2:TIDIG_COMP_CNT: 0
; COMPUTE_PGM_RSRC3_GFX90A:ACCUM_OFFSET: 4
; COMPUTE_PGM_RSRC3_GFX90A:TG_SPLIT: 0
	.section	.text._Z21inclusive_scan_kernelILj256ELN6hipcub18BlockScanAlgorithmE1EiEvPT1_,"axG",@progbits,_Z21inclusive_scan_kernelILj256ELN6hipcub18BlockScanAlgorithmE1EiEvPT1_,comdat
	.protected	_Z21inclusive_scan_kernelILj256ELN6hipcub18BlockScanAlgorithmE1EiEvPT1_ ; -- Begin function _Z21inclusive_scan_kernelILj256ELN6hipcub18BlockScanAlgorithmE1EiEvPT1_
	.globl	_Z21inclusive_scan_kernelILj256ELN6hipcub18BlockScanAlgorithmE1EiEvPT1_
	.p2align	8
	.type	_Z21inclusive_scan_kernelILj256ELN6hipcub18BlockScanAlgorithmE1EiEvPT1_,@function
_Z21inclusive_scan_kernelILj256ELN6hipcub18BlockScanAlgorithmE1EiEvPT1_: ; @_Z21inclusive_scan_kernelILj256ELN6hipcub18BlockScanAlgorithmE1EiEvPT1_
; %bb.0:
	s_load_dwordx2 s[0:1], s[4:5], 0x0
	v_lshl_or_b32 v2, s6, 8, v0
	v_mov_b32_e32 v3, 0
	v_lshlrev_b64 v[2:3], 2, v[2:3]
	s_waitcnt lgkmcnt(0)
	v_mov_b32_e32 v1, s1
	v_add_co_u32_e32 v2, vcc, s0, v2
	v_addc_co_u32_e32 v3, vcc, v1, v3, vcc
	global_load_dword v4, v[2:3], off
	v_lshrrev_b32_e32 v1, 5, v0
	v_add_lshl_u32 v1, v1, v0, 2
	v_cmp_gt_u32_e32 vcc, 64, v0
	s_waitcnt vmcnt(0)
	ds_write_b32 v1, v4
	s_waitcnt lgkmcnt(0)
	s_barrier
	s_and_saveexec_b64 s[0:1], vcc
	s_cbranch_execz .LBB7_2
; %bb.1:
	v_lshlrev_b32_e32 v5, 2, v0
	v_lshrrev_b32_e32 v6, 3, v0
	v_add_lshl_u32 v5, v6, v5, 2
	ds_read2_b32 v[6:7], v5 offset1:1
	ds_read2_b32 v[8:9], v5 offset0:2 offset1:3
	v_mbcnt_lo_u32_b32 v10, -1, 0
	v_mbcnt_hi_u32_b32 v10, -1, v10
	v_and_b32_e32 v12, 15, v10
	s_waitcnt lgkmcnt(1)
	v_add_u32_e32 v11, v7, v6
	s_waitcnt lgkmcnt(0)
	v_add3_u32 v11, v11, v8, v9
	v_cmp_ne_u32_e32 vcc, 0, v12
	s_nop 0
	v_mov_b32_dpp v13, v11 row_shr:1 row_mask:0xf bank_mask:0xf
	v_cndmask_b32_e32 v13, 0, v13, vcc
	v_add_u32_e32 v11, v13, v11
	v_cmp_lt_u32_e32 vcc, 1, v12
	s_nop 0
	v_mov_b32_dpp v13, v11 row_shr:2 row_mask:0xf bank_mask:0xf
	v_cndmask_b32_e32 v13, 0, v13, vcc
	v_add_u32_e32 v11, v11, v13
	v_cmp_lt_u32_e32 vcc, 3, v12
	;; [unrolled: 5-line block ×3, first 2 shown]
	s_nop 0
	v_mov_b32_dpp v13, v11 row_shr:8 row_mask:0xf bank_mask:0xf
	v_cndmask_b32_e32 v12, 0, v13, vcc
	v_add_u32_e32 v11, v11, v12
	v_bfe_i32 v13, v10, 4, 1
	v_cmp_lt_u32_e32 vcc, 31, v10
	v_mov_b32_dpp v12, v11 row_bcast:15 row_mask:0xf bank_mask:0xf
	v_and_b32_e32 v12, v13, v12
	v_add_u32_e32 v11, v11, v12
	v_and_b32_e32 v13, 64, v10
	s_nop 0
	v_mov_b32_dpp v12, v11 row_bcast:31 row_mask:0xf bank_mask:0xf
	v_cndmask_b32_e32 v12, 0, v12, vcc
	v_add_u32_e32 v11, v11, v12
	v_add_u32_e32 v12, -1, v10
	v_cmp_lt_i32_e32 vcc, v12, v13
	v_cndmask_b32_e32 v10, v12, v10, vcc
	v_lshlrev_b32_e32 v10, 2, v10
	ds_bpermute_b32 v10, v10, v11
	v_cmp_eq_u32_e32 vcc, 0, v0
	s_waitcnt lgkmcnt(0)
	v_add_u32_e32 v6, v10, v6
	v_cndmask_b32_e32 v0, v6, v4, vcc
	v_add_u32_e32 v4, v0, v7
	ds_write2_b32 v5, v0, v4 offset1:1
	v_add_u32_e32 v0, v4, v8
	v_add_u32_e32 v4, v0, v9
	ds_write2_b32 v5, v0, v4 offset0:2 offset1:3
.LBB7_2:
	s_or_b64 exec, exec, s[0:1]
	s_waitcnt lgkmcnt(0)
	s_barrier
	ds_read_b32 v0, v1
	s_waitcnt lgkmcnt(0)
	global_store_dword v[2:3], v0, off
	s_endpgm
	.section	.rodata,"a",@progbits
	.p2align	6, 0x0
	.amdhsa_kernel _Z21inclusive_scan_kernelILj256ELN6hipcub18BlockScanAlgorithmE1EiEvPT1_
		.amdhsa_group_segment_fixed_size 1056
		.amdhsa_private_segment_fixed_size 0
		.amdhsa_kernarg_size 8
		.amdhsa_user_sgpr_count 6
		.amdhsa_user_sgpr_private_segment_buffer 1
		.amdhsa_user_sgpr_dispatch_ptr 0
		.amdhsa_user_sgpr_queue_ptr 0
		.amdhsa_user_sgpr_kernarg_segment_ptr 1
		.amdhsa_user_sgpr_dispatch_id 0
		.amdhsa_user_sgpr_flat_scratch_init 0
		.amdhsa_user_sgpr_kernarg_preload_length 0
		.amdhsa_user_sgpr_kernarg_preload_offset 0
		.amdhsa_user_sgpr_private_segment_size 0
		.amdhsa_uses_dynamic_stack 0
		.amdhsa_system_sgpr_private_segment_wavefront_offset 0
		.amdhsa_system_sgpr_workgroup_id_x 1
		.amdhsa_system_sgpr_workgroup_id_y 0
		.amdhsa_system_sgpr_workgroup_id_z 0
		.amdhsa_system_sgpr_workgroup_info 0
		.amdhsa_system_vgpr_workitem_id 0
		.amdhsa_next_free_vgpr 14
		.amdhsa_next_free_sgpr 7
		.amdhsa_accum_offset 16
		.amdhsa_reserve_vcc 1
		.amdhsa_reserve_flat_scratch 0
		.amdhsa_float_round_mode_32 0
		.amdhsa_float_round_mode_16_64 0
		.amdhsa_float_denorm_mode_32 3
		.amdhsa_float_denorm_mode_16_64 3
		.amdhsa_dx10_clamp 1
		.amdhsa_ieee_mode 1
		.amdhsa_fp16_overflow 0
		.amdhsa_tg_split 0
		.amdhsa_exception_fp_ieee_invalid_op 0
		.amdhsa_exception_fp_denorm_src 0
		.amdhsa_exception_fp_ieee_div_zero 0
		.amdhsa_exception_fp_ieee_overflow 0
		.amdhsa_exception_fp_ieee_underflow 0
		.amdhsa_exception_fp_ieee_inexact 0
		.amdhsa_exception_int_div_zero 0
	.end_amdhsa_kernel
	.section	.text._Z21inclusive_scan_kernelILj256ELN6hipcub18BlockScanAlgorithmE1EiEvPT1_,"axG",@progbits,_Z21inclusive_scan_kernelILj256ELN6hipcub18BlockScanAlgorithmE1EiEvPT1_,comdat
.Lfunc_end7:
	.size	_Z21inclusive_scan_kernelILj256ELN6hipcub18BlockScanAlgorithmE1EiEvPT1_, .Lfunc_end7-_Z21inclusive_scan_kernelILj256ELN6hipcub18BlockScanAlgorithmE1EiEvPT1_
                                        ; -- End function
	.section	.AMDGPU.csdata,"",@progbits
; Kernel info:
; codeLenInByte = 420
; NumSgprs: 11
; NumVgprs: 14
; NumAgprs: 0
; TotalNumVgprs: 14
; ScratchSize: 0
; MemoryBound: 0
; FloatMode: 240
; IeeeMode: 1
; LDSByteSize: 1056 bytes/workgroup (compile time only)
; SGPRBlocks: 1
; VGPRBlocks: 1
; NumSGPRsForWavesPerEU: 11
; NumVGPRsForWavesPerEU: 14
; AccumOffset: 16
; Occupancy: 8
; WaveLimiterHint : 0
; COMPUTE_PGM_RSRC2:SCRATCH_EN: 0
; COMPUTE_PGM_RSRC2:USER_SGPR: 6
; COMPUTE_PGM_RSRC2:TRAP_HANDLER: 0
; COMPUTE_PGM_RSRC2:TGID_X_EN: 1
; COMPUTE_PGM_RSRC2:TGID_Y_EN: 0
; COMPUTE_PGM_RSRC2:TGID_Z_EN: 0
; COMPUTE_PGM_RSRC2:TIDIG_COMP_CNT: 0
; COMPUTE_PGM_RSRC3_GFX90A:ACCUM_OFFSET: 3
; COMPUTE_PGM_RSRC3_GFX90A:TG_SPLIT: 0
	.section	.text._Z21inclusive_scan_kernelILj128ELN6hipcub18BlockScanAlgorithmE1EiEvPT1_,"axG",@progbits,_Z21inclusive_scan_kernelILj128ELN6hipcub18BlockScanAlgorithmE1EiEvPT1_,comdat
	.protected	_Z21inclusive_scan_kernelILj128ELN6hipcub18BlockScanAlgorithmE1EiEvPT1_ ; -- Begin function _Z21inclusive_scan_kernelILj128ELN6hipcub18BlockScanAlgorithmE1EiEvPT1_
	.globl	_Z21inclusive_scan_kernelILj128ELN6hipcub18BlockScanAlgorithmE1EiEvPT1_
	.p2align	8
	.type	_Z21inclusive_scan_kernelILj128ELN6hipcub18BlockScanAlgorithmE1EiEvPT1_,@function
_Z21inclusive_scan_kernelILj128ELN6hipcub18BlockScanAlgorithmE1EiEvPT1_: ; @_Z21inclusive_scan_kernelILj128ELN6hipcub18BlockScanAlgorithmE1EiEvPT1_
; %bb.0:
	s_load_dwordx2 s[0:1], s[4:5], 0x0
	v_lshl_or_b32 v2, s6, 7, v0
	v_mov_b32_e32 v3, 0
	v_lshlrev_b64 v[2:3], 2, v[2:3]
	s_waitcnt lgkmcnt(0)
	v_mov_b32_e32 v1, s1
	v_add_co_u32_e32 v2, vcc, s0, v2
	v_addc_co_u32_e32 v3, vcc, v1, v3, vcc
	global_load_dword v4, v[2:3], off
	v_lshrrev_b32_e32 v1, 5, v0
	v_add_lshl_u32 v1, v1, v0, 2
	v_cmp_gt_u32_e32 vcc, 64, v0
	s_waitcnt vmcnt(0)
	ds_write_b32 v1, v4
	s_waitcnt lgkmcnt(0)
	s_barrier
	s_and_saveexec_b64 s[0:1], vcc
	s_cbranch_execz .LBB8_2
; %bb.1:
	v_lshlrev_b32_e32 v5, 1, v0
	v_lshrrev_b32_e32 v6, 4, v0
	v_add_lshl_u32 v5, v6, v5, 2
	ds_read2_b32 v[6:7], v5 offset1:1
	v_mbcnt_lo_u32_b32 v8, -1, 0
	v_mbcnt_hi_u32_b32 v8, -1, v8
	v_and_b32_e32 v9, 15, v8
	v_cmp_ne_u32_e32 vcc, 0, v9
	s_waitcnt lgkmcnt(0)
	v_add_u32_e32 v10, v7, v6
	s_nop 1
	v_mov_b32_dpp v11, v10 row_shr:1 row_mask:0xf bank_mask:0xf
	v_cndmask_b32_e32 v11, 0, v11, vcc
	v_add_u32_e32 v10, v11, v10
	v_cmp_lt_u32_e32 vcc, 1, v9
	s_nop 0
	v_mov_b32_dpp v11, v10 row_shr:2 row_mask:0xf bank_mask:0xf
	v_cndmask_b32_e32 v11, 0, v11, vcc
	v_add_u32_e32 v10, v10, v11
	v_cmp_lt_u32_e32 vcc, 3, v9
	;; [unrolled: 5-line block ×3, first 2 shown]
	s_nop 0
	v_mov_b32_dpp v11, v10 row_shr:8 row_mask:0xf bank_mask:0xf
	v_cndmask_b32_e32 v9, 0, v11, vcc
	v_add_u32_e32 v9, v10, v9
	v_bfe_i32 v11, v8, 4, 1
	v_cmp_lt_u32_e32 vcc, 31, v8
	v_mov_b32_dpp v10, v9 row_bcast:15 row_mask:0xf bank_mask:0xf
	v_and_b32_e32 v10, v11, v10
	v_add_u32_e32 v9, v9, v10
	v_and_b32_e32 v11, 64, v8
	s_nop 0
	v_mov_b32_dpp v10, v9 row_bcast:31 row_mask:0xf bank_mask:0xf
	v_cndmask_b32_e32 v10, 0, v10, vcc
	v_add_u32_e32 v9, v9, v10
	v_add_u32_e32 v10, -1, v8
	v_cmp_lt_i32_e32 vcc, v10, v11
	v_cndmask_b32_e32 v8, v10, v8, vcc
	v_lshlrev_b32_e32 v8, 2, v8
	ds_bpermute_b32 v8, v8, v9
	v_cmp_eq_u32_e32 vcc, 0, v0
	s_waitcnt lgkmcnt(0)
	v_add_u32_e32 v6, v8, v6
	v_cndmask_b32_e32 v0, v6, v4, vcc
	v_add_u32_e32 v4, v0, v7
	ds_write2_b32 v5, v0, v4 offset1:1
.LBB8_2:
	s_or_b64 exec, exec, s[0:1]
	s_waitcnt lgkmcnt(0)
	s_barrier
	ds_read_b32 v0, v1
	s_waitcnt lgkmcnt(0)
	global_store_dword v[2:3], v0, off
	s_endpgm
	.section	.rodata,"a",@progbits
	.p2align	6, 0x0
	.amdhsa_kernel _Z21inclusive_scan_kernelILj128ELN6hipcub18BlockScanAlgorithmE1EiEvPT1_
		.amdhsa_group_segment_fixed_size 528
		.amdhsa_private_segment_fixed_size 0
		.amdhsa_kernarg_size 8
		.amdhsa_user_sgpr_count 6
		.amdhsa_user_sgpr_private_segment_buffer 1
		.amdhsa_user_sgpr_dispatch_ptr 0
		.amdhsa_user_sgpr_queue_ptr 0
		.amdhsa_user_sgpr_kernarg_segment_ptr 1
		.amdhsa_user_sgpr_dispatch_id 0
		.amdhsa_user_sgpr_flat_scratch_init 0
		.amdhsa_user_sgpr_kernarg_preload_length 0
		.amdhsa_user_sgpr_kernarg_preload_offset 0
		.amdhsa_user_sgpr_private_segment_size 0
		.amdhsa_uses_dynamic_stack 0
		.amdhsa_system_sgpr_private_segment_wavefront_offset 0
		.amdhsa_system_sgpr_workgroup_id_x 1
		.amdhsa_system_sgpr_workgroup_id_y 0
		.amdhsa_system_sgpr_workgroup_id_z 0
		.amdhsa_system_sgpr_workgroup_info 0
		.amdhsa_system_vgpr_workitem_id 0
		.amdhsa_next_free_vgpr 12
		.amdhsa_next_free_sgpr 7
		.amdhsa_accum_offset 12
		.amdhsa_reserve_vcc 1
		.amdhsa_reserve_flat_scratch 0
		.amdhsa_float_round_mode_32 0
		.amdhsa_float_round_mode_16_64 0
		.amdhsa_float_denorm_mode_32 3
		.amdhsa_float_denorm_mode_16_64 3
		.amdhsa_dx10_clamp 1
		.amdhsa_ieee_mode 1
		.amdhsa_fp16_overflow 0
		.amdhsa_tg_split 0
		.amdhsa_exception_fp_ieee_invalid_op 0
		.amdhsa_exception_fp_denorm_src 0
		.amdhsa_exception_fp_ieee_div_zero 0
		.amdhsa_exception_fp_ieee_overflow 0
		.amdhsa_exception_fp_ieee_underflow 0
		.amdhsa_exception_fp_ieee_inexact 0
		.amdhsa_exception_int_div_zero 0
	.end_amdhsa_kernel
	.section	.text._Z21inclusive_scan_kernelILj128ELN6hipcub18BlockScanAlgorithmE1EiEvPT1_,"axG",@progbits,_Z21inclusive_scan_kernelILj128ELN6hipcub18BlockScanAlgorithmE1EiEvPT1_,comdat
.Lfunc_end8:
	.size	_Z21inclusive_scan_kernelILj128ELN6hipcub18BlockScanAlgorithmE1EiEvPT1_, .Lfunc_end8-_Z21inclusive_scan_kernelILj128ELN6hipcub18BlockScanAlgorithmE1EiEvPT1_
                                        ; -- End function
	.section	.AMDGPU.csdata,"",@progbits
; Kernel info:
; codeLenInByte = 384
; NumSgprs: 11
; NumVgprs: 12
; NumAgprs: 0
; TotalNumVgprs: 12
; ScratchSize: 0
; MemoryBound: 0
; FloatMode: 240
; IeeeMode: 1
; LDSByteSize: 528 bytes/workgroup (compile time only)
; SGPRBlocks: 1
; VGPRBlocks: 1
; NumSGPRsForWavesPerEU: 11
; NumVGPRsForWavesPerEU: 12
; AccumOffset: 12
; Occupancy: 8
; WaveLimiterHint : 0
; COMPUTE_PGM_RSRC2:SCRATCH_EN: 0
; COMPUTE_PGM_RSRC2:USER_SGPR: 6
; COMPUTE_PGM_RSRC2:TRAP_HANDLER: 0
; COMPUTE_PGM_RSRC2:TGID_X_EN: 1
; COMPUTE_PGM_RSRC2:TGID_Y_EN: 0
; COMPUTE_PGM_RSRC2:TGID_Z_EN: 0
; COMPUTE_PGM_RSRC2:TIDIG_COMP_CNT: 0
; COMPUTE_PGM_RSRC3_GFX90A:ACCUM_OFFSET: 2
; COMPUTE_PGM_RSRC3_GFX90A:TG_SPLIT: 0
	.section	.text._Z21inclusive_scan_kernelILj64ELN6hipcub18BlockScanAlgorithmE1EiEvPT1_,"axG",@progbits,_Z21inclusive_scan_kernelILj64ELN6hipcub18BlockScanAlgorithmE1EiEvPT1_,comdat
	.protected	_Z21inclusive_scan_kernelILj64ELN6hipcub18BlockScanAlgorithmE1EiEvPT1_ ; -- Begin function _Z21inclusive_scan_kernelILj64ELN6hipcub18BlockScanAlgorithmE1EiEvPT1_
	.globl	_Z21inclusive_scan_kernelILj64ELN6hipcub18BlockScanAlgorithmE1EiEvPT1_
	.p2align	8
	.type	_Z21inclusive_scan_kernelILj64ELN6hipcub18BlockScanAlgorithmE1EiEvPT1_,@function
_Z21inclusive_scan_kernelILj64ELN6hipcub18BlockScanAlgorithmE1EiEvPT1_: ; @_Z21inclusive_scan_kernelILj64ELN6hipcub18BlockScanAlgorithmE1EiEvPT1_
; %bb.0:
	s_load_dwordx2 s[0:1], s[4:5], 0x0
	v_lshl_or_b32 v2, s6, 6, v0
	v_mov_b32_e32 v3, 0
	v_lshlrev_b64 v[4:5], 2, v[2:3]
	v_mbcnt_lo_u32_b32 v2, -1, 0
	s_waitcnt lgkmcnt(0)
	v_mov_b32_e32 v1, s1
	v_add_co_u32_e32 v4, vcc, s0, v4
	v_addc_co_u32_e32 v5, vcc, v1, v5, vcc
	global_load_dword v1, v[4:5], off
	v_mbcnt_hi_u32_b32 v2, -1, v2
	v_and_b32_e32 v6, 15, v2
	v_cmp_ne_u32_e32 vcc, 0, v6
	v_bfe_i32 v7, v2, 4, 1
	s_waitcnt vmcnt(0)
	v_mov_b32_dpp v8, v1 row_shr:1 row_mask:0xf bank_mask:0xf
	v_cndmask_b32_e32 v8, 0, v8, vcc
	v_add_u32_e32 v1, v8, v1
	v_cmp_lt_u32_e32 vcc, 1, v6
	s_nop 0
	v_mov_b32_dpp v8, v1 row_shr:2 row_mask:0xf bank_mask:0xf
	v_cndmask_b32_e32 v8, 0, v8, vcc
	v_add_u32_e32 v1, v1, v8
	v_cmp_lt_u32_e32 vcc, 3, v6
	s_nop 0
	;; [unrolled: 5-line block ×4, first 2 shown]
	v_mov_b32_dpp v6, v1 row_bcast:15 row_mask:0xf bank_mask:0xf
	v_and_b32_e32 v6, v7, v6
	v_add_u32_e32 v1, v1, v6
	s_nop 1
	v_mov_b32_dpp v6, v1 row_bcast:31 row_mask:0xf bank_mask:0xf
	v_cndmask_b32_e32 v2, 0, v6, vcc
	v_add_u32_e32 v1, v1, v2
	v_cmp_eq_u32_e32 vcc, 63, v0
	s_and_saveexec_b64 s[0:1], vcc
	s_cbranch_execz .LBB9_2
; %bb.1:
	ds_write_b32 v3, v1
.LBB9_2:
	s_or_b64 exec, exec, s[0:1]
	s_waitcnt lgkmcnt(0)
	; wave barrier
	s_waitcnt lgkmcnt(0)
	global_store_dword v[4:5], v1, off
	s_endpgm
	.section	.rodata,"a",@progbits
	.p2align	6, 0x0
	.amdhsa_kernel _Z21inclusive_scan_kernelILj64ELN6hipcub18BlockScanAlgorithmE1EiEvPT1_
		.amdhsa_group_segment_fixed_size 4
		.amdhsa_private_segment_fixed_size 0
		.amdhsa_kernarg_size 8
		.amdhsa_user_sgpr_count 6
		.amdhsa_user_sgpr_private_segment_buffer 1
		.amdhsa_user_sgpr_dispatch_ptr 0
		.amdhsa_user_sgpr_queue_ptr 0
		.amdhsa_user_sgpr_kernarg_segment_ptr 1
		.amdhsa_user_sgpr_dispatch_id 0
		.amdhsa_user_sgpr_flat_scratch_init 0
		.amdhsa_user_sgpr_kernarg_preload_length 0
		.amdhsa_user_sgpr_kernarg_preload_offset 0
		.amdhsa_user_sgpr_private_segment_size 0
		.amdhsa_uses_dynamic_stack 0
		.amdhsa_system_sgpr_private_segment_wavefront_offset 0
		.amdhsa_system_sgpr_workgroup_id_x 1
		.amdhsa_system_sgpr_workgroup_id_y 0
		.amdhsa_system_sgpr_workgroup_id_z 0
		.amdhsa_system_sgpr_workgroup_info 0
		.amdhsa_system_vgpr_workitem_id 0
		.amdhsa_next_free_vgpr 9
		.amdhsa_next_free_sgpr 7
		.amdhsa_accum_offset 12
		.amdhsa_reserve_vcc 1
		.amdhsa_reserve_flat_scratch 0
		.amdhsa_float_round_mode_32 0
		.amdhsa_float_round_mode_16_64 0
		.amdhsa_float_denorm_mode_32 3
		.amdhsa_float_denorm_mode_16_64 3
		.amdhsa_dx10_clamp 1
		.amdhsa_ieee_mode 1
		.amdhsa_fp16_overflow 0
		.amdhsa_tg_split 0
		.amdhsa_exception_fp_ieee_invalid_op 0
		.amdhsa_exception_fp_denorm_src 0
		.amdhsa_exception_fp_ieee_div_zero 0
		.amdhsa_exception_fp_ieee_overflow 0
		.amdhsa_exception_fp_ieee_underflow 0
		.amdhsa_exception_fp_ieee_inexact 0
		.amdhsa_exception_int_div_zero 0
	.end_amdhsa_kernel
	.section	.text._Z21inclusive_scan_kernelILj64ELN6hipcub18BlockScanAlgorithmE1EiEvPT1_,"axG",@progbits,_Z21inclusive_scan_kernelILj64ELN6hipcub18BlockScanAlgorithmE1EiEvPT1_,comdat
.Lfunc_end9:
	.size	_Z21inclusive_scan_kernelILj64ELN6hipcub18BlockScanAlgorithmE1EiEvPT1_, .Lfunc_end9-_Z21inclusive_scan_kernelILj64ELN6hipcub18BlockScanAlgorithmE1EiEvPT1_
                                        ; -- End function
	.section	.AMDGPU.csdata,"",@progbits
; Kernel info:
; codeLenInByte = 264
; NumSgprs: 11
; NumVgprs: 9
; NumAgprs: 0
; TotalNumVgprs: 9
; ScratchSize: 0
; MemoryBound: 0
; FloatMode: 240
; IeeeMode: 1
; LDSByteSize: 4 bytes/workgroup (compile time only)
; SGPRBlocks: 1
; VGPRBlocks: 1
; NumSGPRsForWavesPerEU: 11
; NumVGPRsForWavesPerEU: 9
; AccumOffset: 12
; Occupancy: 8
; WaveLimiterHint : 0
; COMPUTE_PGM_RSRC2:SCRATCH_EN: 0
; COMPUTE_PGM_RSRC2:USER_SGPR: 6
; COMPUTE_PGM_RSRC2:TRAP_HANDLER: 0
; COMPUTE_PGM_RSRC2:TGID_X_EN: 1
; COMPUTE_PGM_RSRC2:TGID_Y_EN: 0
; COMPUTE_PGM_RSRC2:TGID_Z_EN: 0
; COMPUTE_PGM_RSRC2:TIDIG_COMP_CNT: 0
; COMPUTE_PGM_RSRC3_GFX90A:ACCUM_OFFSET: 2
; COMPUTE_PGM_RSRC3_GFX90A:TG_SPLIT: 0
	.section	.text._Z21inclusive_scan_kernelILj377ELN6hipcub18BlockScanAlgorithmE0ElEvPT1_,"axG",@progbits,_Z21inclusive_scan_kernelILj377ELN6hipcub18BlockScanAlgorithmE0ElEvPT1_,comdat
	.protected	_Z21inclusive_scan_kernelILj377ELN6hipcub18BlockScanAlgorithmE0ElEvPT1_ ; -- Begin function _Z21inclusive_scan_kernelILj377ELN6hipcub18BlockScanAlgorithmE0ElEvPT1_
	.globl	_Z21inclusive_scan_kernelILj377ELN6hipcub18BlockScanAlgorithmE0ElEvPT1_
	.p2align	8
	.type	_Z21inclusive_scan_kernelILj377ELN6hipcub18BlockScanAlgorithmE0ElEvPT1_,@function
_Z21inclusive_scan_kernelILj377ELN6hipcub18BlockScanAlgorithmE0ElEvPT1_: ; @_Z21inclusive_scan_kernelILj377ELN6hipcub18BlockScanAlgorithmE0ElEvPT1_
; %bb.0:
	s_load_dwordx2 s[0:1], s[4:5], 0x0
	s_mulk_i32 s6, 0x179
	v_add_u32_e32 v2, s6, v0
	v_mov_b32_e32 v3, 0
	v_lshlrev_b64 v[2:3], 3, v[2:3]
	s_waitcnt lgkmcnt(0)
	v_mov_b32_e32 v1, s1
	v_add_co_u32_e32 v2, vcc, s0, v2
	v_addc_co_u32_e32 v3, vcc, v1, v3, vcc
	global_load_dwordx2 v[4:5], v[2:3], off
	v_mbcnt_lo_u32_b32 v1, -1, 0
	v_mbcnt_hi_u32_b32 v7, -1, v1
	v_and_b32_e32 v1, 15, v7
	v_and_b32_e32 v9, 16, v7
	v_cmp_ne_u32_e64 s[0:1], 0, v7
	s_waitcnt vmcnt(0)
	v_mov_b32_dpp v6, v4 row_shr:1 row_mask:0xf bank_mask:0xf
	v_add_co_u32_e32 v6, vcc, v4, v6
	v_addc_co_u32_e32 v10, vcc, 0, v5, vcc
	v_mov_b32_dpp v8, v5 row_shr:1 row_mask:0xf bank_mask:0xf
	v_add_co_u32_e32 v11, vcc, 0, v6
	v_addc_co_u32_e32 v8, vcc, v8, v10, vcc
	v_cmp_eq_u32_e32 vcc, 0, v1
	v_cndmask_b32_e32 v6, v6, v4, vcc
	v_cndmask_b32_e32 v8, v8, v5, vcc
	v_cndmask_b32_e32 v10, v11, v4, vcc
	v_mov_b32_dpp v11, v6 row_shr:2 row_mask:0xf bank_mask:0xf
	v_mov_b32_dpp v12, v8 row_shr:2 row_mask:0xf bank_mask:0xf
	v_add_co_u32_e32 v11, vcc, v11, v10
	v_addc_co_u32_e32 v12, vcc, v12, v8, vcc
	v_cmp_lt_u32_e32 vcc, 1, v1
	v_cndmask_b32_e32 v6, v6, v11, vcc
	v_cndmask_b32_e32 v8, v8, v12, vcc
	v_cndmask_b32_e32 v10, v10, v11, vcc
	v_mov_b32_dpp v11, v6 row_shr:4 row_mask:0xf bank_mask:0xf
	v_mov_b32_dpp v12, v8 row_shr:4 row_mask:0xf bank_mask:0xf
	v_add_co_u32_e32 v11, vcc, v11, v10
	v_addc_co_u32_e32 v12, vcc, v12, v8, vcc
	v_cmp_lt_u32_e32 vcc, 3, v1
	;; [unrolled: 8-line block ×3, first 2 shown]
	v_cndmask_b32_e32 v13, v6, v11, vcc
	v_cndmask_b32_e32 v1, v8, v12, vcc
	;; [unrolled: 1-line block ×3, first 2 shown]
	v_mov_b32_dpp v8, v13 row_bcast:15 row_mask:0xf bank_mask:0xf
	v_mov_b32_dpp v10, v1 row_bcast:15 row_mask:0xf bank_mask:0xf
	v_add_co_u32_e32 v8, vcc, v8, v6
	v_addc_co_u32_e32 v10, vcc, v10, v1, vcc
	v_cmp_eq_u32_e32 vcc, 0, v9
	v_cndmask_b32_e32 v11, v10, v1, vcc
	v_cndmask_b32_e32 v9, v8, v13, vcc
	s_nop 0
	v_mov_b32_dpp v11, v11 row_bcast:31 row_mask:0xf bank_mask:0xf
	v_mov_b32_dpp v9, v9 row_bcast:31 row_mask:0xf bank_mask:0xf
	s_and_saveexec_b64 s[2:3], s[0:1]
; %bb.1:
	v_cndmask_b32_e32 v1, v10, v1, vcc
	v_cndmask_b32_e32 v4, v8, v6, vcc
	v_cmp_lt_u32_e32 vcc, 31, v7
	v_cndmask_b32_e32 v6, 0, v9, vcc
	v_cndmask_b32_e32 v5, 0, v11, vcc
	v_add_co_u32_e32 v4, vcc, v6, v4
	v_addc_co_u32_e32 v5, vcc, v5, v1, vcc
; %bb.2:
	s_or_b64 exec, exec, s[2:3]
	v_and_b32_e32 v6, 0x1c0, v0
	v_min_u32_e32 v6, 0x139, v6
	v_add_u32_e32 v6, 63, v6
	v_lshrrev_b32_e32 v1, 6, v0
	v_cmp_eq_u32_e32 vcc, v6, v0
	s_and_saveexec_b64 s[0:1], vcc
	s_cbranch_execz .LBB10_4
; %bb.3:
	v_lshlrev_b32_e32 v6, 3, v1
	ds_write_b64 v6, v[4:5]
.LBB10_4:
	s_or_b64 exec, exec, s[0:1]
	v_cmp_gt_u32_e32 vcc, 6, v0
	s_waitcnt lgkmcnt(0)
	s_barrier
	s_and_saveexec_b64 s[0:1], vcc
	s_cbranch_execz .LBB10_6
; %bb.5:
	v_lshlrev_b32_e32 v10, 3, v0
	ds_read_b64 v[8:9], v10
	v_and_b32_e32 v6, 7, v7
	s_waitcnt lgkmcnt(0)
	v_mov_b32_dpp v7, v8 row_shr:1 row_mask:0xf bank_mask:0xf
	v_add_co_u32_e32 v7, vcc, v8, v7
	v_addc_co_u32_e32 v12, vcc, 0, v9, vcc
	v_mov_b32_dpp v11, v9 row_shr:1 row_mask:0xf bank_mask:0xf
	v_add_co_u32_e32 v13, vcc, 0, v7
	v_addc_co_u32_e32 v11, vcc, v11, v12, vcc
	v_cmp_eq_u32_e32 vcc, 0, v6
	v_cndmask_b32_e32 v7, v7, v8, vcc
	v_cndmask_b32_e32 v9, v11, v9, vcc
	v_cndmask_b32_e32 v11, v13, v8, vcc
	v_mov_b32_dpp v8, v7 row_shr:2 row_mask:0xf bank_mask:0xf
	v_add_co_u32_e32 v8, vcc, v11, v8
	v_addc_co_u32_e32 v13, vcc, 0, v9, vcc
	v_mov_b32_dpp v12, v9 row_shr:2 row_mask:0xf bank_mask:0xf
	v_add_co_u32_e32 v14, vcc, 0, v8
	v_addc_co_u32_e32 v12, vcc, v13, v12, vcc
	v_cmp_lt_u32_e32 vcc, 1, v6
	v_cndmask_b32_e32 v7, v7, v8, vcc
	v_cndmask_b32_e32 v9, v9, v12, vcc
	;; [unrolled: 1-line block ×3, first 2 shown]
	v_mov_b32_dpp v7, v7 row_shr:4 row_mask:0xf bank_mask:0xf
	v_cmp_lt_u32_e32 vcc, 3, v6
	v_mov_b32_dpp v8, v9 row_shr:4 row_mask:0xf bank_mask:0xf
	v_cndmask_b32_e32 v6, 0, v7, vcc
	v_cndmask_b32_e32 v7, 0, v8, vcc
	v_add_co_u32_e32 v6, vcc, v6, v11
	v_addc_co_u32_e32 v7, vcc, v7, v9, vcc
	ds_write_b64 v10, v[6:7]
.LBB10_6:
	s_or_b64 exec, exec, s[0:1]
	v_cmp_lt_u32_e32 vcc, 63, v0
	s_waitcnt lgkmcnt(0)
	s_barrier
	s_and_saveexec_b64 s[0:1], vcc
	s_cbranch_execz .LBB10_8
; %bb.7:
	v_lshl_add_u32 v0, v1, 3, -8
	ds_read_b64 v[0:1], v0
	s_waitcnt lgkmcnt(0)
	v_add_co_u32_e32 v4, vcc, v0, v4
	v_addc_co_u32_e32 v5, vcc, v1, v5, vcc
.LBB10_8:
	s_or_b64 exec, exec, s[0:1]
	global_store_dwordx2 v[2:3], v[4:5], off
	s_endpgm
	.section	.rodata,"a",@progbits
	.p2align	6, 0x0
	.amdhsa_kernel _Z21inclusive_scan_kernelILj377ELN6hipcub18BlockScanAlgorithmE0ElEvPT1_
		.amdhsa_group_segment_fixed_size 48
		.amdhsa_private_segment_fixed_size 0
		.amdhsa_kernarg_size 8
		.amdhsa_user_sgpr_count 6
		.amdhsa_user_sgpr_private_segment_buffer 1
		.amdhsa_user_sgpr_dispatch_ptr 0
		.amdhsa_user_sgpr_queue_ptr 0
		.amdhsa_user_sgpr_kernarg_segment_ptr 1
		.amdhsa_user_sgpr_dispatch_id 0
		.amdhsa_user_sgpr_flat_scratch_init 0
		.amdhsa_user_sgpr_kernarg_preload_length 0
		.amdhsa_user_sgpr_kernarg_preload_offset 0
		.amdhsa_user_sgpr_private_segment_size 0
		.amdhsa_uses_dynamic_stack 0
		.amdhsa_system_sgpr_private_segment_wavefront_offset 0
		.amdhsa_system_sgpr_workgroup_id_x 1
		.amdhsa_system_sgpr_workgroup_id_y 0
		.amdhsa_system_sgpr_workgroup_id_z 0
		.amdhsa_system_sgpr_workgroup_info 0
		.amdhsa_system_vgpr_workitem_id 0
		.amdhsa_next_free_vgpr 15
		.amdhsa_next_free_sgpr 7
		.amdhsa_accum_offset 16
		.amdhsa_reserve_vcc 1
		.amdhsa_reserve_flat_scratch 0
		.amdhsa_float_round_mode_32 0
		.amdhsa_float_round_mode_16_64 0
		.amdhsa_float_denorm_mode_32 3
		.amdhsa_float_denorm_mode_16_64 3
		.amdhsa_dx10_clamp 1
		.amdhsa_ieee_mode 1
		.amdhsa_fp16_overflow 0
		.amdhsa_tg_split 0
		.amdhsa_exception_fp_ieee_invalid_op 0
		.amdhsa_exception_fp_denorm_src 0
		.amdhsa_exception_fp_ieee_div_zero 0
		.amdhsa_exception_fp_ieee_overflow 0
		.amdhsa_exception_fp_ieee_underflow 0
		.amdhsa_exception_fp_ieee_inexact 0
		.amdhsa_exception_int_div_zero 0
	.end_amdhsa_kernel
	.section	.text._Z21inclusive_scan_kernelILj377ELN6hipcub18BlockScanAlgorithmE0ElEvPT1_,"axG",@progbits,_Z21inclusive_scan_kernelILj377ELN6hipcub18BlockScanAlgorithmE0ElEvPT1_,comdat
.Lfunc_end10:
	.size	_Z21inclusive_scan_kernelILj377ELN6hipcub18BlockScanAlgorithmE0ElEvPT1_, .Lfunc_end10-_Z21inclusive_scan_kernelILj377ELN6hipcub18BlockScanAlgorithmE0ElEvPT1_
                                        ; -- End function
	.section	.AMDGPU.csdata,"",@progbits
; Kernel info:
; codeLenInByte = 648
; NumSgprs: 11
; NumVgprs: 15
; NumAgprs: 0
; TotalNumVgprs: 15
; ScratchSize: 0
; MemoryBound: 0
; FloatMode: 240
; IeeeMode: 1
; LDSByteSize: 48 bytes/workgroup (compile time only)
; SGPRBlocks: 1
; VGPRBlocks: 1
; NumSGPRsForWavesPerEU: 11
; NumVGPRsForWavesPerEU: 15
; AccumOffset: 16
; Occupancy: 8
; WaveLimiterHint : 0
; COMPUTE_PGM_RSRC2:SCRATCH_EN: 0
; COMPUTE_PGM_RSRC2:USER_SGPR: 6
; COMPUTE_PGM_RSRC2:TRAP_HANDLER: 0
; COMPUTE_PGM_RSRC2:TGID_X_EN: 1
; COMPUTE_PGM_RSRC2:TGID_Y_EN: 0
; COMPUTE_PGM_RSRC2:TGID_Z_EN: 0
; COMPUTE_PGM_RSRC2:TIDIG_COMP_CNT: 0
; COMPUTE_PGM_RSRC3_GFX90A:ACCUM_OFFSET: 3
; COMPUTE_PGM_RSRC3_GFX90A:TG_SPLIT: 0
	.section	.text._Z21inclusive_scan_kernelILj256ELN6hipcub18BlockScanAlgorithmE0ElEvPT1_,"axG",@progbits,_Z21inclusive_scan_kernelILj256ELN6hipcub18BlockScanAlgorithmE0ElEvPT1_,comdat
	.protected	_Z21inclusive_scan_kernelILj256ELN6hipcub18BlockScanAlgorithmE0ElEvPT1_ ; -- Begin function _Z21inclusive_scan_kernelILj256ELN6hipcub18BlockScanAlgorithmE0ElEvPT1_
	.globl	_Z21inclusive_scan_kernelILj256ELN6hipcub18BlockScanAlgorithmE0ElEvPT1_
	.p2align	8
	.type	_Z21inclusive_scan_kernelILj256ELN6hipcub18BlockScanAlgorithmE0ElEvPT1_,@function
_Z21inclusive_scan_kernelILj256ELN6hipcub18BlockScanAlgorithmE0ElEvPT1_: ; @_Z21inclusive_scan_kernelILj256ELN6hipcub18BlockScanAlgorithmE0ElEvPT1_
; %bb.0:
	s_load_dwordx2 s[0:1], s[4:5], 0x0
	v_lshl_or_b32 v2, s6, 8, v0
	v_mov_b32_e32 v3, 0
	v_lshlrev_b64 v[2:3], 3, v[2:3]
	s_waitcnt lgkmcnt(0)
	v_mov_b32_e32 v1, s1
	v_add_co_u32_e32 v2, vcc, s0, v2
	v_addc_co_u32_e32 v3, vcc, v1, v3, vcc
	global_load_dwordx2 v[4:5], v[2:3], off
	v_mbcnt_lo_u32_b32 v1, -1, 0
	v_mbcnt_hi_u32_b32 v7, -1, v1
	v_and_b32_e32 v1, 15, v7
	v_and_b32_e32 v9, 16, v7
	v_cmp_ne_u32_e64 s[0:1], 0, v7
	s_waitcnt vmcnt(0)
	v_mov_b32_dpp v6, v4 row_shr:1 row_mask:0xf bank_mask:0xf
	v_add_co_u32_e32 v6, vcc, v4, v6
	v_addc_co_u32_e32 v10, vcc, 0, v5, vcc
	v_mov_b32_dpp v8, v5 row_shr:1 row_mask:0xf bank_mask:0xf
	v_add_co_u32_e32 v11, vcc, 0, v6
	v_addc_co_u32_e32 v8, vcc, v8, v10, vcc
	v_cmp_eq_u32_e32 vcc, 0, v1
	v_cndmask_b32_e32 v6, v6, v4, vcc
	v_cndmask_b32_e32 v8, v8, v5, vcc
	v_cndmask_b32_e32 v10, v11, v4, vcc
	v_mov_b32_dpp v11, v6 row_shr:2 row_mask:0xf bank_mask:0xf
	v_mov_b32_dpp v12, v8 row_shr:2 row_mask:0xf bank_mask:0xf
	v_add_co_u32_e32 v11, vcc, v11, v10
	v_addc_co_u32_e32 v12, vcc, v12, v8, vcc
	v_cmp_lt_u32_e32 vcc, 1, v1
	v_cndmask_b32_e32 v6, v6, v11, vcc
	v_cndmask_b32_e32 v8, v8, v12, vcc
	v_cndmask_b32_e32 v10, v10, v11, vcc
	v_mov_b32_dpp v11, v6 row_shr:4 row_mask:0xf bank_mask:0xf
	v_mov_b32_dpp v12, v8 row_shr:4 row_mask:0xf bank_mask:0xf
	v_add_co_u32_e32 v11, vcc, v11, v10
	v_addc_co_u32_e32 v12, vcc, v12, v8, vcc
	v_cmp_lt_u32_e32 vcc, 3, v1
	;; [unrolled: 8-line block ×3, first 2 shown]
	v_cndmask_b32_e32 v13, v6, v11, vcc
	v_cndmask_b32_e32 v1, v8, v12, vcc
	v_cndmask_b32_e32 v6, v10, v11, vcc
	v_mov_b32_dpp v8, v13 row_bcast:15 row_mask:0xf bank_mask:0xf
	v_mov_b32_dpp v10, v1 row_bcast:15 row_mask:0xf bank_mask:0xf
	v_add_co_u32_e32 v8, vcc, v8, v6
	v_addc_co_u32_e32 v10, vcc, v10, v1, vcc
	v_cmp_eq_u32_e32 vcc, 0, v9
	v_cndmask_b32_e32 v11, v10, v1, vcc
	v_cndmask_b32_e32 v9, v8, v13, vcc
	s_nop 0
	v_mov_b32_dpp v11, v11 row_bcast:31 row_mask:0xf bank_mask:0xf
	v_mov_b32_dpp v9, v9 row_bcast:31 row_mask:0xf bank_mask:0xf
	s_and_saveexec_b64 s[2:3], s[0:1]
; %bb.1:
	v_cndmask_b32_e32 v1, v10, v1, vcc
	v_cndmask_b32_e32 v4, v8, v6, vcc
	v_cmp_lt_u32_e32 vcc, 31, v7
	v_cndmask_b32_e32 v6, 0, v9, vcc
	v_cndmask_b32_e32 v5, 0, v11, vcc
	v_add_co_u32_e32 v4, vcc, v6, v4
	v_addc_co_u32_e32 v5, vcc, v5, v1, vcc
; %bb.2:
	s_or_b64 exec, exec, s[2:3]
	v_or_b32_e32 v6, 63, v0
	v_lshrrev_b32_e32 v1, 6, v0
	v_cmp_eq_u32_e32 vcc, v6, v0
	s_and_saveexec_b64 s[0:1], vcc
	s_cbranch_execz .LBB11_4
; %bb.3:
	v_lshlrev_b32_e32 v6, 3, v1
	ds_write_b64 v6, v[4:5]
.LBB11_4:
	s_or_b64 exec, exec, s[0:1]
	v_cmp_gt_u32_e32 vcc, 4, v0
	s_waitcnt lgkmcnt(0)
	s_barrier
	s_and_saveexec_b64 s[0:1], vcc
	s_cbranch_execz .LBB11_6
; %bb.5:
	v_lshlrev_b32_e32 v10, 3, v0
	ds_read_b64 v[8:9], v10
	v_and_b32_e32 v6, 3, v7
	s_waitcnt lgkmcnt(0)
	v_mov_b32_dpp v7, v8 row_shr:1 row_mask:0xf bank_mask:0xf
	v_add_co_u32_e32 v7, vcc, v8, v7
	v_addc_co_u32_e32 v12, vcc, 0, v9, vcc
	v_mov_b32_dpp v11, v9 row_shr:1 row_mask:0xf bank_mask:0xf
	v_add_co_u32_e32 v13, vcc, 0, v7
	v_addc_co_u32_e32 v11, vcc, v11, v12, vcc
	v_cmp_eq_u32_e32 vcc, 0, v6
	v_cndmask_b32_e32 v7, v7, v8, vcc
	v_cndmask_b32_e32 v9, v11, v9, vcc
	;; [unrolled: 1-line block ×3, first 2 shown]
	v_mov_b32_dpp v7, v7 row_shr:2 row_mask:0xf bank_mask:0xf
	v_cmp_lt_u32_e32 vcc, 1, v6
	v_mov_b32_dpp v8, v9 row_shr:2 row_mask:0xf bank_mask:0xf
	v_cndmask_b32_e32 v6, 0, v7, vcc
	v_cndmask_b32_e32 v7, 0, v8, vcc
	v_add_co_u32_e32 v6, vcc, v6, v11
	v_addc_co_u32_e32 v7, vcc, v7, v9, vcc
	ds_write_b64 v10, v[6:7]
.LBB11_6:
	s_or_b64 exec, exec, s[0:1]
	v_cmp_lt_u32_e32 vcc, 63, v0
	s_waitcnt lgkmcnt(0)
	s_barrier
	s_and_saveexec_b64 s[0:1], vcc
	s_cbranch_execz .LBB11_8
; %bb.7:
	v_lshl_add_u32 v0, v1, 3, -8
	ds_read_b64 v[0:1], v0
	s_waitcnt lgkmcnt(0)
	v_add_co_u32_e32 v4, vcc, v0, v4
	v_addc_co_u32_e32 v5, vcc, v1, v5, vcc
.LBB11_8:
	s_or_b64 exec, exec, s[0:1]
	global_store_dwordx2 v[2:3], v[4:5], off
	s_endpgm
	.section	.rodata,"a",@progbits
	.p2align	6, 0x0
	.amdhsa_kernel _Z21inclusive_scan_kernelILj256ELN6hipcub18BlockScanAlgorithmE0ElEvPT1_
		.amdhsa_group_segment_fixed_size 32
		.amdhsa_private_segment_fixed_size 0
		.amdhsa_kernarg_size 8
		.amdhsa_user_sgpr_count 6
		.amdhsa_user_sgpr_private_segment_buffer 1
		.amdhsa_user_sgpr_dispatch_ptr 0
		.amdhsa_user_sgpr_queue_ptr 0
		.amdhsa_user_sgpr_kernarg_segment_ptr 1
		.amdhsa_user_sgpr_dispatch_id 0
		.amdhsa_user_sgpr_flat_scratch_init 0
		.amdhsa_user_sgpr_kernarg_preload_length 0
		.amdhsa_user_sgpr_kernarg_preload_offset 0
		.amdhsa_user_sgpr_private_segment_size 0
		.amdhsa_uses_dynamic_stack 0
		.amdhsa_system_sgpr_private_segment_wavefront_offset 0
		.amdhsa_system_sgpr_workgroup_id_x 1
		.amdhsa_system_sgpr_workgroup_id_y 0
		.amdhsa_system_sgpr_workgroup_id_z 0
		.amdhsa_system_sgpr_workgroup_info 0
		.amdhsa_system_vgpr_workitem_id 0
		.amdhsa_next_free_vgpr 14
		.amdhsa_next_free_sgpr 7
		.amdhsa_accum_offset 16
		.amdhsa_reserve_vcc 1
		.amdhsa_reserve_flat_scratch 0
		.amdhsa_float_round_mode_32 0
		.amdhsa_float_round_mode_16_64 0
		.amdhsa_float_denorm_mode_32 3
		.amdhsa_float_denorm_mode_16_64 3
		.amdhsa_dx10_clamp 1
		.amdhsa_ieee_mode 1
		.amdhsa_fp16_overflow 0
		.amdhsa_tg_split 0
		.amdhsa_exception_fp_ieee_invalid_op 0
		.amdhsa_exception_fp_denorm_src 0
		.amdhsa_exception_fp_ieee_div_zero 0
		.amdhsa_exception_fp_ieee_overflow 0
		.amdhsa_exception_fp_ieee_underflow 0
		.amdhsa_exception_fp_ieee_inexact 0
		.amdhsa_exception_int_div_zero 0
	.end_amdhsa_kernel
	.section	.text._Z21inclusive_scan_kernelILj256ELN6hipcub18BlockScanAlgorithmE0ElEvPT1_,"axG",@progbits,_Z21inclusive_scan_kernelILj256ELN6hipcub18BlockScanAlgorithmE0ElEvPT1_,comdat
.Lfunc_end11:
	.size	_Z21inclusive_scan_kernelILj256ELN6hipcub18BlockScanAlgorithmE0ElEvPT1_, .Lfunc_end11-_Z21inclusive_scan_kernelILj256ELN6hipcub18BlockScanAlgorithmE0ElEvPT1_
                                        ; -- End function
	.section	.AMDGPU.csdata,"",@progbits
; Kernel info:
; codeLenInByte = 584
; NumSgprs: 11
; NumVgprs: 14
; NumAgprs: 0
; TotalNumVgprs: 14
; ScratchSize: 0
; MemoryBound: 0
; FloatMode: 240
; IeeeMode: 1
; LDSByteSize: 32 bytes/workgroup (compile time only)
; SGPRBlocks: 1
; VGPRBlocks: 1
; NumSGPRsForWavesPerEU: 11
; NumVGPRsForWavesPerEU: 14
; AccumOffset: 16
; Occupancy: 8
; WaveLimiterHint : 0
; COMPUTE_PGM_RSRC2:SCRATCH_EN: 0
; COMPUTE_PGM_RSRC2:USER_SGPR: 6
; COMPUTE_PGM_RSRC2:TRAP_HANDLER: 0
; COMPUTE_PGM_RSRC2:TGID_X_EN: 1
; COMPUTE_PGM_RSRC2:TGID_Y_EN: 0
; COMPUTE_PGM_RSRC2:TGID_Z_EN: 0
; COMPUTE_PGM_RSRC2:TIDIG_COMP_CNT: 0
; COMPUTE_PGM_RSRC3_GFX90A:ACCUM_OFFSET: 3
; COMPUTE_PGM_RSRC3_GFX90A:TG_SPLIT: 0
	.section	.text._Z21inclusive_scan_kernelILj64ELN6hipcub18BlockScanAlgorithmE0ElEvPT1_,"axG",@progbits,_Z21inclusive_scan_kernelILj64ELN6hipcub18BlockScanAlgorithmE0ElEvPT1_,comdat
	.protected	_Z21inclusive_scan_kernelILj64ELN6hipcub18BlockScanAlgorithmE0ElEvPT1_ ; -- Begin function _Z21inclusive_scan_kernelILj64ELN6hipcub18BlockScanAlgorithmE0ElEvPT1_
	.globl	_Z21inclusive_scan_kernelILj64ELN6hipcub18BlockScanAlgorithmE0ElEvPT1_
	.p2align	8
	.type	_Z21inclusive_scan_kernelILj64ELN6hipcub18BlockScanAlgorithmE0ElEvPT1_,@function
_Z21inclusive_scan_kernelILj64ELN6hipcub18BlockScanAlgorithmE0ElEvPT1_: ; @_Z21inclusive_scan_kernelILj64ELN6hipcub18BlockScanAlgorithmE0ElEvPT1_
; %bb.0:
	s_load_dwordx2 s[0:1], s[4:5], 0x0
	v_lshl_or_b32 v2, s6, 6, v0
	v_mov_b32_e32 v3, 0
	v_lshlrev_b64 v[2:3], 3, v[2:3]
	s_waitcnt lgkmcnt(0)
	v_mov_b32_e32 v1, s1
	v_add_co_u32_e32 v2, vcc, s0, v2
	v_addc_co_u32_e32 v3, vcc, v1, v3, vcc
	global_load_dwordx2 v[4:5], v[2:3], off
	v_mbcnt_lo_u32_b32 v1, -1, 0
	v_mbcnt_hi_u32_b32 v7, -1, v1
	v_and_b32_e32 v1, 15, v7
	v_and_b32_e32 v9, 16, v7
	v_cmp_ne_u32_e64 s[0:1], 0, v7
	s_waitcnt vmcnt(0)
	v_mov_b32_dpp v6, v4 row_shr:1 row_mask:0xf bank_mask:0xf
	v_add_co_u32_e32 v6, vcc, v4, v6
	v_addc_co_u32_e32 v10, vcc, 0, v5, vcc
	v_mov_b32_dpp v8, v5 row_shr:1 row_mask:0xf bank_mask:0xf
	v_add_co_u32_e32 v11, vcc, 0, v6
	v_addc_co_u32_e32 v8, vcc, v8, v10, vcc
	v_cmp_eq_u32_e32 vcc, 0, v1
	v_cndmask_b32_e32 v6, v6, v4, vcc
	v_cndmask_b32_e32 v8, v8, v5, vcc
	v_cndmask_b32_e32 v10, v11, v4, vcc
	v_mov_b32_dpp v11, v6 row_shr:2 row_mask:0xf bank_mask:0xf
	v_mov_b32_dpp v12, v8 row_shr:2 row_mask:0xf bank_mask:0xf
	v_add_co_u32_e32 v11, vcc, v11, v10
	v_addc_co_u32_e32 v12, vcc, v12, v8, vcc
	v_cmp_lt_u32_e32 vcc, 1, v1
	v_cndmask_b32_e32 v6, v6, v11, vcc
	v_cndmask_b32_e32 v8, v8, v12, vcc
	v_cndmask_b32_e32 v10, v10, v11, vcc
	v_mov_b32_dpp v11, v6 row_shr:4 row_mask:0xf bank_mask:0xf
	v_mov_b32_dpp v12, v8 row_shr:4 row_mask:0xf bank_mask:0xf
	v_add_co_u32_e32 v11, vcc, v11, v10
	v_addc_co_u32_e32 v12, vcc, v12, v8, vcc
	v_cmp_lt_u32_e32 vcc, 3, v1
	;; [unrolled: 8-line block ×3, first 2 shown]
	v_cndmask_b32_e32 v13, v6, v11, vcc
	v_cndmask_b32_e32 v1, v8, v12, vcc
	;; [unrolled: 1-line block ×3, first 2 shown]
	v_mov_b32_dpp v8, v13 row_bcast:15 row_mask:0xf bank_mask:0xf
	v_mov_b32_dpp v10, v1 row_bcast:15 row_mask:0xf bank_mask:0xf
	v_add_co_u32_e32 v8, vcc, v8, v6
	v_addc_co_u32_e32 v10, vcc, v10, v1, vcc
	v_cmp_eq_u32_e32 vcc, 0, v9
	v_cndmask_b32_e32 v11, v10, v1, vcc
	v_cndmask_b32_e32 v9, v8, v13, vcc
	s_nop 0
	v_mov_b32_dpp v11, v11 row_bcast:31 row_mask:0xf bank_mask:0xf
	v_mov_b32_dpp v9, v9 row_bcast:31 row_mask:0xf bank_mask:0xf
	s_and_saveexec_b64 s[2:3], s[0:1]
; %bb.1:
	v_cndmask_b32_e32 v1, v10, v1, vcc
	v_cndmask_b32_e32 v4, v8, v6, vcc
	v_cmp_lt_u32_e32 vcc, 31, v7
	v_cndmask_b32_e32 v6, 0, v9, vcc
	v_cndmask_b32_e32 v5, 0, v11, vcc
	v_add_co_u32_e32 v4, vcc, v6, v4
	v_addc_co_u32_e32 v5, vcc, v5, v1, vcc
; %bb.2:
	s_or_b64 exec, exec, s[2:3]
	v_cmp_eq_u32_e32 vcc, 63, v0
	s_and_saveexec_b64 s[0:1], vcc
	s_cbranch_execz .LBB12_4
; %bb.3:
	v_mov_b32_e32 v0, 0
	ds_write_b64 v0, v[4:5]
.LBB12_4:
	s_or_b64 exec, exec, s[0:1]
	s_waitcnt lgkmcnt(0)
	; wave barrier
	s_waitcnt lgkmcnt(0)
	global_store_dwordx2 v[2:3], v[4:5], off
	s_endpgm
	.section	.rodata,"a",@progbits
	.p2align	6, 0x0
	.amdhsa_kernel _Z21inclusive_scan_kernelILj64ELN6hipcub18BlockScanAlgorithmE0ElEvPT1_
		.amdhsa_group_segment_fixed_size 8
		.amdhsa_private_segment_fixed_size 0
		.amdhsa_kernarg_size 8
		.amdhsa_user_sgpr_count 6
		.amdhsa_user_sgpr_private_segment_buffer 1
		.amdhsa_user_sgpr_dispatch_ptr 0
		.amdhsa_user_sgpr_queue_ptr 0
		.amdhsa_user_sgpr_kernarg_segment_ptr 1
		.amdhsa_user_sgpr_dispatch_id 0
		.amdhsa_user_sgpr_flat_scratch_init 0
		.amdhsa_user_sgpr_kernarg_preload_length 0
		.amdhsa_user_sgpr_kernarg_preload_offset 0
		.amdhsa_user_sgpr_private_segment_size 0
		.amdhsa_uses_dynamic_stack 0
		.amdhsa_system_sgpr_private_segment_wavefront_offset 0
		.amdhsa_system_sgpr_workgroup_id_x 1
		.amdhsa_system_sgpr_workgroup_id_y 0
		.amdhsa_system_sgpr_workgroup_id_z 0
		.amdhsa_system_sgpr_workgroup_info 0
		.amdhsa_system_vgpr_workitem_id 0
		.amdhsa_next_free_vgpr 14
		.amdhsa_next_free_sgpr 7
		.amdhsa_accum_offset 16
		.amdhsa_reserve_vcc 1
		.amdhsa_reserve_flat_scratch 0
		.amdhsa_float_round_mode_32 0
		.amdhsa_float_round_mode_16_64 0
		.amdhsa_float_denorm_mode_32 3
		.amdhsa_float_denorm_mode_16_64 3
		.amdhsa_dx10_clamp 1
		.amdhsa_ieee_mode 1
		.amdhsa_fp16_overflow 0
		.amdhsa_tg_split 0
		.amdhsa_exception_fp_ieee_invalid_op 0
		.amdhsa_exception_fp_denorm_src 0
		.amdhsa_exception_fp_ieee_div_zero 0
		.amdhsa_exception_fp_ieee_overflow 0
		.amdhsa_exception_fp_ieee_underflow 0
		.amdhsa_exception_fp_ieee_inexact 0
		.amdhsa_exception_int_div_zero 0
	.end_amdhsa_kernel
	.section	.text._Z21inclusive_scan_kernelILj64ELN6hipcub18BlockScanAlgorithmE0ElEvPT1_,"axG",@progbits,_Z21inclusive_scan_kernelILj64ELN6hipcub18BlockScanAlgorithmE0ElEvPT1_,comdat
.Lfunc_end12:
	.size	_Z21inclusive_scan_kernelILj64ELN6hipcub18BlockScanAlgorithmE0ElEvPT1_, .Lfunc_end12-_Z21inclusive_scan_kernelILj64ELN6hipcub18BlockScanAlgorithmE0ElEvPT1_
                                        ; -- End function
	.section	.AMDGPU.csdata,"",@progbits
; Kernel info:
; codeLenInByte = 396
; NumSgprs: 11
; NumVgprs: 14
; NumAgprs: 0
; TotalNumVgprs: 14
; ScratchSize: 0
; MemoryBound: 0
; FloatMode: 240
; IeeeMode: 1
; LDSByteSize: 8 bytes/workgroup (compile time only)
; SGPRBlocks: 1
; VGPRBlocks: 1
; NumSGPRsForWavesPerEU: 11
; NumVGPRsForWavesPerEU: 14
; AccumOffset: 16
; Occupancy: 8
; WaveLimiterHint : 0
; COMPUTE_PGM_RSRC2:SCRATCH_EN: 0
; COMPUTE_PGM_RSRC2:USER_SGPR: 6
; COMPUTE_PGM_RSRC2:TRAP_HANDLER: 0
; COMPUTE_PGM_RSRC2:TGID_X_EN: 1
; COMPUTE_PGM_RSRC2:TGID_Y_EN: 0
; COMPUTE_PGM_RSRC2:TGID_Z_EN: 0
; COMPUTE_PGM_RSRC2:TIDIG_COMP_CNT: 0
; COMPUTE_PGM_RSRC3_GFX90A:ACCUM_OFFSET: 3
; COMPUTE_PGM_RSRC3_GFX90A:TG_SPLIT: 0
	.section	.text._Z21inclusive_scan_kernelILj377ELN6hipcub18BlockScanAlgorithmE0EjEvPT1_,"axG",@progbits,_Z21inclusive_scan_kernelILj377ELN6hipcub18BlockScanAlgorithmE0EjEvPT1_,comdat
	.protected	_Z21inclusive_scan_kernelILj377ELN6hipcub18BlockScanAlgorithmE0EjEvPT1_ ; -- Begin function _Z21inclusive_scan_kernelILj377ELN6hipcub18BlockScanAlgorithmE0EjEvPT1_
	.globl	_Z21inclusive_scan_kernelILj377ELN6hipcub18BlockScanAlgorithmE0EjEvPT1_
	.p2align	8
	.type	_Z21inclusive_scan_kernelILj377ELN6hipcub18BlockScanAlgorithmE0EjEvPT1_,@function
_Z21inclusive_scan_kernelILj377ELN6hipcub18BlockScanAlgorithmE0EjEvPT1_: ; @_Z21inclusive_scan_kernelILj377ELN6hipcub18BlockScanAlgorithmE0EjEvPT1_
; %bb.0:
	s_load_dwordx2 s[0:1], s[4:5], 0x0
	s_mulk_i32 s6, 0x179
	v_add_u32_e32 v2, s6, v0
	v_mov_b32_e32 v3, 0
	v_lshlrev_b64 v[2:3], 2, v[2:3]
	s_waitcnt lgkmcnt(0)
	v_mov_b32_e32 v1, s1
	v_add_co_u32_e32 v2, vcc, s0, v2
	v_addc_co_u32_e32 v3, vcc, v1, v3, vcc
	global_load_dword v5, v[2:3], off
	v_mbcnt_lo_u32_b32 v1, -1, 0
	v_mbcnt_hi_u32_b32 v4, -1, v1
	v_and_b32_e32 v7, 15, v4
	v_cmp_ne_u32_e32 vcc, 0, v7
	v_bfe_i32 v8, v4, 4, 1
	v_and_b32_e32 v6, 0x1c0, v0
	v_min_u32_e32 v6, 0x139, v6
	v_add_u32_e32 v6, 63, v6
	v_lshrrev_b32_e32 v1, 6, v0
	s_waitcnt vmcnt(0)
	v_mov_b32_dpp v9, v5 row_shr:1 row_mask:0xf bank_mask:0xf
	v_cndmask_b32_e32 v9, 0, v9, vcc
	v_add_u32_e32 v5, v9, v5
	v_cmp_lt_u32_e32 vcc, 1, v7
	s_nop 0
	v_mov_b32_dpp v9, v5 row_shr:2 row_mask:0xf bank_mask:0xf
	v_cndmask_b32_e32 v9, 0, v9, vcc
	v_add_u32_e32 v5, v5, v9
	v_cmp_lt_u32_e32 vcc, 3, v7
	s_nop 0
	;; [unrolled: 5-line block ×4, first 2 shown]
	v_mov_b32_dpp v7, v5 row_bcast:15 row_mask:0xf bank_mask:0xf
	v_and_b32_e32 v7, v8, v7
	v_add_u32_e32 v5, v5, v7
	s_nop 1
	v_mov_b32_dpp v7, v5 row_bcast:31 row_mask:0xf bank_mask:0xf
	v_cndmask_b32_e32 v7, 0, v7, vcc
	v_add_u32_e32 v5, v5, v7
	v_cmp_eq_u32_e32 vcc, v6, v0
	s_and_saveexec_b64 s[0:1], vcc
	s_cbranch_execz .LBB13_2
; %bb.1:
	v_lshlrev_b32_e32 v6, 2, v1
	ds_write_b32 v6, v5
.LBB13_2:
	s_or_b64 exec, exec, s[0:1]
	v_cmp_gt_u32_e32 vcc, 6, v0
	s_waitcnt lgkmcnt(0)
	s_barrier
	s_and_saveexec_b64 s[0:1], vcc
	s_cbranch_execz .LBB13_4
; %bb.3:
	v_lshlrev_b32_e32 v6, 2, v0
	ds_read_b32 v7, v6
	v_and_b32_e32 v4, 7, v4
	v_cmp_ne_u32_e32 vcc, 0, v4
	s_waitcnt lgkmcnt(0)
	v_mov_b32_dpp v8, v7 row_shr:1 row_mask:0xf bank_mask:0xf
	v_cndmask_b32_e32 v8, 0, v8, vcc
	v_add_u32_e32 v7, v8, v7
	v_cmp_lt_u32_e32 vcc, 1, v4
	s_nop 0
	v_mov_b32_dpp v8, v7 row_shr:2 row_mask:0xf bank_mask:0xf
	v_cndmask_b32_e32 v8, 0, v8, vcc
	v_add_u32_e32 v7, v7, v8
	v_cmp_lt_u32_e32 vcc, 3, v4
	s_nop 0
	v_mov_b32_dpp v8, v7 row_shr:4 row_mask:0xf bank_mask:0xf
	v_cndmask_b32_e32 v4, 0, v8, vcc
	v_add_u32_e32 v4, v7, v4
	ds_write_b32 v6, v4
.LBB13_4:
	s_or_b64 exec, exec, s[0:1]
	v_cmp_lt_u32_e32 vcc, 63, v0
	s_waitcnt lgkmcnt(0)
	s_barrier
	s_and_saveexec_b64 s[0:1], vcc
	s_cbranch_execz .LBB13_6
; %bb.5:
	v_lshl_add_u32 v0, v1, 2, -4
	ds_read_b32 v0, v0
	s_waitcnt lgkmcnt(0)
	v_add_u32_e32 v5, v0, v5
.LBB13_6:
	s_or_b64 exec, exec, s[0:1]
	global_store_dword v[2:3], v5, off
	s_endpgm
	.section	.rodata,"a",@progbits
	.p2align	6, 0x0
	.amdhsa_kernel _Z21inclusive_scan_kernelILj377ELN6hipcub18BlockScanAlgorithmE0EjEvPT1_
		.amdhsa_group_segment_fixed_size 24
		.amdhsa_private_segment_fixed_size 0
		.amdhsa_kernarg_size 8
		.amdhsa_user_sgpr_count 6
		.amdhsa_user_sgpr_private_segment_buffer 1
		.amdhsa_user_sgpr_dispatch_ptr 0
		.amdhsa_user_sgpr_queue_ptr 0
		.amdhsa_user_sgpr_kernarg_segment_ptr 1
		.amdhsa_user_sgpr_dispatch_id 0
		.amdhsa_user_sgpr_flat_scratch_init 0
		.amdhsa_user_sgpr_kernarg_preload_length 0
		.amdhsa_user_sgpr_kernarg_preload_offset 0
		.amdhsa_user_sgpr_private_segment_size 0
		.amdhsa_uses_dynamic_stack 0
		.amdhsa_system_sgpr_private_segment_wavefront_offset 0
		.amdhsa_system_sgpr_workgroup_id_x 1
		.amdhsa_system_sgpr_workgroup_id_y 0
		.amdhsa_system_sgpr_workgroup_id_z 0
		.amdhsa_system_sgpr_workgroup_info 0
		.amdhsa_system_vgpr_workitem_id 0
		.amdhsa_next_free_vgpr 10
		.amdhsa_next_free_sgpr 7
		.amdhsa_accum_offset 12
		.amdhsa_reserve_vcc 1
		.amdhsa_reserve_flat_scratch 0
		.amdhsa_float_round_mode_32 0
		.amdhsa_float_round_mode_16_64 0
		.amdhsa_float_denorm_mode_32 3
		.amdhsa_float_denorm_mode_16_64 3
		.amdhsa_dx10_clamp 1
		.amdhsa_ieee_mode 1
		.amdhsa_fp16_overflow 0
		.amdhsa_tg_split 0
		.amdhsa_exception_fp_ieee_invalid_op 0
		.amdhsa_exception_fp_denorm_src 0
		.amdhsa_exception_fp_ieee_div_zero 0
		.amdhsa_exception_fp_ieee_overflow 0
		.amdhsa_exception_fp_ieee_underflow 0
		.amdhsa_exception_fp_ieee_inexact 0
		.amdhsa_exception_int_div_zero 0
	.end_amdhsa_kernel
	.section	.text._Z21inclusive_scan_kernelILj377ELN6hipcub18BlockScanAlgorithmE0EjEvPT1_,"axG",@progbits,_Z21inclusive_scan_kernelILj377ELN6hipcub18BlockScanAlgorithmE0EjEvPT1_,comdat
.Lfunc_end13:
	.size	_Z21inclusive_scan_kernelILj377ELN6hipcub18BlockScanAlgorithmE0EjEvPT1_, .Lfunc_end13-_Z21inclusive_scan_kernelILj377ELN6hipcub18BlockScanAlgorithmE0EjEvPT1_
                                        ; -- End function
	.section	.AMDGPU.csdata,"",@progbits
; Kernel info:
; codeLenInByte = 452
; NumSgprs: 11
; NumVgprs: 10
; NumAgprs: 0
; TotalNumVgprs: 10
; ScratchSize: 0
; MemoryBound: 0
; FloatMode: 240
; IeeeMode: 1
; LDSByteSize: 24 bytes/workgroup (compile time only)
; SGPRBlocks: 1
; VGPRBlocks: 1
; NumSGPRsForWavesPerEU: 11
; NumVGPRsForWavesPerEU: 10
; AccumOffset: 12
; Occupancy: 8
; WaveLimiterHint : 0
; COMPUTE_PGM_RSRC2:SCRATCH_EN: 0
; COMPUTE_PGM_RSRC2:USER_SGPR: 6
; COMPUTE_PGM_RSRC2:TRAP_HANDLER: 0
; COMPUTE_PGM_RSRC2:TGID_X_EN: 1
; COMPUTE_PGM_RSRC2:TGID_Y_EN: 0
; COMPUTE_PGM_RSRC2:TGID_Z_EN: 0
; COMPUTE_PGM_RSRC2:TIDIG_COMP_CNT: 0
; COMPUTE_PGM_RSRC3_GFX90A:ACCUM_OFFSET: 2
; COMPUTE_PGM_RSRC3_GFX90A:TG_SPLIT: 0
	.section	.text._Z21inclusive_scan_kernelILj256ELN6hipcub18BlockScanAlgorithmE0EjEvPT1_,"axG",@progbits,_Z21inclusive_scan_kernelILj256ELN6hipcub18BlockScanAlgorithmE0EjEvPT1_,comdat
	.protected	_Z21inclusive_scan_kernelILj256ELN6hipcub18BlockScanAlgorithmE0EjEvPT1_ ; -- Begin function _Z21inclusive_scan_kernelILj256ELN6hipcub18BlockScanAlgorithmE0EjEvPT1_
	.globl	_Z21inclusive_scan_kernelILj256ELN6hipcub18BlockScanAlgorithmE0EjEvPT1_
	.p2align	8
	.type	_Z21inclusive_scan_kernelILj256ELN6hipcub18BlockScanAlgorithmE0EjEvPT1_,@function
_Z21inclusive_scan_kernelILj256ELN6hipcub18BlockScanAlgorithmE0EjEvPT1_: ; @_Z21inclusive_scan_kernelILj256ELN6hipcub18BlockScanAlgorithmE0EjEvPT1_
; %bb.0:
	s_load_dwordx2 s[0:1], s[4:5], 0x0
	v_lshl_or_b32 v2, s6, 8, v0
	v_mov_b32_e32 v3, 0
	v_lshlrev_b64 v[2:3], 2, v[2:3]
	v_or_b32_e32 v6, 63, v0
	s_waitcnt lgkmcnt(0)
	v_mov_b32_e32 v1, s1
	v_add_co_u32_e32 v2, vcc, s0, v2
	v_addc_co_u32_e32 v3, vcc, v1, v3, vcc
	global_load_dword v5, v[2:3], off
	v_mbcnt_lo_u32_b32 v1, -1, 0
	v_mbcnt_hi_u32_b32 v1, -1, v1
	v_and_b32_e32 v7, 15, v1
	v_cmp_ne_u32_e32 vcc, 0, v7
	v_bfe_i32 v8, v1, 4, 1
	v_lshrrev_b32_e32 v4, 6, v0
	s_waitcnt vmcnt(0)
	v_mov_b32_dpp v9, v5 row_shr:1 row_mask:0xf bank_mask:0xf
	v_cndmask_b32_e32 v9, 0, v9, vcc
	v_add_u32_e32 v5, v9, v5
	v_cmp_lt_u32_e32 vcc, 1, v7
	s_nop 0
	v_mov_b32_dpp v9, v5 row_shr:2 row_mask:0xf bank_mask:0xf
	v_cndmask_b32_e32 v9, 0, v9, vcc
	v_add_u32_e32 v5, v5, v9
	v_cmp_lt_u32_e32 vcc, 3, v7
	s_nop 0
	v_mov_b32_dpp v9, v5 row_shr:4 row_mask:0xf bank_mask:0xf
	v_cndmask_b32_e32 v9, 0, v9, vcc
	v_add_u32_e32 v5, v5, v9
	v_cmp_lt_u32_e32 vcc, 7, v7
	s_nop 0
	v_mov_b32_dpp v9, v5 row_shr:8 row_mask:0xf bank_mask:0xf
	v_cndmask_b32_e32 v7, 0, v9, vcc
	v_add_u32_e32 v5, v5, v7
	v_cmp_lt_u32_e32 vcc, 31, v1
	s_nop 0
	v_mov_b32_dpp v7, v5 row_bcast:15 row_mask:0xf bank_mask:0xf
	v_and_b32_e32 v7, v8, v7
	v_add_u32_e32 v5, v5, v7
	s_nop 1
	v_mov_b32_dpp v7, v5 row_bcast:31 row_mask:0xf bank_mask:0xf
	v_cndmask_b32_e32 v7, 0, v7, vcc
	v_add_u32_e32 v5, v5, v7
	v_cmp_eq_u32_e32 vcc, v6, v0
	s_and_saveexec_b64 s[0:1], vcc
	s_cbranch_execz .LBB14_2
; %bb.1:
	v_lshlrev_b32_e32 v6, 2, v4
	ds_write_b32 v6, v5
.LBB14_2:
	s_or_b64 exec, exec, s[0:1]
	v_cmp_gt_u32_e32 vcc, 4, v0
	s_waitcnt lgkmcnt(0)
	s_barrier
	s_and_saveexec_b64 s[0:1], vcc
	s_cbranch_execz .LBB14_4
; %bb.3:
	v_lshlrev_b32_e32 v6, 2, v0
	ds_read_b32 v7, v6
	v_and_b32_e32 v1, 3, v1
	v_cmp_ne_u32_e32 vcc, 0, v1
	s_waitcnt lgkmcnt(0)
	v_mov_b32_dpp v8, v7 row_shr:1 row_mask:0xf bank_mask:0xf
	v_cndmask_b32_e32 v8, 0, v8, vcc
	v_add_u32_e32 v7, v8, v7
	v_cmp_lt_u32_e32 vcc, 1, v1
	s_nop 0
	v_mov_b32_dpp v8, v7 row_shr:2 row_mask:0xf bank_mask:0xf
	v_cndmask_b32_e32 v1, 0, v8, vcc
	v_add_u32_e32 v1, v7, v1
	ds_write_b32 v6, v1
.LBB14_4:
	s_or_b64 exec, exec, s[0:1]
	v_cmp_lt_u32_e32 vcc, 63, v0
	s_waitcnt lgkmcnt(0)
	s_barrier
	s_and_saveexec_b64 s[0:1], vcc
	s_cbranch_execz .LBB14_6
; %bb.5:
	v_lshl_add_u32 v0, v4, 2, -4
	ds_read_b32 v0, v0
	s_waitcnt lgkmcnt(0)
	v_add_u32_e32 v5, v0, v5
.LBB14_6:
	s_or_b64 exec, exec, s[0:1]
	global_store_dword v[2:3], v5, off
	s_endpgm
	.section	.rodata,"a",@progbits
	.p2align	6, 0x0
	.amdhsa_kernel _Z21inclusive_scan_kernelILj256ELN6hipcub18BlockScanAlgorithmE0EjEvPT1_
		.amdhsa_group_segment_fixed_size 16
		.amdhsa_private_segment_fixed_size 0
		.amdhsa_kernarg_size 8
		.amdhsa_user_sgpr_count 6
		.amdhsa_user_sgpr_private_segment_buffer 1
		.amdhsa_user_sgpr_dispatch_ptr 0
		.amdhsa_user_sgpr_queue_ptr 0
		.amdhsa_user_sgpr_kernarg_segment_ptr 1
		.amdhsa_user_sgpr_dispatch_id 0
		.amdhsa_user_sgpr_flat_scratch_init 0
		.amdhsa_user_sgpr_kernarg_preload_length 0
		.amdhsa_user_sgpr_kernarg_preload_offset 0
		.amdhsa_user_sgpr_private_segment_size 0
		.amdhsa_uses_dynamic_stack 0
		.amdhsa_system_sgpr_private_segment_wavefront_offset 0
		.amdhsa_system_sgpr_workgroup_id_x 1
		.amdhsa_system_sgpr_workgroup_id_y 0
		.amdhsa_system_sgpr_workgroup_id_z 0
		.amdhsa_system_sgpr_workgroup_info 0
		.amdhsa_system_vgpr_workitem_id 0
		.amdhsa_next_free_vgpr 10
		.amdhsa_next_free_sgpr 7
		.amdhsa_accum_offset 12
		.amdhsa_reserve_vcc 1
		.amdhsa_reserve_flat_scratch 0
		.amdhsa_float_round_mode_32 0
		.amdhsa_float_round_mode_16_64 0
		.amdhsa_float_denorm_mode_32 3
		.amdhsa_float_denorm_mode_16_64 3
		.amdhsa_dx10_clamp 1
		.amdhsa_ieee_mode 1
		.amdhsa_fp16_overflow 0
		.amdhsa_tg_split 0
		.amdhsa_exception_fp_ieee_invalid_op 0
		.amdhsa_exception_fp_denorm_src 0
		.amdhsa_exception_fp_ieee_div_zero 0
		.amdhsa_exception_fp_ieee_overflow 0
		.amdhsa_exception_fp_ieee_underflow 0
		.amdhsa_exception_fp_ieee_inexact 0
		.amdhsa_exception_int_div_zero 0
	.end_amdhsa_kernel
	.section	.text._Z21inclusive_scan_kernelILj256ELN6hipcub18BlockScanAlgorithmE0EjEvPT1_,"axG",@progbits,_Z21inclusive_scan_kernelILj256ELN6hipcub18BlockScanAlgorithmE0EjEvPT1_,comdat
.Lfunc_end14:
	.size	_Z21inclusive_scan_kernelILj256ELN6hipcub18BlockScanAlgorithmE0EjEvPT1_, .Lfunc_end14-_Z21inclusive_scan_kernelILj256ELN6hipcub18BlockScanAlgorithmE0EjEvPT1_
                                        ; -- End function
	.section	.AMDGPU.csdata,"",@progbits
; Kernel info:
; codeLenInByte = 412
; NumSgprs: 11
; NumVgprs: 10
; NumAgprs: 0
; TotalNumVgprs: 10
; ScratchSize: 0
; MemoryBound: 0
; FloatMode: 240
; IeeeMode: 1
; LDSByteSize: 16 bytes/workgroup (compile time only)
; SGPRBlocks: 1
; VGPRBlocks: 1
; NumSGPRsForWavesPerEU: 11
; NumVGPRsForWavesPerEU: 10
; AccumOffset: 12
; Occupancy: 8
; WaveLimiterHint : 0
; COMPUTE_PGM_RSRC2:SCRATCH_EN: 0
; COMPUTE_PGM_RSRC2:USER_SGPR: 6
; COMPUTE_PGM_RSRC2:TRAP_HANDLER: 0
; COMPUTE_PGM_RSRC2:TGID_X_EN: 1
; COMPUTE_PGM_RSRC2:TGID_Y_EN: 0
; COMPUTE_PGM_RSRC2:TGID_Z_EN: 0
; COMPUTE_PGM_RSRC2:TIDIG_COMP_CNT: 0
; COMPUTE_PGM_RSRC3_GFX90A:ACCUM_OFFSET: 2
; COMPUTE_PGM_RSRC3_GFX90A:TG_SPLIT: 0
	.section	.text._Z21inclusive_scan_kernelILj64ELN6hipcub18BlockScanAlgorithmE0EjEvPT1_,"axG",@progbits,_Z21inclusive_scan_kernelILj64ELN6hipcub18BlockScanAlgorithmE0EjEvPT1_,comdat
	.protected	_Z21inclusive_scan_kernelILj64ELN6hipcub18BlockScanAlgorithmE0EjEvPT1_ ; -- Begin function _Z21inclusive_scan_kernelILj64ELN6hipcub18BlockScanAlgorithmE0EjEvPT1_
	.globl	_Z21inclusive_scan_kernelILj64ELN6hipcub18BlockScanAlgorithmE0EjEvPT1_
	.p2align	8
	.type	_Z21inclusive_scan_kernelILj64ELN6hipcub18BlockScanAlgorithmE0EjEvPT1_,@function
_Z21inclusive_scan_kernelILj64ELN6hipcub18BlockScanAlgorithmE0EjEvPT1_: ; @_Z21inclusive_scan_kernelILj64ELN6hipcub18BlockScanAlgorithmE0EjEvPT1_
; %bb.0:
	s_load_dwordx2 s[0:1], s[4:5], 0x0
	v_lshl_or_b32 v2, s6, 6, v0
	v_mov_b32_e32 v3, 0
	v_lshlrev_b64 v[4:5], 2, v[2:3]
	v_mbcnt_lo_u32_b32 v2, -1, 0
	s_waitcnt lgkmcnt(0)
	v_mov_b32_e32 v1, s1
	v_add_co_u32_e32 v4, vcc, s0, v4
	v_addc_co_u32_e32 v5, vcc, v1, v5, vcc
	global_load_dword v1, v[4:5], off
	v_mbcnt_hi_u32_b32 v2, -1, v2
	v_and_b32_e32 v6, 15, v2
	v_cmp_ne_u32_e32 vcc, 0, v6
	v_bfe_i32 v7, v2, 4, 1
	s_waitcnt vmcnt(0)
	v_mov_b32_dpp v8, v1 row_shr:1 row_mask:0xf bank_mask:0xf
	v_cndmask_b32_e32 v8, 0, v8, vcc
	v_add_u32_e32 v1, v8, v1
	v_cmp_lt_u32_e32 vcc, 1, v6
	s_nop 0
	v_mov_b32_dpp v8, v1 row_shr:2 row_mask:0xf bank_mask:0xf
	v_cndmask_b32_e32 v8, 0, v8, vcc
	v_add_u32_e32 v1, v1, v8
	v_cmp_lt_u32_e32 vcc, 3, v6
	s_nop 0
	;; [unrolled: 5-line block ×4, first 2 shown]
	v_mov_b32_dpp v6, v1 row_bcast:15 row_mask:0xf bank_mask:0xf
	v_and_b32_e32 v6, v7, v6
	v_add_u32_e32 v1, v1, v6
	s_nop 1
	v_mov_b32_dpp v6, v1 row_bcast:31 row_mask:0xf bank_mask:0xf
	v_cndmask_b32_e32 v2, 0, v6, vcc
	v_add_u32_e32 v1, v1, v2
	v_cmp_eq_u32_e32 vcc, 63, v0
	s_and_saveexec_b64 s[0:1], vcc
	s_cbranch_execz .LBB15_2
; %bb.1:
	ds_write_b32 v3, v1
.LBB15_2:
	s_or_b64 exec, exec, s[0:1]
	s_waitcnt lgkmcnt(0)
	; wave barrier
	s_waitcnt lgkmcnt(0)
	global_store_dword v[4:5], v1, off
	s_endpgm
	.section	.rodata,"a",@progbits
	.p2align	6, 0x0
	.amdhsa_kernel _Z21inclusive_scan_kernelILj64ELN6hipcub18BlockScanAlgorithmE0EjEvPT1_
		.amdhsa_group_segment_fixed_size 4
		.amdhsa_private_segment_fixed_size 0
		.amdhsa_kernarg_size 8
		.amdhsa_user_sgpr_count 6
		.amdhsa_user_sgpr_private_segment_buffer 1
		.amdhsa_user_sgpr_dispatch_ptr 0
		.amdhsa_user_sgpr_queue_ptr 0
		.amdhsa_user_sgpr_kernarg_segment_ptr 1
		.amdhsa_user_sgpr_dispatch_id 0
		.amdhsa_user_sgpr_flat_scratch_init 0
		.amdhsa_user_sgpr_kernarg_preload_length 0
		.amdhsa_user_sgpr_kernarg_preload_offset 0
		.amdhsa_user_sgpr_private_segment_size 0
		.amdhsa_uses_dynamic_stack 0
		.amdhsa_system_sgpr_private_segment_wavefront_offset 0
		.amdhsa_system_sgpr_workgroup_id_x 1
		.amdhsa_system_sgpr_workgroup_id_y 0
		.amdhsa_system_sgpr_workgroup_id_z 0
		.amdhsa_system_sgpr_workgroup_info 0
		.amdhsa_system_vgpr_workitem_id 0
		.amdhsa_next_free_vgpr 9
		.amdhsa_next_free_sgpr 7
		.amdhsa_accum_offset 12
		.amdhsa_reserve_vcc 1
		.amdhsa_reserve_flat_scratch 0
		.amdhsa_float_round_mode_32 0
		.amdhsa_float_round_mode_16_64 0
		.amdhsa_float_denorm_mode_32 3
		.amdhsa_float_denorm_mode_16_64 3
		.amdhsa_dx10_clamp 1
		.amdhsa_ieee_mode 1
		.amdhsa_fp16_overflow 0
		.amdhsa_tg_split 0
		.amdhsa_exception_fp_ieee_invalid_op 0
		.amdhsa_exception_fp_denorm_src 0
		.amdhsa_exception_fp_ieee_div_zero 0
		.amdhsa_exception_fp_ieee_overflow 0
		.amdhsa_exception_fp_ieee_underflow 0
		.amdhsa_exception_fp_ieee_inexact 0
		.amdhsa_exception_int_div_zero 0
	.end_amdhsa_kernel
	.section	.text._Z21inclusive_scan_kernelILj64ELN6hipcub18BlockScanAlgorithmE0EjEvPT1_,"axG",@progbits,_Z21inclusive_scan_kernelILj64ELN6hipcub18BlockScanAlgorithmE0EjEvPT1_,comdat
.Lfunc_end15:
	.size	_Z21inclusive_scan_kernelILj64ELN6hipcub18BlockScanAlgorithmE0EjEvPT1_, .Lfunc_end15-_Z21inclusive_scan_kernelILj64ELN6hipcub18BlockScanAlgorithmE0EjEvPT1_
                                        ; -- End function
	.section	.AMDGPU.csdata,"",@progbits
; Kernel info:
; codeLenInByte = 264
; NumSgprs: 11
; NumVgprs: 9
; NumAgprs: 0
; TotalNumVgprs: 9
; ScratchSize: 0
; MemoryBound: 0
; FloatMode: 240
; IeeeMode: 1
; LDSByteSize: 4 bytes/workgroup (compile time only)
; SGPRBlocks: 1
; VGPRBlocks: 1
; NumSGPRsForWavesPerEU: 11
; NumVGPRsForWavesPerEU: 9
; AccumOffset: 12
; Occupancy: 8
; WaveLimiterHint : 0
; COMPUTE_PGM_RSRC2:SCRATCH_EN: 0
; COMPUTE_PGM_RSRC2:USER_SGPR: 6
; COMPUTE_PGM_RSRC2:TRAP_HANDLER: 0
; COMPUTE_PGM_RSRC2:TGID_X_EN: 1
; COMPUTE_PGM_RSRC2:TGID_Y_EN: 0
; COMPUTE_PGM_RSRC2:TGID_Z_EN: 0
; COMPUTE_PGM_RSRC2:TIDIG_COMP_CNT: 0
; COMPUTE_PGM_RSRC3_GFX90A:ACCUM_OFFSET: 2
; COMPUTE_PGM_RSRC3_GFX90A:TG_SPLIT: 0
	.section	.text._Z21inclusive_scan_kernelILj255ELN6hipcub18BlockScanAlgorithmE0EiEvPT1_,"axG",@progbits,_Z21inclusive_scan_kernelILj255ELN6hipcub18BlockScanAlgorithmE0EiEvPT1_,comdat
	.protected	_Z21inclusive_scan_kernelILj255ELN6hipcub18BlockScanAlgorithmE0EiEvPT1_ ; -- Begin function _Z21inclusive_scan_kernelILj255ELN6hipcub18BlockScanAlgorithmE0EiEvPT1_
	.globl	_Z21inclusive_scan_kernelILj255ELN6hipcub18BlockScanAlgorithmE0EiEvPT1_
	.p2align	8
	.type	_Z21inclusive_scan_kernelILj255ELN6hipcub18BlockScanAlgorithmE0EiEvPT1_,@function
_Z21inclusive_scan_kernelILj255ELN6hipcub18BlockScanAlgorithmE0EiEvPT1_: ; @_Z21inclusive_scan_kernelILj255ELN6hipcub18BlockScanAlgorithmE0EiEvPT1_
; %bb.0:
	s_load_dwordx2 s[0:1], s[4:5], 0x0
	s_mulk_i32 s6, 0xff
	v_add_u32_e32 v2, s6, v0
	v_mov_b32_e32 v3, 0
	v_lshlrev_b64 v[2:3], 2, v[2:3]
	s_waitcnt lgkmcnt(0)
	v_mov_b32_e32 v1, s1
	v_add_co_u32_e32 v2, vcc, s0, v2
	v_addc_co_u32_e32 v3, vcc, v1, v3, vcc
	global_load_dword v5, v[2:3], off
	v_mbcnt_lo_u32_b32 v1, -1, 0
	v_mbcnt_hi_u32_b32 v1, -1, v1
	v_and_b32_e32 v7, 15, v1
	v_cmp_ne_u32_e32 vcc, 0, v7
	v_bfe_i32 v8, v1, 4, 1
	v_and_b32_e32 v6, 0xc0, v0
	v_min_u32_e32 v6, 0xbf, v6
	v_add_u32_e32 v6, 63, v6
	v_lshrrev_b32_e32 v4, 6, v0
	s_waitcnt vmcnt(0)
	v_mov_b32_dpp v9, v5 row_shr:1 row_mask:0xf bank_mask:0xf
	v_cndmask_b32_e32 v9, 0, v9, vcc
	v_add_u32_e32 v5, v9, v5
	v_cmp_lt_u32_e32 vcc, 1, v7
	s_nop 0
	v_mov_b32_dpp v9, v5 row_shr:2 row_mask:0xf bank_mask:0xf
	v_cndmask_b32_e32 v9, 0, v9, vcc
	v_add_u32_e32 v5, v5, v9
	v_cmp_lt_u32_e32 vcc, 3, v7
	s_nop 0
	;; [unrolled: 5-line block ×4, first 2 shown]
	v_mov_b32_dpp v7, v5 row_bcast:15 row_mask:0xf bank_mask:0xf
	v_and_b32_e32 v7, v8, v7
	v_add_u32_e32 v5, v5, v7
	s_nop 1
	v_mov_b32_dpp v7, v5 row_bcast:31 row_mask:0xf bank_mask:0xf
	v_cndmask_b32_e32 v7, 0, v7, vcc
	v_add_u32_e32 v5, v5, v7
	v_cmp_eq_u32_e32 vcc, v6, v0
	s_and_saveexec_b64 s[0:1], vcc
	s_cbranch_execz .LBB16_2
; %bb.1:
	v_lshlrev_b32_e32 v6, 2, v4
	ds_write_b32 v6, v5
.LBB16_2:
	s_or_b64 exec, exec, s[0:1]
	v_cmp_gt_u32_e32 vcc, 4, v0
	s_waitcnt lgkmcnt(0)
	s_barrier
	s_and_saveexec_b64 s[0:1], vcc
	s_cbranch_execz .LBB16_4
; %bb.3:
	v_lshlrev_b32_e32 v6, 2, v0
	ds_read_b32 v7, v6
	v_and_b32_e32 v1, 3, v1
	v_cmp_ne_u32_e32 vcc, 0, v1
	s_waitcnt lgkmcnt(0)
	v_mov_b32_dpp v8, v7 row_shr:1 row_mask:0xf bank_mask:0xf
	v_cndmask_b32_e32 v8, 0, v8, vcc
	v_add_u32_e32 v7, v8, v7
	v_cmp_lt_u32_e32 vcc, 1, v1
	s_nop 0
	v_mov_b32_dpp v8, v7 row_shr:2 row_mask:0xf bank_mask:0xf
	v_cndmask_b32_e32 v1, 0, v8, vcc
	v_add_u32_e32 v1, v7, v1
	ds_write_b32 v6, v1
.LBB16_4:
	s_or_b64 exec, exec, s[0:1]
	v_cmp_lt_u32_e32 vcc, 63, v0
	s_waitcnt lgkmcnt(0)
	s_barrier
	s_and_saveexec_b64 s[0:1], vcc
	s_cbranch_execz .LBB16_6
; %bb.5:
	v_lshl_add_u32 v0, v4, 2, -4
	ds_read_b32 v0, v0
	s_waitcnt lgkmcnt(0)
	v_add_u32_e32 v5, v0, v5
.LBB16_6:
	s_or_b64 exec, exec, s[0:1]
	global_store_dword v[2:3], v5, off
	s_endpgm
	.section	.rodata,"a",@progbits
	.p2align	6, 0x0
	.amdhsa_kernel _Z21inclusive_scan_kernelILj255ELN6hipcub18BlockScanAlgorithmE0EiEvPT1_
		.amdhsa_group_segment_fixed_size 16
		.amdhsa_private_segment_fixed_size 0
		.amdhsa_kernarg_size 8
		.amdhsa_user_sgpr_count 6
		.amdhsa_user_sgpr_private_segment_buffer 1
		.amdhsa_user_sgpr_dispatch_ptr 0
		.amdhsa_user_sgpr_queue_ptr 0
		.amdhsa_user_sgpr_kernarg_segment_ptr 1
		.amdhsa_user_sgpr_dispatch_id 0
		.amdhsa_user_sgpr_flat_scratch_init 0
		.amdhsa_user_sgpr_kernarg_preload_length 0
		.amdhsa_user_sgpr_kernarg_preload_offset 0
		.amdhsa_user_sgpr_private_segment_size 0
		.amdhsa_uses_dynamic_stack 0
		.amdhsa_system_sgpr_private_segment_wavefront_offset 0
		.amdhsa_system_sgpr_workgroup_id_x 1
		.amdhsa_system_sgpr_workgroup_id_y 0
		.amdhsa_system_sgpr_workgroup_id_z 0
		.amdhsa_system_sgpr_workgroup_info 0
		.amdhsa_system_vgpr_workitem_id 0
		.amdhsa_next_free_vgpr 10
		.amdhsa_next_free_sgpr 7
		.amdhsa_accum_offset 12
		.amdhsa_reserve_vcc 1
		.amdhsa_reserve_flat_scratch 0
		.amdhsa_float_round_mode_32 0
		.amdhsa_float_round_mode_16_64 0
		.amdhsa_float_denorm_mode_32 3
		.amdhsa_float_denorm_mode_16_64 3
		.amdhsa_dx10_clamp 1
		.amdhsa_ieee_mode 1
		.amdhsa_fp16_overflow 0
		.amdhsa_tg_split 0
		.amdhsa_exception_fp_ieee_invalid_op 0
		.amdhsa_exception_fp_denorm_src 0
		.amdhsa_exception_fp_ieee_div_zero 0
		.amdhsa_exception_fp_ieee_overflow 0
		.amdhsa_exception_fp_ieee_underflow 0
		.amdhsa_exception_fp_ieee_inexact 0
		.amdhsa_exception_int_div_zero 0
	.end_amdhsa_kernel
	.section	.text._Z21inclusive_scan_kernelILj255ELN6hipcub18BlockScanAlgorithmE0EiEvPT1_,"axG",@progbits,_Z21inclusive_scan_kernelILj255ELN6hipcub18BlockScanAlgorithmE0EiEvPT1_,comdat
.Lfunc_end16:
	.size	_Z21inclusive_scan_kernelILj255ELN6hipcub18BlockScanAlgorithmE0EiEvPT1_, .Lfunc_end16-_Z21inclusive_scan_kernelILj255ELN6hipcub18BlockScanAlgorithmE0EiEvPT1_
                                        ; -- End function
	.section	.AMDGPU.csdata,"",@progbits
; Kernel info:
; codeLenInByte = 428
; NumSgprs: 11
; NumVgprs: 10
; NumAgprs: 0
; TotalNumVgprs: 10
; ScratchSize: 0
; MemoryBound: 0
; FloatMode: 240
; IeeeMode: 1
; LDSByteSize: 16 bytes/workgroup (compile time only)
; SGPRBlocks: 1
; VGPRBlocks: 1
; NumSGPRsForWavesPerEU: 11
; NumVGPRsForWavesPerEU: 10
; AccumOffset: 12
; Occupancy: 8
; WaveLimiterHint : 0
; COMPUTE_PGM_RSRC2:SCRATCH_EN: 0
; COMPUTE_PGM_RSRC2:USER_SGPR: 6
; COMPUTE_PGM_RSRC2:TRAP_HANDLER: 0
; COMPUTE_PGM_RSRC2:TGID_X_EN: 1
; COMPUTE_PGM_RSRC2:TGID_Y_EN: 0
; COMPUTE_PGM_RSRC2:TGID_Z_EN: 0
; COMPUTE_PGM_RSRC2:TIDIG_COMP_CNT: 0
; COMPUTE_PGM_RSRC3_GFX90A:ACCUM_OFFSET: 2
; COMPUTE_PGM_RSRC3_GFX90A:TG_SPLIT: 0
	.section	.text._Z21inclusive_scan_kernelILj162ELN6hipcub18BlockScanAlgorithmE0EiEvPT1_,"axG",@progbits,_Z21inclusive_scan_kernelILj162ELN6hipcub18BlockScanAlgorithmE0EiEvPT1_,comdat
	.protected	_Z21inclusive_scan_kernelILj162ELN6hipcub18BlockScanAlgorithmE0EiEvPT1_ ; -- Begin function _Z21inclusive_scan_kernelILj162ELN6hipcub18BlockScanAlgorithmE0EiEvPT1_
	.globl	_Z21inclusive_scan_kernelILj162ELN6hipcub18BlockScanAlgorithmE0EiEvPT1_
	.p2align	8
	.type	_Z21inclusive_scan_kernelILj162ELN6hipcub18BlockScanAlgorithmE0EiEvPT1_,@function
_Z21inclusive_scan_kernelILj162ELN6hipcub18BlockScanAlgorithmE0EiEvPT1_: ; @_Z21inclusive_scan_kernelILj162ELN6hipcub18BlockScanAlgorithmE0EiEvPT1_
; %bb.0:
	s_load_dwordx2 s[0:1], s[4:5], 0x0
	s_mulk_i32 s6, 0xa2
	v_add_u32_e32 v2, s6, v0
	v_mov_b32_e32 v3, 0
	v_lshlrev_b64 v[2:3], 2, v[2:3]
	s_waitcnt lgkmcnt(0)
	v_mov_b32_e32 v1, s1
	v_add_co_u32_e32 v2, vcc, s0, v2
	v_addc_co_u32_e32 v3, vcc, v1, v3, vcc
	global_load_dword v5, v[2:3], off
	v_mbcnt_lo_u32_b32 v1, -1, 0
	v_mbcnt_hi_u32_b32 v1, -1, v1
	v_and_b32_e32 v7, 15, v1
	v_cmp_ne_u32_e32 vcc, 0, v7
	v_bfe_i32 v8, v1, 4, 1
	v_and_b32_e32 v6, 0xc0, v0
	v_min_u32_e32 v6, 0x62, v6
	v_add_u32_e32 v6, 63, v6
	v_lshrrev_b32_e32 v4, 6, v0
	s_waitcnt vmcnt(0)
	v_mov_b32_dpp v9, v5 row_shr:1 row_mask:0xf bank_mask:0xf
	v_cndmask_b32_e32 v9, 0, v9, vcc
	v_add_u32_e32 v5, v9, v5
	v_cmp_lt_u32_e32 vcc, 1, v7
	s_nop 0
	v_mov_b32_dpp v9, v5 row_shr:2 row_mask:0xf bank_mask:0xf
	v_cndmask_b32_e32 v9, 0, v9, vcc
	v_add_u32_e32 v5, v5, v9
	v_cmp_lt_u32_e32 vcc, 3, v7
	s_nop 0
	;; [unrolled: 5-line block ×4, first 2 shown]
	v_mov_b32_dpp v7, v5 row_bcast:15 row_mask:0xf bank_mask:0xf
	v_and_b32_e32 v7, v8, v7
	v_add_u32_e32 v5, v5, v7
	s_nop 1
	v_mov_b32_dpp v7, v5 row_bcast:31 row_mask:0xf bank_mask:0xf
	v_cndmask_b32_e32 v7, 0, v7, vcc
	v_add_u32_e32 v5, v5, v7
	v_cmp_eq_u32_e32 vcc, v6, v0
	s_and_saveexec_b64 s[0:1], vcc
	s_cbranch_execz .LBB17_2
; %bb.1:
	v_lshlrev_b32_e32 v6, 2, v4
	ds_write_b32 v6, v5
.LBB17_2:
	s_or_b64 exec, exec, s[0:1]
	v_cmp_gt_u32_e32 vcc, 3, v0
	s_waitcnt lgkmcnt(0)
	s_barrier
	s_and_saveexec_b64 s[0:1], vcc
	s_cbranch_execz .LBB17_4
; %bb.3:
	v_lshlrev_b32_e32 v6, 2, v0
	ds_read_b32 v7, v6
	v_and_b32_e32 v1, 3, v1
	v_cmp_ne_u32_e32 vcc, 0, v1
	s_waitcnt lgkmcnt(0)
	v_mov_b32_dpp v8, v7 row_shr:1 row_mask:0xf bank_mask:0xf
	v_cndmask_b32_e32 v8, 0, v8, vcc
	v_add_u32_e32 v7, v8, v7
	v_cmp_lt_u32_e32 vcc, 1, v1
	s_nop 0
	v_mov_b32_dpp v8, v7 row_shr:2 row_mask:0xf bank_mask:0xf
	v_cndmask_b32_e32 v1, 0, v8, vcc
	v_add_u32_e32 v1, v7, v1
	ds_write_b32 v6, v1
.LBB17_4:
	s_or_b64 exec, exec, s[0:1]
	v_cmp_lt_u32_e32 vcc, 63, v0
	s_waitcnt lgkmcnt(0)
	s_barrier
	s_and_saveexec_b64 s[0:1], vcc
	s_cbranch_execz .LBB17_6
; %bb.5:
	v_lshl_add_u32 v0, v4, 2, -4
	ds_read_b32 v0, v0
	s_waitcnt lgkmcnt(0)
	v_add_u32_e32 v5, v0, v5
.LBB17_6:
	s_or_b64 exec, exec, s[0:1]
	global_store_dword v[2:3], v5, off
	s_endpgm
	.section	.rodata,"a",@progbits
	.p2align	6, 0x0
	.amdhsa_kernel _Z21inclusive_scan_kernelILj162ELN6hipcub18BlockScanAlgorithmE0EiEvPT1_
		.amdhsa_group_segment_fixed_size 12
		.amdhsa_private_segment_fixed_size 0
		.amdhsa_kernarg_size 8
		.amdhsa_user_sgpr_count 6
		.amdhsa_user_sgpr_private_segment_buffer 1
		.amdhsa_user_sgpr_dispatch_ptr 0
		.amdhsa_user_sgpr_queue_ptr 0
		.amdhsa_user_sgpr_kernarg_segment_ptr 1
		.amdhsa_user_sgpr_dispatch_id 0
		.amdhsa_user_sgpr_flat_scratch_init 0
		.amdhsa_user_sgpr_kernarg_preload_length 0
		.amdhsa_user_sgpr_kernarg_preload_offset 0
		.amdhsa_user_sgpr_private_segment_size 0
		.amdhsa_uses_dynamic_stack 0
		.amdhsa_system_sgpr_private_segment_wavefront_offset 0
		.amdhsa_system_sgpr_workgroup_id_x 1
		.amdhsa_system_sgpr_workgroup_id_y 0
		.amdhsa_system_sgpr_workgroup_id_z 0
		.amdhsa_system_sgpr_workgroup_info 0
		.amdhsa_system_vgpr_workitem_id 0
		.amdhsa_next_free_vgpr 10
		.amdhsa_next_free_sgpr 7
		.amdhsa_accum_offset 12
		.amdhsa_reserve_vcc 1
		.amdhsa_reserve_flat_scratch 0
		.amdhsa_float_round_mode_32 0
		.amdhsa_float_round_mode_16_64 0
		.amdhsa_float_denorm_mode_32 3
		.amdhsa_float_denorm_mode_16_64 3
		.amdhsa_dx10_clamp 1
		.amdhsa_ieee_mode 1
		.amdhsa_fp16_overflow 0
		.amdhsa_tg_split 0
		.amdhsa_exception_fp_ieee_invalid_op 0
		.amdhsa_exception_fp_denorm_src 0
		.amdhsa_exception_fp_ieee_div_zero 0
		.amdhsa_exception_fp_ieee_overflow 0
		.amdhsa_exception_fp_ieee_underflow 0
		.amdhsa_exception_fp_ieee_inexact 0
		.amdhsa_exception_int_div_zero 0
	.end_amdhsa_kernel
	.section	.text._Z21inclusive_scan_kernelILj162ELN6hipcub18BlockScanAlgorithmE0EiEvPT1_,"axG",@progbits,_Z21inclusive_scan_kernelILj162ELN6hipcub18BlockScanAlgorithmE0EiEvPT1_,comdat
.Lfunc_end17:
	.size	_Z21inclusive_scan_kernelILj162ELN6hipcub18BlockScanAlgorithmE0EiEvPT1_, .Lfunc_end17-_Z21inclusive_scan_kernelILj162ELN6hipcub18BlockScanAlgorithmE0EiEvPT1_
                                        ; -- End function
	.section	.AMDGPU.csdata,"",@progbits
; Kernel info:
; codeLenInByte = 428
; NumSgprs: 11
; NumVgprs: 10
; NumAgprs: 0
; TotalNumVgprs: 10
; ScratchSize: 0
; MemoryBound: 0
; FloatMode: 240
; IeeeMode: 1
; LDSByteSize: 12 bytes/workgroup (compile time only)
; SGPRBlocks: 1
; VGPRBlocks: 1
; NumSGPRsForWavesPerEU: 11
; NumVGPRsForWavesPerEU: 10
; AccumOffset: 12
; Occupancy: 8
; WaveLimiterHint : 0
; COMPUTE_PGM_RSRC2:SCRATCH_EN: 0
; COMPUTE_PGM_RSRC2:USER_SGPR: 6
; COMPUTE_PGM_RSRC2:TRAP_HANDLER: 0
; COMPUTE_PGM_RSRC2:TGID_X_EN: 1
; COMPUTE_PGM_RSRC2:TGID_Y_EN: 0
; COMPUTE_PGM_RSRC2:TGID_Z_EN: 0
; COMPUTE_PGM_RSRC2:TIDIG_COMP_CNT: 0
; COMPUTE_PGM_RSRC3_GFX90A:ACCUM_OFFSET: 2
; COMPUTE_PGM_RSRC3_GFX90A:TG_SPLIT: 0
	.section	.text._Z21inclusive_scan_kernelILj37ELN6hipcub18BlockScanAlgorithmE0EiEvPT1_,"axG",@progbits,_Z21inclusive_scan_kernelILj37ELN6hipcub18BlockScanAlgorithmE0EiEvPT1_,comdat
	.protected	_Z21inclusive_scan_kernelILj37ELN6hipcub18BlockScanAlgorithmE0EiEvPT1_ ; -- Begin function _Z21inclusive_scan_kernelILj37ELN6hipcub18BlockScanAlgorithmE0EiEvPT1_
	.globl	_Z21inclusive_scan_kernelILj37ELN6hipcub18BlockScanAlgorithmE0EiEvPT1_
	.p2align	8
	.type	_Z21inclusive_scan_kernelILj37ELN6hipcub18BlockScanAlgorithmE0EiEvPT1_,@function
_Z21inclusive_scan_kernelILj37ELN6hipcub18BlockScanAlgorithmE0EiEvPT1_: ; @_Z21inclusive_scan_kernelILj37ELN6hipcub18BlockScanAlgorithmE0EiEvPT1_
; %bb.0:
	s_load_dwordx2 s[0:1], s[4:5], 0x0
	v_mad_u64_u32 v[2:3], s[2:3], s6, 37, v[0:1]
	v_mov_b32_e32 v3, 0
	v_lshlrev_b64 v[4:5], 2, v[2:3]
	s_waitcnt lgkmcnt(0)
	v_mov_b32_e32 v1, s1
	v_add_co_u32_e32 v4, vcc, s0, v4
	v_addc_co_u32_e32 v5, vcc, v1, v5, vcc
	global_load_dword v1, v[4:5], off
	v_mbcnt_lo_u32_b32 v2, -1, 0
	v_mbcnt_hi_u32_b32 v2, -1, v2
	v_and_b32_e32 v6, 15, v2
	v_cmp_ne_u32_e32 vcc, 0, v6
	v_bfe_i32 v7, v2, 4, 1
	s_waitcnt vmcnt(0)
	v_mov_b32_dpp v8, v1 row_shr:1 row_mask:0xf bank_mask:0xf
	v_cndmask_b32_e32 v8, 0, v8, vcc
	v_add_u32_e32 v1, v8, v1
	v_cmp_lt_u32_e32 vcc, 1, v6
	s_nop 0
	v_mov_b32_dpp v8, v1 row_shr:2 row_mask:0xf bank_mask:0xf
	v_cndmask_b32_e32 v8, 0, v8, vcc
	v_add_u32_e32 v1, v1, v8
	v_cmp_lt_u32_e32 vcc, 3, v6
	s_nop 0
	;; [unrolled: 5-line block ×4, first 2 shown]
	v_mov_b32_dpp v6, v1 row_bcast:15 row_mask:0xf bank_mask:0xf
	v_and_b32_e32 v6, v7, v6
	v_add_u32_e32 v1, v1, v6
	s_nop 1
	v_mov_b32_dpp v6, v1 row_bcast:31 row_mask:0xf bank_mask:0xf
	v_cndmask_b32_e32 v2, 0, v6, vcc
	v_add_u32_e32 v1, v1, v2
	v_cmp_eq_u32_e32 vcc, 36, v0
	s_and_saveexec_b64 s[0:1], vcc
	s_cbranch_execz .LBB18_2
; %bb.1:
	ds_write_b32 v3, v1
.LBB18_2:
	s_or_b64 exec, exec, s[0:1]
	s_waitcnt lgkmcnt(0)
	; wave barrier
	s_waitcnt lgkmcnt(0)
	global_store_dword v[4:5], v1, off
	s_endpgm
	.section	.rodata,"a",@progbits
	.p2align	6, 0x0
	.amdhsa_kernel _Z21inclusive_scan_kernelILj37ELN6hipcub18BlockScanAlgorithmE0EiEvPT1_
		.amdhsa_group_segment_fixed_size 4
		.amdhsa_private_segment_fixed_size 0
		.amdhsa_kernarg_size 8
		.amdhsa_user_sgpr_count 6
		.amdhsa_user_sgpr_private_segment_buffer 1
		.amdhsa_user_sgpr_dispatch_ptr 0
		.amdhsa_user_sgpr_queue_ptr 0
		.amdhsa_user_sgpr_kernarg_segment_ptr 1
		.amdhsa_user_sgpr_dispatch_id 0
		.amdhsa_user_sgpr_flat_scratch_init 0
		.amdhsa_user_sgpr_kernarg_preload_length 0
		.amdhsa_user_sgpr_kernarg_preload_offset 0
		.amdhsa_user_sgpr_private_segment_size 0
		.amdhsa_uses_dynamic_stack 0
		.amdhsa_system_sgpr_private_segment_wavefront_offset 0
		.amdhsa_system_sgpr_workgroup_id_x 1
		.amdhsa_system_sgpr_workgroup_id_y 0
		.amdhsa_system_sgpr_workgroup_id_z 0
		.amdhsa_system_sgpr_workgroup_info 0
		.amdhsa_system_vgpr_workitem_id 0
		.amdhsa_next_free_vgpr 9
		.amdhsa_next_free_sgpr 7
		.amdhsa_accum_offset 12
		.amdhsa_reserve_vcc 1
		.amdhsa_reserve_flat_scratch 0
		.amdhsa_float_round_mode_32 0
		.amdhsa_float_round_mode_16_64 0
		.amdhsa_float_denorm_mode_32 3
		.amdhsa_float_denorm_mode_16_64 3
		.amdhsa_dx10_clamp 1
		.amdhsa_ieee_mode 1
		.amdhsa_fp16_overflow 0
		.amdhsa_tg_split 0
		.amdhsa_exception_fp_ieee_invalid_op 0
		.amdhsa_exception_fp_denorm_src 0
		.amdhsa_exception_fp_ieee_div_zero 0
		.amdhsa_exception_fp_ieee_overflow 0
		.amdhsa_exception_fp_ieee_underflow 0
		.amdhsa_exception_fp_ieee_inexact 0
		.amdhsa_exception_int_div_zero 0
	.end_amdhsa_kernel
	.section	.text._Z21inclusive_scan_kernelILj37ELN6hipcub18BlockScanAlgorithmE0EiEvPT1_,"axG",@progbits,_Z21inclusive_scan_kernelILj37ELN6hipcub18BlockScanAlgorithmE0EiEvPT1_,comdat
.Lfunc_end18:
	.size	_Z21inclusive_scan_kernelILj37ELN6hipcub18BlockScanAlgorithmE0EiEvPT1_, .Lfunc_end18-_Z21inclusive_scan_kernelILj37ELN6hipcub18BlockScanAlgorithmE0EiEvPT1_
                                        ; -- End function
	.section	.AMDGPU.csdata,"",@progbits
; Kernel info:
; codeLenInByte = 264
; NumSgprs: 11
; NumVgprs: 9
; NumAgprs: 0
; TotalNumVgprs: 9
; ScratchSize: 0
; MemoryBound: 0
; FloatMode: 240
; IeeeMode: 1
; LDSByteSize: 4 bytes/workgroup (compile time only)
; SGPRBlocks: 1
; VGPRBlocks: 1
; NumSGPRsForWavesPerEU: 11
; NumVGPRsForWavesPerEU: 9
; AccumOffset: 12
; Occupancy: 8
; WaveLimiterHint : 0
; COMPUTE_PGM_RSRC2:SCRATCH_EN: 0
; COMPUTE_PGM_RSRC2:USER_SGPR: 6
; COMPUTE_PGM_RSRC2:TRAP_HANDLER: 0
; COMPUTE_PGM_RSRC2:TGID_X_EN: 1
; COMPUTE_PGM_RSRC2:TGID_Y_EN: 0
; COMPUTE_PGM_RSRC2:TGID_Z_EN: 0
; COMPUTE_PGM_RSRC2:TIDIG_COMP_CNT: 0
; COMPUTE_PGM_RSRC3_GFX90A:ACCUM_OFFSET: 2
; COMPUTE_PGM_RSRC3_GFX90A:TG_SPLIT: 0
	.section	.text._Z21inclusive_scan_kernelILj65ELN6hipcub18BlockScanAlgorithmE0EiEvPT1_,"axG",@progbits,_Z21inclusive_scan_kernelILj65ELN6hipcub18BlockScanAlgorithmE0EiEvPT1_,comdat
	.protected	_Z21inclusive_scan_kernelILj65ELN6hipcub18BlockScanAlgorithmE0EiEvPT1_ ; -- Begin function _Z21inclusive_scan_kernelILj65ELN6hipcub18BlockScanAlgorithmE0EiEvPT1_
	.globl	_Z21inclusive_scan_kernelILj65ELN6hipcub18BlockScanAlgorithmE0EiEvPT1_
	.p2align	8
	.type	_Z21inclusive_scan_kernelILj65ELN6hipcub18BlockScanAlgorithmE0EiEvPT1_,@function
_Z21inclusive_scan_kernelILj65ELN6hipcub18BlockScanAlgorithmE0EiEvPT1_: ; @_Z21inclusive_scan_kernelILj65ELN6hipcub18BlockScanAlgorithmE0EiEvPT1_
; %bb.0:
	s_load_dwordx2 s[0:1], s[4:5], 0x0
	s_mulk_i32 s6, 0x41
	v_add_u32_e32 v2, s6, v0
	v_mov_b32_e32 v3, 0
	v_lshlrev_b64 v[2:3], 2, v[2:3]
	s_waitcnt lgkmcnt(0)
	v_mov_b32_e32 v1, s1
	v_add_co_u32_e32 v2, vcc, s0, v2
	v_addc_co_u32_e32 v3, vcc, v1, v3, vcc
	global_load_dword v5, v[2:3], off
	v_mbcnt_lo_u32_b32 v1, -1, 0
	v_mbcnt_hi_u32_b32 v1, -1, v1
	v_cmp_gt_u32_e64 s[0:1], 64, v0
	v_and_b32_e32 v7, 15, v1
	v_cndmask_b32_e64 v6, 64, 63, s[0:1]
	v_cmp_ne_u32_e64 s[0:1], 0, v7
	v_bfe_i32 v8, v1, 4, 1
	v_lshrrev_b32_e32 v4, 6, v0
	v_cmp_lt_u32_e32 vcc, 63, v0
	s_waitcnt vmcnt(0)
	v_mov_b32_dpp v9, v5 row_shr:1 row_mask:0xf bank_mask:0xf
	v_cndmask_b32_e64 v9, 0, v9, s[0:1]
	v_add_u32_e32 v5, v9, v5
	v_cmp_lt_u32_e64 s[0:1], 1, v7
	s_nop 0
	v_mov_b32_dpp v9, v5 row_shr:2 row_mask:0xf bank_mask:0xf
	v_cndmask_b32_e64 v9, 0, v9, s[0:1]
	v_add_u32_e32 v5, v5, v9
	v_cmp_lt_u32_e64 s[0:1], 3, v7
	s_nop 0
	v_mov_b32_dpp v9, v5 row_shr:4 row_mask:0xf bank_mask:0xf
	v_cndmask_b32_e64 v9, 0, v9, s[0:1]
	v_add_u32_e32 v5, v5, v9
	v_cmp_lt_u32_e64 s[0:1], 7, v7
	s_nop 0
	v_mov_b32_dpp v9, v5 row_shr:8 row_mask:0xf bank_mask:0xf
	v_cndmask_b32_e64 v7, 0, v9, s[0:1]
	v_add_u32_e32 v5, v5, v7
	v_cmp_lt_u32_e64 s[0:1], 31, v1
	s_nop 0
	v_mov_b32_dpp v7, v5 row_bcast:15 row_mask:0xf bank_mask:0xf
	v_and_b32_e32 v7, v8, v7
	v_add_u32_e32 v5, v5, v7
	s_nop 1
	v_mov_b32_dpp v7, v5 row_bcast:31 row_mask:0xf bank_mask:0xf
	v_cndmask_b32_e64 v7, 0, v7, s[0:1]
	v_add_u32_e32 v5, v5, v7
	v_cmp_eq_u32_e64 s[0:1], v6, v0
	s_and_saveexec_b64 s[2:3], s[0:1]
	s_cbranch_execz .LBB19_2
; %bb.1:
	v_lshlrev_b32_e32 v6, 2, v4
	ds_write_b32 v6, v5
.LBB19_2:
	s_or_b64 exec, exec, s[2:3]
	v_cmp_gt_u32_e64 s[0:1], 2, v0
	s_waitcnt lgkmcnt(0)
	s_barrier
	s_and_saveexec_b64 s[2:3], s[0:1]
	s_cbranch_execz .LBB19_4
; %bb.3:
	v_lshlrev_b32_e32 v0, 2, v0
	ds_read_b32 v6, v0
	v_bfe_i32 v1, v1, 0, 1
	s_waitcnt lgkmcnt(0)
	v_mov_b32_dpp v7, v6 row_shr:1 row_mask:0xf bank_mask:0xf
	v_and_b32_e32 v1, v1, v7
	v_add_u32_e32 v1, v1, v6
	ds_write_b32 v0, v1
.LBB19_4:
	s_or_b64 exec, exec, s[2:3]
	s_waitcnt lgkmcnt(0)
	s_barrier
	s_and_saveexec_b64 s[0:1], vcc
	s_cbranch_execz .LBB19_6
; %bb.5:
	v_lshl_add_u32 v0, v4, 2, -4
	ds_read_b32 v0, v0
	s_waitcnt lgkmcnt(0)
	v_add_u32_e32 v5, v0, v5
.LBB19_6:
	s_or_b64 exec, exec, s[0:1]
	global_store_dword v[2:3], v5, off
	s_endpgm
	.section	.rodata,"a",@progbits
	.p2align	6, 0x0
	.amdhsa_kernel _Z21inclusive_scan_kernelILj65ELN6hipcub18BlockScanAlgorithmE0EiEvPT1_
		.amdhsa_group_segment_fixed_size 8
		.amdhsa_private_segment_fixed_size 0
		.amdhsa_kernarg_size 8
		.amdhsa_user_sgpr_count 6
		.amdhsa_user_sgpr_private_segment_buffer 1
		.amdhsa_user_sgpr_dispatch_ptr 0
		.amdhsa_user_sgpr_queue_ptr 0
		.amdhsa_user_sgpr_kernarg_segment_ptr 1
		.amdhsa_user_sgpr_dispatch_id 0
		.amdhsa_user_sgpr_flat_scratch_init 0
		.amdhsa_user_sgpr_kernarg_preload_length 0
		.amdhsa_user_sgpr_kernarg_preload_offset 0
		.amdhsa_user_sgpr_private_segment_size 0
		.amdhsa_uses_dynamic_stack 0
		.amdhsa_system_sgpr_private_segment_wavefront_offset 0
		.amdhsa_system_sgpr_workgroup_id_x 1
		.amdhsa_system_sgpr_workgroup_id_y 0
		.amdhsa_system_sgpr_workgroup_id_z 0
		.amdhsa_system_sgpr_workgroup_info 0
		.amdhsa_system_vgpr_workitem_id 0
		.amdhsa_next_free_vgpr 10
		.amdhsa_next_free_sgpr 7
		.amdhsa_accum_offset 12
		.amdhsa_reserve_vcc 1
		.amdhsa_reserve_flat_scratch 0
		.amdhsa_float_round_mode_32 0
		.amdhsa_float_round_mode_16_64 0
		.amdhsa_float_denorm_mode_32 3
		.amdhsa_float_denorm_mode_16_64 3
		.amdhsa_dx10_clamp 1
		.amdhsa_ieee_mode 1
		.amdhsa_fp16_overflow 0
		.amdhsa_tg_split 0
		.amdhsa_exception_fp_ieee_invalid_op 0
		.amdhsa_exception_fp_denorm_src 0
		.amdhsa_exception_fp_ieee_div_zero 0
		.amdhsa_exception_fp_ieee_overflow 0
		.amdhsa_exception_fp_ieee_underflow 0
		.amdhsa_exception_fp_ieee_inexact 0
		.amdhsa_exception_int_div_zero 0
	.end_amdhsa_kernel
	.section	.text._Z21inclusive_scan_kernelILj65ELN6hipcub18BlockScanAlgorithmE0EiEvPT1_,"axG",@progbits,_Z21inclusive_scan_kernelILj65ELN6hipcub18BlockScanAlgorithmE0EiEvPT1_,comdat
.Lfunc_end19:
	.size	_Z21inclusive_scan_kernelILj65ELN6hipcub18BlockScanAlgorithmE0EiEvPT1_, .Lfunc_end19-_Z21inclusive_scan_kernelILj65ELN6hipcub18BlockScanAlgorithmE0EiEvPT1_
                                        ; -- End function
	.section	.AMDGPU.csdata,"",@progbits
; Kernel info:
; codeLenInByte = 448
; NumSgprs: 11
; NumVgprs: 10
; NumAgprs: 0
; TotalNumVgprs: 10
; ScratchSize: 0
; MemoryBound: 0
; FloatMode: 240
; IeeeMode: 1
; LDSByteSize: 8 bytes/workgroup (compile time only)
; SGPRBlocks: 1
; VGPRBlocks: 1
; NumSGPRsForWavesPerEU: 11
; NumVGPRsForWavesPerEU: 10
; AccumOffset: 12
; Occupancy: 8
; WaveLimiterHint : 0
; COMPUTE_PGM_RSRC2:SCRATCH_EN: 0
; COMPUTE_PGM_RSRC2:USER_SGPR: 6
; COMPUTE_PGM_RSRC2:TRAP_HANDLER: 0
; COMPUTE_PGM_RSRC2:TGID_X_EN: 1
; COMPUTE_PGM_RSRC2:TGID_Y_EN: 0
; COMPUTE_PGM_RSRC2:TGID_Z_EN: 0
; COMPUTE_PGM_RSRC2:TIDIG_COMP_CNT: 0
; COMPUTE_PGM_RSRC3_GFX90A:ACCUM_OFFSET: 2
; COMPUTE_PGM_RSRC3_GFX90A:TG_SPLIT: 0
	.section	.text._Z21inclusive_scan_kernelILj512ELN6hipcub18BlockScanAlgorithmE0EiEvPT1_,"axG",@progbits,_Z21inclusive_scan_kernelILj512ELN6hipcub18BlockScanAlgorithmE0EiEvPT1_,comdat
	.protected	_Z21inclusive_scan_kernelILj512ELN6hipcub18BlockScanAlgorithmE0EiEvPT1_ ; -- Begin function _Z21inclusive_scan_kernelILj512ELN6hipcub18BlockScanAlgorithmE0EiEvPT1_
	.globl	_Z21inclusive_scan_kernelILj512ELN6hipcub18BlockScanAlgorithmE0EiEvPT1_
	.p2align	8
	.type	_Z21inclusive_scan_kernelILj512ELN6hipcub18BlockScanAlgorithmE0EiEvPT1_,@function
_Z21inclusive_scan_kernelILj512ELN6hipcub18BlockScanAlgorithmE0EiEvPT1_: ; @_Z21inclusive_scan_kernelILj512ELN6hipcub18BlockScanAlgorithmE0EiEvPT1_
; %bb.0:
	s_load_dwordx2 s[0:1], s[4:5], 0x0
	v_lshl_or_b32 v2, s6, 9, v0
	v_mov_b32_e32 v3, 0
	v_lshlrev_b64 v[2:3], 2, v[2:3]
	v_or_b32_e32 v6, 63, v0
	s_waitcnt lgkmcnt(0)
	v_mov_b32_e32 v1, s1
	v_add_co_u32_e32 v2, vcc, s0, v2
	v_addc_co_u32_e32 v3, vcc, v1, v3, vcc
	global_load_dword v5, v[2:3], off
	v_mbcnt_lo_u32_b32 v1, -1, 0
	v_mbcnt_hi_u32_b32 v4, -1, v1
	v_and_b32_e32 v7, 15, v4
	v_cmp_ne_u32_e32 vcc, 0, v7
	v_bfe_i32 v8, v4, 4, 1
	v_lshrrev_b32_e32 v1, 6, v0
	s_waitcnt vmcnt(0)
	v_mov_b32_dpp v9, v5 row_shr:1 row_mask:0xf bank_mask:0xf
	v_cndmask_b32_e32 v9, 0, v9, vcc
	v_add_u32_e32 v5, v9, v5
	v_cmp_lt_u32_e32 vcc, 1, v7
	s_nop 0
	v_mov_b32_dpp v9, v5 row_shr:2 row_mask:0xf bank_mask:0xf
	v_cndmask_b32_e32 v9, 0, v9, vcc
	v_add_u32_e32 v5, v5, v9
	v_cmp_lt_u32_e32 vcc, 3, v7
	s_nop 0
	;; [unrolled: 5-line block ×4, first 2 shown]
	v_mov_b32_dpp v7, v5 row_bcast:15 row_mask:0xf bank_mask:0xf
	v_and_b32_e32 v7, v8, v7
	v_add_u32_e32 v5, v5, v7
	s_nop 1
	v_mov_b32_dpp v7, v5 row_bcast:31 row_mask:0xf bank_mask:0xf
	v_cndmask_b32_e32 v7, 0, v7, vcc
	v_add_u32_e32 v5, v5, v7
	v_cmp_eq_u32_e32 vcc, v6, v0
	s_and_saveexec_b64 s[0:1], vcc
	s_cbranch_execz .LBB20_2
; %bb.1:
	v_lshlrev_b32_e32 v6, 2, v1
	ds_write_b32 v6, v5
.LBB20_2:
	s_or_b64 exec, exec, s[0:1]
	v_cmp_gt_u32_e32 vcc, 8, v0
	s_waitcnt lgkmcnt(0)
	s_barrier
	s_and_saveexec_b64 s[0:1], vcc
	s_cbranch_execz .LBB20_4
; %bb.3:
	v_lshlrev_b32_e32 v6, 2, v0
	ds_read_b32 v7, v6
	v_and_b32_e32 v4, 7, v4
	v_cmp_ne_u32_e32 vcc, 0, v4
	s_waitcnt lgkmcnt(0)
	v_mov_b32_dpp v8, v7 row_shr:1 row_mask:0xf bank_mask:0xf
	v_cndmask_b32_e32 v8, 0, v8, vcc
	v_add_u32_e32 v7, v8, v7
	v_cmp_lt_u32_e32 vcc, 1, v4
	s_nop 0
	v_mov_b32_dpp v8, v7 row_shr:2 row_mask:0xf bank_mask:0xf
	v_cndmask_b32_e32 v8, 0, v8, vcc
	v_add_u32_e32 v7, v7, v8
	v_cmp_lt_u32_e32 vcc, 3, v4
	s_nop 0
	v_mov_b32_dpp v8, v7 row_shr:4 row_mask:0xf bank_mask:0xf
	v_cndmask_b32_e32 v4, 0, v8, vcc
	v_add_u32_e32 v4, v7, v4
	ds_write_b32 v6, v4
.LBB20_4:
	s_or_b64 exec, exec, s[0:1]
	v_cmp_lt_u32_e32 vcc, 63, v0
	s_waitcnt lgkmcnt(0)
	s_barrier
	s_and_saveexec_b64 s[0:1], vcc
	s_cbranch_execz .LBB20_6
; %bb.5:
	v_lshl_add_u32 v0, v1, 2, -4
	ds_read_b32 v0, v0
	s_waitcnt lgkmcnt(0)
	v_add_u32_e32 v5, v0, v5
.LBB20_6:
	s_or_b64 exec, exec, s[0:1]
	global_store_dword v[2:3], v5, off
	s_endpgm
	.section	.rodata,"a",@progbits
	.p2align	6, 0x0
	.amdhsa_kernel _Z21inclusive_scan_kernelILj512ELN6hipcub18BlockScanAlgorithmE0EiEvPT1_
		.amdhsa_group_segment_fixed_size 32
		.amdhsa_private_segment_fixed_size 0
		.amdhsa_kernarg_size 8
		.amdhsa_user_sgpr_count 6
		.amdhsa_user_sgpr_private_segment_buffer 1
		.amdhsa_user_sgpr_dispatch_ptr 0
		.amdhsa_user_sgpr_queue_ptr 0
		.amdhsa_user_sgpr_kernarg_segment_ptr 1
		.amdhsa_user_sgpr_dispatch_id 0
		.amdhsa_user_sgpr_flat_scratch_init 0
		.amdhsa_user_sgpr_kernarg_preload_length 0
		.amdhsa_user_sgpr_kernarg_preload_offset 0
		.amdhsa_user_sgpr_private_segment_size 0
		.amdhsa_uses_dynamic_stack 0
		.amdhsa_system_sgpr_private_segment_wavefront_offset 0
		.amdhsa_system_sgpr_workgroup_id_x 1
		.amdhsa_system_sgpr_workgroup_id_y 0
		.amdhsa_system_sgpr_workgroup_id_z 0
		.amdhsa_system_sgpr_workgroup_info 0
		.amdhsa_system_vgpr_workitem_id 0
		.amdhsa_next_free_vgpr 10
		.amdhsa_next_free_sgpr 7
		.amdhsa_accum_offset 12
		.amdhsa_reserve_vcc 1
		.amdhsa_reserve_flat_scratch 0
		.amdhsa_float_round_mode_32 0
		.amdhsa_float_round_mode_16_64 0
		.amdhsa_float_denorm_mode_32 3
		.amdhsa_float_denorm_mode_16_64 3
		.amdhsa_dx10_clamp 1
		.amdhsa_ieee_mode 1
		.amdhsa_fp16_overflow 0
		.amdhsa_tg_split 0
		.amdhsa_exception_fp_ieee_invalid_op 0
		.amdhsa_exception_fp_denorm_src 0
		.amdhsa_exception_fp_ieee_div_zero 0
		.amdhsa_exception_fp_ieee_overflow 0
		.amdhsa_exception_fp_ieee_underflow 0
		.amdhsa_exception_fp_ieee_inexact 0
		.amdhsa_exception_int_div_zero 0
	.end_amdhsa_kernel
	.section	.text._Z21inclusive_scan_kernelILj512ELN6hipcub18BlockScanAlgorithmE0EiEvPT1_,"axG",@progbits,_Z21inclusive_scan_kernelILj512ELN6hipcub18BlockScanAlgorithmE0EiEvPT1_,comdat
.Lfunc_end20:
	.size	_Z21inclusive_scan_kernelILj512ELN6hipcub18BlockScanAlgorithmE0EiEvPT1_, .Lfunc_end20-_Z21inclusive_scan_kernelILj512ELN6hipcub18BlockScanAlgorithmE0EiEvPT1_
                                        ; -- End function
	.section	.AMDGPU.csdata,"",@progbits
; Kernel info:
; codeLenInByte = 436
; NumSgprs: 11
; NumVgprs: 10
; NumAgprs: 0
; TotalNumVgprs: 10
; ScratchSize: 0
; MemoryBound: 0
; FloatMode: 240
; IeeeMode: 1
; LDSByteSize: 32 bytes/workgroup (compile time only)
; SGPRBlocks: 1
; VGPRBlocks: 1
; NumSGPRsForWavesPerEU: 11
; NumVGPRsForWavesPerEU: 10
; AccumOffset: 12
; Occupancy: 8
; WaveLimiterHint : 0
; COMPUTE_PGM_RSRC2:SCRATCH_EN: 0
; COMPUTE_PGM_RSRC2:USER_SGPR: 6
; COMPUTE_PGM_RSRC2:TRAP_HANDLER: 0
; COMPUTE_PGM_RSRC2:TGID_X_EN: 1
; COMPUTE_PGM_RSRC2:TGID_Y_EN: 0
; COMPUTE_PGM_RSRC2:TGID_Z_EN: 0
; COMPUTE_PGM_RSRC2:TIDIG_COMP_CNT: 0
; COMPUTE_PGM_RSRC3_GFX90A:ACCUM_OFFSET: 2
; COMPUTE_PGM_RSRC3_GFX90A:TG_SPLIT: 0
	.section	.text._Z21inclusive_scan_kernelILj256ELN6hipcub18BlockScanAlgorithmE0EiEvPT1_,"axG",@progbits,_Z21inclusive_scan_kernelILj256ELN6hipcub18BlockScanAlgorithmE0EiEvPT1_,comdat
	.protected	_Z21inclusive_scan_kernelILj256ELN6hipcub18BlockScanAlgorithmE0EiEvPT1_ ; -- Begin function _Z21inclusive_scan_kernelILj256ELN6hipcub18BlockScanAlgorithmE0EiEvPT1_
	.globl	_Z21inclusive_scan_kernelILj256ELN6hipcub18BlockScanAlgorithmE0EiEvPT1_
	.p2align	8
	.type	_Z21inclusive_scan_kernelILj256ELN6hipcub18BlockScanAlgorithmE0EiEvPT1_,@function
_Z21inclusive_scan_kernelILj256ELN6hipcub18BlockScanAlgorithmE0EiEvPT1_: ; @_Z21inclusive_scan_kernelILj256ELN6hipcub18BlockScanAlgorithmE0EiEvPT1_
; %bb.0:
	s_load_dwordx2 s[0:1], s[4:5], 0x0
	v_lshl_or_b32 v2, s6, 8, v0
	v_mov_b32_e32 v3, 0
	v_lshlrev_b64 v[2:3], 2, v[2:3]
	v_or_b32_e32 v6, 63, v0
	s_waitcnt lgkmcnt(0)
	v_mov_b32_e32 v1, s1
	v_add_co_u32_e32 v2, vcc, s0, v2
	v_addc_co_u32_e32 v3, vcc, v1, v3, vcc
	global_load_dword v5, v[2:3], off
	v_mbcnt_lo_u32_b32 v1, -1, 0
	v_mbcnt_hi_u32_b32 v1, -1, v1
	v_and_b32_e32 v7, 15, v1
	v_cmp_ne_u32_e32 vcc, 0, v7
	v_bfe_i32 v8, v1, 4, 1
	v_lshrrev_b32_e32 v4, 6, v0
	s_waitcnt vmcnt(0)
	v_mov_b32_dpp v9, v5 row_shr:1 row_mask:0xf bank_mask:0xf
	v_cndmask_b32_e32 v9, 0, v9, vcc
	v_add_u32_e32 v5, v9, v5
	v_cmp_lt_u32_e32 vcc, 1, v7
	s_nop 0
	v_mov_b32_dpp v9, v5 row_shr:2 row_mask:0xf bank_mask:0xf
	v_cndmask_b32_e32 v9, 0, v9, vcc
	v_add_u32_e32 v5, v5, v9
	v_cmp_lt_u32_e32 vcc, 3, v7
	s_nop 0
	;; [unrolled: 5-line block ×4, first 2 shown]
	v_mov_b32_dpp v7, v5 row_bcast:15 row_mask:0xf bank_mask:0xf
	v_and_b32_e32 v7, v8, v7
	v_add_u32_e32 v5, v5, v7
	s_nop 1
	v_mov_b32_dpp v7, v5 row_bcast:31 row_mask:0xf bank_mask:0xf
	v_cndmask_b32_e32 v7, 0, v7, vcc
	v_add_u32_e32 v5, v5, v7
	v_cmp_eq_u32_e32 vcc, v6, v0
	s_and_saveexec_b64 s[0:1], vcc
	s_cbranch_execz .LBB21_2
; %bb.1:
	v_lshlrev_b32_e32 v6, 2, v4
	ds_write_b32 v6, v5
.LBB21_2:
	s_or_b64 exec, exec, s[0:1]
	v_cmp_gt_u32_e32 vcc, 4, v0
	s_waitcnt lgkmcnt(0)
	s_barrier
	s_and_saveexec_b64 s[0:1], vcc
	s_cbranch_execz .LBB21_4
; %bb.3:
	v_lshlrev_b32_e32 v6, 2, v0
	ds_read_b32 v7, v6
	v_and_b32_e32 v1, 3, v1
	v_cmp_ne_u32_e32 vcc, 0, v1
	s_waitcnt lgkmcnt(0)
	v_mov_b32_dpp v8, v7 row_shr:1 row_mask:0xf bank_mask:0xf
	v_cndmask_b32_e32 v8, 0, v8, vcc
	v_add_u32_e32 v7, v8, v7
	v_cmp_lt_u32_e32 vcc, 1, v1
	s_nop 0
	v_mov_b32_dpp v8, v7 row_shr:2 row_mask:0xf bank_mask:0xf
	v_cndmask_b32_e32 v1, 0, v8, vcc
	v_add_u32_e32 v1, v7, v1
	ds_write_b32 v6, v1
.LBB21_4:
	s_or_b64 exec, exec, s[0:1]
	v_cmp_lt_u32_e32 vcc, 63, v0
	s_waitcnt lgkmcnt(0)
	s_barrier
	s_and_saveexec_b64 s[0:1], vcc
	s_cbranch_execz .LBB21_6
; %bb.5:
	v_lshl_add_u32 v0, v4, 2, -4
	ds_read_b32 v0, v0
	s_waitcnt lgkmcnt(0)
	v_add_u32_e32 v5, v0, v5
.LBB21_6:
	s_or_b64 exec, exec, s[0:1]
	global_store_dword v[2:3], v5, off
	s_endpgm
	.section	.rodata,"a",@progbits
	.p2align	6, 0x0
	.amdhsa_kernel _Z21inclusive_scan_kernelILj256ELN6hipcub18BlockScanAlgorithmE0EiEvPT1_
		.amdhsa_group_segment_fixed_size 16
		.amdhsa_private_segment_fixed_size 0
		.amdhsa_kernarg_size 8
		.amdhsa_user_sgpr_count 6
		.amdhsa_user_sgpr_private_segment_buffer 1
		.amdhsa_user_sgpr_dispatch_ptr 0
		.amdhsa_user_sgpr_queue_ptr 0
		.amdhsa_user_sgpr_kernarg_segment_ptr 1
		.amdhsa_user_sgpr_dispatch_id 0
		.amdhsa_user_sgpr_flat_scratch_init 0
		.amdhsa_user_sgpr_kernarg_preload_length 0
		.amdhsa_user_sgpr_kernarg_preload_offset 0
		.amdhsa_user_sgpr_private_segment_size 0
		.amdhsa_uses_dynamic_stack 0
		.amdhsa_system_sgpr_private_segment_wavefront_offset 0
		.amdhsa_system_sgpr_workgroup_id_x 1
		.amdhsa_system_sgpr_workgroup_id_y 0
		.amdhsa_system_sgpr_workgroup_id_z 0
		.amdhsa_system_sgpr_workgroup_info 0
		.amdhsa_system_vgpr_workitem_id 0
		.amdhsa_next_free_vgpr 10
		.amdhsa_next_free_sgpr 7
		.amdhsa_accum_offset 12
		.amdhsa_reserve_vcc 1
		.amdhsa_reserve_flat_scratch 0
		.amdhsa_float_round_mode_32 0
		.amdhsa_float_round_mode_16_64 0
		.amdhsa_float_denorm_mode_32 3
		.amdhsa_float_denorm_mode_16_64 3
		.amdhsa_dx10_clamp 1
		.amdhsa_ieee_mode 1
		.amdhsa_fp16_overflow 0
		.amdhsa_tg_split 0
		.amdhsa_exception_fp_ieee_invalid_op 0
		.amdhsa_exception_fp_denorm_src 0
		.amdhsa_exception_fp_ieee_div_zero 0
		.amdhsa_exception_fp_ieee_overflow 0
		.amdhsa_exception_fp_ieee_underflow 0
		.amdhsa_exception_fp_ieee_inexact 0
		.amdhsa_exception_int_div_zero 0
	.end_amdhsa_kernel
	.section	.text._Z21inclusive_scan_kernelILj256ELN6hipcub18BlockScanAlgorithmE0EiEvPT1_,"axG",@progbits,_Z21inclusive_scan_kernelILj256ELN6hipcub18BlockScanAlgorithmE0EiEvPT1_,comdat
.Lfunc_end21:
	.size	_Z21inclusive_scan_kernelILj256ELN6hipcub18BlockScanAlgorithmE0EiEvPT1_, .Lfunc_end21-_Z21inclusive_scan_kernelILj256ELN6hipcub18BlockScanAlgorithmE0EiEvPT1_
                                        ; -- End function
	.section	.AMDGPU.csdata,"",@progbits
; Kernel info:
; codeLenInByte = 412
; NumSgprs: 11
; NumVgprs: 10
; NumAgprs: 0
; TotalNumVgprs: 10
; ScratchSize: 0
; MemoryBound: 0
; FloatMode: 240
; IeeeMode: 1
; LDSByteSize: 16 bytes/workgroup (compile time only)
; SGPRBlocks: 1
; VGPRBlocks: 1
; NumSGPRsForWavesPerEU: 11
; NumVGPRsForWavesPerEU: 10
; AccumOffset: 12
; Occupancy: 8
; WaveLimiterHint : 0
; COMPUTE_PGM_RSRC2:SCRATCH_EN: 0
; COMPUTE_PGM_RSRC2:USER_SGPR: 6
; COMPUTE_PGM_RSRC2:TRAP_HANDLER: 0
; COMPUTE_PGM_RSRC2:TGID_X_EN: 1
; COMPUTE_PGM_RSRC2:TGID_Y_EN: 0
; COMPUTE_PGM_RSRC2:TGID_Z_EN: 0
; COMPUTE_PGM_RSRC2:TIDIG_COMP_CNT: 0
; COMPUTE_PGM_RSRC3_GFX90A:ACCUM_OFFSET: 2
; COMPUTE_PGM_RSRC3_GFX90A:TG_SPLIT: 0
	.section	.text._Z21inclusive_scan_kernelILj128ELN6hipcub18BlockScanAlgorithmE0EiEvPT1_,"axG",@progbits,_Z21inclusive_scan_kernelILj128ELN6hipcub18BlockScanAlgorithmE0EiEvPT1_,comdat
	.protected	_Z21inclusive_scan_kernelILj128ELN6hipcub18BlockScanAlgorithmE0EiEvPT1_ ; -- Begin function _Z21inclusive_scan_kernelILj128ELN6hipcub18BlockScanAlgorithmE0EiEvPT1_
	.globl	_Z21inclusive_scan_kernelILj128ELN6hipcub18BlockScanAlgorithmE0EiEvPT1_
	.p2align	8
	.type	_Z21inclusive_scan_kernelILj128ELN6hipcub18BlockScanAlgorithmE0EiEvPT1_,@function
_Z21inclusive_scan_kernelILj128ELN6hipcub18BlockScanAlgorithmE0EiEvPT1_: ; @_Z21inclusive_scan_kernelILj128ELN6hipcub18BlockScanAlgorithmE0EiEvPT1_
; %bb.0:
	s_load_dwordx2 s[0:1], s[4:5], 0x0
	v_lshl_or_b32 v2, s6, 7, v0
	v_mov_b32_e32 v3, 0
	v_lshlrev_b64 v[2:3], 2, v[2:3]
	v_or_b32_e32 v6, 63, v0
	s_waitcnt lgkmcnt(0)
	v_mov_b32_e32 v1, s1
	v_add_co_u32_e32 v2, vcc, s0, v2
	v_addc_co_u32_e32 v3, vcc, v1, v3, vcc
	global_load_dword v5, v[2:3], off
	v_mbcnt_lo_u32_b32 v1, -1, 0
	v_mbcnt_hi_u32_b32 v1, -1, v1
	v_and_b32_e32 v7, 15, v1
	v_cmp_ne_u32_e32 vcc, 0, v7
	v_bfe_i32 v8, v1, 4, 1
	v_lshrrev_b32_e32 v4, 6, v0
	s_waitcnt vmcnt(0)
	v_mov_b32_dpp v9, v5 row_shr:1 row_mask:0xf bank_mask:0xf
	v_cndmask_b32_e32 v9, 0, v9, vcc
	v_add_u32_e32 v5, v9, v5
	v_cmp_lt_u32_e32 vcc, 1, v7
	s_nop 0
	v_mov_b32_dpp v9, v5 row_shr:2 row_mask:0xf bank_mask:0xf
	v_cndmask_b32_e32 v9, 0, v9, vcc
	v_add_u32_e32 v5, v5, v9
	v_cmp_lt_u32_e32 vcc, 3, v7
	s_nop 0
	;; [unrolled: 5-line block ×4, first 2 shown]
	v_mov_b32_dpp v7, v5 row_bcast:15 row_mask:0xf bank_mask:0xf
	v_and_b32_e32 v7, v8, v7
	v_add_u32_e32 v5, v5, v7
	s_nop 1
	v_mov_b32_dpp v7, v5 row_bcast:31 row_mask:0xf bank_mask:0xf
	v_cndmask_b32_e32 v7, 0, v7, vcc
	v_add_u32_e32 v5, v5, v7
	v_cmp_eq_u32_e32 vcc, v6, v0
	s_and_saveexec_b64 s[0:1], vcc
	s_cbranch_execz .LBB22_2
; %bb.1:
	v_lshlrev_b32_e32 v6, 2, v4
	ds_write_b32 v6, v5
.LBB22_2:
	s_or_b64 exec, exec, s[0:1]
	v_cmp_gt_u32_e32 vcc, 2, v0
	s_waitcnt lgkmcnt(0)
	s_barrier
	s_and_saveexec_b64 s[0:1], vcc
	s_cbranch_execz .LBB22_4
; %bb.3:
	v_lshlrev_b32_e32 v6, 2, v0
	ds_read_b32 v7, v6
	v_bfe_i32 v1, v1, 0, 1
	s_waitcnt lgkmcnt(0)
	v_mov_b32_dpp v8, v7 row_shr:1 row_mask:0xf bank_mask:0xf
	v_and_b32_e32 v1, v1, v8
	v_add_u32_e32 v1, v1, v7
	ds_write_b32 v6, v1
.LBB22_4:
	s_or_b64 exec, exec, s[0:1]
	v_cmp_lt_u32_e32 vcc, 63, v0
	s_waitcnt lgkmcnt(0)
	s_barrier
	s_and_saveexec_b64 s[0:1], vcc
	s_cbranch_execz .LBB22_6
; %bb.5:
	v_lshl_add_u32 v0, v4, 2, -4
	ds_read_b32 v0, v0
	s_waitcnt lgkmcnt(0)
	v_add_u32_e32 v5, v0, v5
.LBB22_6:
	s_or_b64 exec, exec, s[0:1]
	global_store_dword v[2:3], v5, off
	s_endpgm
	.section	.rodata,"a",@progbits
	.p2align	6, 0x0
	.amdhsa_kernel _Z21inclusive_scan_kernelILj128ELN6hipcub18BlockScanAlgorithmE0EiEvPT1_
		.amdhsa_group_segment_fixed_size 8
		.amdhsa_private_segment_fixed_size 0
		.amdhsa_kernarg_size 8
		.amdhsa_user_sgpr_count 6
		.amdhsa_user_sgpr_private_segment_buffer 1
		.amdhsa_user_sgpr_dispatch_ptr 0
		.amdhsa_user_sgpr_queue_ptr 0
		.amdhsa_user_sgpr_kernarg_segment_ptr 1
		.amdhsa_user_sgpr_dispatch_id 0
		.amdhsa_user_sgpr_flat_scratch_init 0
		.amdhsa_user_sgpr_kernarg_preload_length 0
		.amdhsa_user_sgpr_kernarg_preload_offset 0
		.amdhsa_user_sgpr_private_segment_size 0
		.amdhsa_uses_dynamic_stack 0
		.amdhsa_system_sgpr_private_segment_wavefront_offset 0
		.amdhsa_system_sgpr_workgroup_id_x 1
		.amdhsa_system_sgpr_workgroup_id_y 0
		.amdhsa_system_sgpr_workgroup_id_z 0
		.amdhsa_system_sgpr_workgroup_info 0
		.amdhsa_system_vgpr_workitem_id 0
		.amdhsa_next_free_vgpr 10
		.amdhsa_next_free_sgpr 7
		.amdhsa_accum_offset 12
		.amdhsa_reserve_vcc 1
		.amdhsa_reserve_flat_scratch 0
		.amdhsa_float_round_mode_32 0
		.amdhsa_float_round_mode_16_64 0
		.amdhsa_float_denorm_mode_32 3
		.amdhsa_float_denorm_mode_16_64 3
		.amdhsa_dx10_clamp 1
		.amdhsa_ieee_mode 1
		.amdhsa_fp16_overflow 0
		.amdhsa_tg_split 0
		.amdhsa_exception_fp_ieee_invalid_op 0
		.amdhsa_exception_fp_denorm_src 0
		.amdhsa_exception_fp_ieee_div_zero 0
		.amdhsa_exception_fp_ieee_overflow 0
		.amdhsa_exception_fp_ieee_underflow 0
		.amdhsa_exception_fp_ieee_inexact 0
		.amdhsa_exception_int_div_zero 0
	.end_amdhsa_kernel
	.section	.text._Z21inclusive_scan_kernelILj128ELN6hipcub18BlockScanAlgorithmE0EiEvPT1_,"axG",@progbits,_Z21inclusive_scan_kernelILj128ELN6hipcub18BlockScanAlgorithmE0EiEvPT1_,comdat
.Lfunc_end22:
	.size	_Z21inclusive_scan_kernelILj128ELN6hipcub18BlockScanAlgorithmE0EiEvPT1_, .Lfunc_end22-_Z21inclusive_scan_kernelILj128ELN6hipcub18BlockScanAlgorithmE0EiEvPT1_
                                        ; -- End function
	.section	.AMDGPU.csdata,"",@progbits
; Kernel info:
; codeLenInByte = 388
; NumSgprs: 11
; NumVgprs: 10
; NumAgprs: 0
; TotalNumVgprs: 10
; ScratchSize: 0
; MemoryBound: 0
; FloatMode: 240
; IeeeMode: 1
; LDSByteSize: 8 bytes/workgroup (compile time only)
; SGPRBlocks: 1
; VGPRBlocks: 1
; NumSGPRsForWavesPerEU: 11
; NumVGPRsForWavesPerEU: 10
; AccumOffset: 12
; Occupancy: 8
; WaveLimiterHint : 0
; COMPUTE_PGM_RSRC2:SCRATCH_EN: 0
; COMPUTE_PGM_RSRC2:USER_SGPR: 6
; COMPUTE_PGM_RSRC2:TRAP_HANDLER: 0
; COMPUTE_PGM_RSRC2:TGID_X_EN: 1
; COMPUTE_PGM_RSRC2:TGID_Y_EN: 0
; COMPUTE_PGM_RSRC2:TGID_Z_EN: 0
; COMPUTE_PGM_RSRC2:TIDIG_COMP_CNT: 0
; COMPUTE_PGM_RSRC3_GFX90A:ACCUM_OFFSET: 2
; COMPUTE_PGM_RSRC3_GFX90A:TG_SPLIT: 0
	.section	.text._Z21inclusive_scan_kernelILj64ELN6hipcub18BlockScanAlgorithmE0EiEvPT1_,"axG",@progbits,_Z21inclusive_scan_kernelILj64ELN6hipcub18BlockScanAlgorithmE0EiEvPT1_,comdat
	.protected	_Z21inclusive_scan_kernelILj64ELN6hipcub18BlockScanAlgorithmE0EiEvPT1_ ; -- Begin function _Z21inclusive_scan_kernelILj64ELN6hipcub18BlockScanAlgorithmE0EiEvPT1_
	.globl	_Z21inclusive_scan_kernelILj64ELN6hipcub18BlockScanAlgorithmE0EiEvPT1_
	.p2align	8
	.type	_Z21inclusive_scan_kernelILj64ELN6hipcub18BlockScanAlgorithmE0EiEvPT1_,@function
_Z21inclusive_scan_kernelILj64ELN6hipcub18BlockScanAlgorithmE0EiEvPT1_: ; @_Z21inclusive_scan_kernelILj64ELN6hipcub18BlockScanAlgorithmE0EiEvPT1_
; %bb.0:
	s_load_dwordx2 s[0:1], s[4:5], 0x0
	v_lshl_or_b32 v2, s6, 6, v0
	v_mov_b32_e32 v3, 0
	v_lshlrev_b64 v[4:5], 2, v[2:3]
	v_mbcnt_lo_u32_b32 v2, -1, 0
	s_waitcnt lgkmcnt(0)
	v_mov_b32_e32 v1, s1
	v_add_co_u32_e32 v4, vcc, s0, v4
	v_addc_co_u32_e32 v5, vcc, v1, v5, vcc
	global_load_dword v1, v[4:5], off
	v_mbcnt_hi_u32_b32 v2, -1, v2
	v_and_b32_e32 v6, 15, v2
	v_cmp_ne_u32_e32 vcc, 0, v6
	v_bfe_i32 v7, v2, 4, 1
	s_waitcnt vmcnt(0)
	v_mov_b32_dpp v8, v1 row_shr:1 row_mask:0xf bank_mask:0xf
	v_cndmask_b32_e32 v8, 0, v8, vcc
	v_add_u32_e32 v1, v8, v1
	v_cmp_lt_u32_e32 vcc, 1, v6
	s_nop 0
	v_mov_b32_dpp v8, v1 row_shr:2 row_mask:0xf bank_mask:0xf
	v_cndmask_b32_e32 v8, 0, v8, vcc
	v_add_u32_e32 v1, v1, v8
	v_cmp_lt_u32_e32 vcc, 3, v6
	s_nop 0
	;; [unrolled: 5-line block ×4, first 2 shown]
	v_mov_b32_dpp v6, v1 row_bcast:15 row_mask:0xf bank_mask:0xf
	v_and_b32_e32 v6, v7, v6
	v_add_u32_e32 v1, v1, v6
	s_nop 1
	v_mov_b32_dpp v6, v1 row_bcast:31 row_mask:0xf bank_mask:0xf
	v_cndmask_b32_e32 v2, 0, v6, vcc
	v_add_u32_e32 v1, v1, v2
	v_cmp_eq_u32_e32 vcc, 63, v0
	s_and_saveexec_b64 s[0:1], vcc
	s_cbranch_execz .LBB23_2
; %bb.1:
	ds_write_b32 v3, v1
.LBB23_2:
	s_or_b64 exec, exec, s[0:1]
	s_waitcnt lgkmcnt(0)
	; wave barrier
	s_waitcnt lgkmcnt(0)
	global_store_dword v[4:5], v1, off
	s_endpgm
	.section	.rodata,"a",@progbits
	.p2align	6, 0x0
	.amdhsa_kernel _Z21inclusive_scan_kernelILj64ELN6hipcub18BlockScanAlgorithmE0EiEvPT1_
		.amdhsa_group_segment_fixed_size 4
		.amdhsa_private_segment_fixed_size 0
		.amdhsa_kernarg_size 8
		.amdhsa_user_sgpr_count 6
		.amdhsa_user_sgpr_private_segment_buffer 1
		.amdhsa_user_sgpr_dispatch_ptr 0
		.amdhsa_user_sgpr_queue_ptr 0
		.amdhsa_user_sgpr_kernarg_segment_ptr 1
		.amdhsa_user_sgpr_dispatch_id 0
		.amdhsa_user_sgpr_flat_scratch_init 0
		.amdhsa_user_sgpr_kernarg_preload_length 0
		.amdhsa_user_sgpr_kernarg_preload_offset 0
		.amdhsa_user_sgpr_private_segment_size 0
		.amdhsa_uses_dynamic_stack 0
		.amdhsa_system_sgpr_private_segment_wavefront_offset 0
		.amdhsa_system_sgpr_workgroup_id_x 1
		.amdhsa_system_sgpr_workgroup_id_y 0
		.amdhsa_system_sgpr_workgroup_id_z 0
		.amdhsa_system_sgpr_workgroup_info 0
		.amdhsa_system_vgpr_workitem_id 0
		.amdhsa_next_free_vgpr 9
		.amdhsa_next_free_sgpr 7
		.amdhsa_accum_offset 12
		.amdhsa_reserve_vcc 1
		.amdhsa_reserve_flat_scratch 0
		.amdhsa_float_round_mode_32 0
		.amdhsa_float_round_mode_16_64 0
		.amdhsa_float_denorm_mode_32 3
		.amdhsa_float_denorm_mode_16_64 3
		.amdhsa_dx10_clamp 1
		.amdhsa_ieee_mode 1
		.amdhsa_fp16_overflow 0
		.amdhsa_tg_split 0
		.amdhsa_exception_fp_ieee_invalid_op 0
		.amdhsa_exception_fp_denorm_src 0
		.amdhsa_exception_fp_ieee_div_zero 0
		.amdhsa_exception_fp_ieee_overflow 0
		.amdhsa_exception_fp_ieee_underflow 0
		.amdhsa_exception_fp_ieee_inexact 0
		.amdhsa_exception_int_div_zero 0
	.end_amdhsa_kernel
	.section	.text._Z21inclusive_scan_kernelILj64ELN6hipcub18BlockScanAlgorithmE0EiEvPT1_,"axG",@progbits,_Z21inclusive_scan_kernelILj64ELN6hipcub18BlockScanAlgorithmE0EiEvPT1_,comdat
.Lfunc_end23:
	.size	_Z21inclusive_scan_kernelILj64ELN6hipcub18BlockScanAlgorithmE0EiEvPT1_, .Lfunc_end23-_Z21inclusive_scan_kernelILj64ELN6hipcub18BlockScanAlgorithmE0EiEvPT1_
                                        ; -- End function
	.section	.AMDGPU.csdata,"",@progbits
; Kernel info:
; codeLenInByte = 264
; NumSgprs: 11
; NumVgprs: 9
; NumAgprs: 0
; TotalNumVgprs: 9
; ScratchSize: 0
; MemoryBound: 0
; FloatMode: 240
; IeeeMode: 1
; LDSByteSize: 4 bytes/workgroup (compile time only)
; SGPRBlocks: 1
; VGPRBlocks: 1
; NumSGPRsForWavesPerEU: 11
; NumVGPRsForWavesPerEU: 9
; AccumOffset: 12
; Occupancy: 8
; WaveLimiterHint : 0
; COMPUTE_PGM_RSRC2:SCRATCH_EN: 0
; COMPUTE_PGM_RSRC2:USER_SGPR: 6
; COMPUTE_PGM_RSRC2:TRAP_HANDLER: 0
; COMPUTE_PGM_RSRC2:TGID_X_EN: 1
; COMPUTE_PGM_RSRC2:TGID_Y_EN: 0
; COMPUTE_PGM_RSRC2:TGID_Z_EN: 0
; COMPUTE_PGM_RSRC2:TIDIG_COMP_CNT: 0
; COMPUTE_PGM_RSRC3_GFX90A:ACCUM_OFFSET: 2
; COMPUTE_PGM_RSRC3_GFX90A:TG_SPLIT: 0
	.section	.text._Z28inclusive_scan_reduce_kernelILj377ELN6hipcub18BlockScanAlgorithmE1EhEvPT1_S3_,"axG",@progbits,_Z28inclusive_scan_reduce_kernelILj377ELN6hipcub18BlockScanAlgorithmE1EhEvPT1_S3_,comdat
	.protected	_Z28inclusive_scan_reduce_kernelILj377ELN6hipcub18BlockScanAlgorithmE1EhEvPT1_S3_ ; -- Begin function _Z28inclusive_scan_reduce_kernelILj377ELN6hipcub18BlockScanAlgorithmE1EhEvPT1_S3_
	.globl	_Z28inclusive_scan_reduce_kernelILj377ELN6hipcub18BlockScanAlgorithmE1EhEvPT1_S3_
	.p2align	8
	.type	_Z28inclusive_scan_reduce_kernelILj377ELN6hipcub18BlockScanAlgorithmE1EhEvPT1_S3_,@function
_Z28inclusive_scan_reduce_kernelILj377ELN6hipcub18BlockScanAlgorithmE1EhEvPT1_S3_: ; @_Z28inclusive_scan_reduce_kernelILj377ELN6hipcub18BlockScanAlgorithmE1EhEvPT1_S3_
; %bb.0:
	s_load_dwordx4 s[0:3], s[4:5], 0x0
	s_mul_i32 s4, s6, 0x179
	v_add_u32_e32 v2, s4, v0
	s_waitcnt lgkmcnt(0)
	global_load_ubyte v1, v2, s[0:1]
	v_mov_b32_e32 v3, s1
	v_add_co_u32_e32 v2, vcc, s0, v2
	v_addc_co_u32_e32 v3, vcc, 0, v3, vcc
	v_cmp_gt_u32_e32 vcc, 64, v0
	s_waitcnt vmcnt(0)
	ds_write_b8 v0, v1
	s_waitcnt lgkmcnt(0)
	s_barrier
	s_and_saveexec_b64 s[0:1], vcc
	s_cbranch_execz .LBB24_2
; %bb.1:
	v_mul_u32_u24_e32 v4, 6, v0
	ds_read_u8 v5, v4
	ds_read_u8 v6, v4 offset:1
	ds_read_u8 v7, v4 offset:2
	;; [unrolled: 1-line block ×5, first 2 shown]
	s_waitcnt lgkmcnt(4)
	v_add_u16_e32 v11, v6, v5
	s_waitcnt lgkmcnt(3)
	v_add_u16_e32 v11, v11, v7
	;; [unrolled: 2-line block ×4, first 2 shown]
	v_mbcnt_lo_u32_b32 v12, -1, 0
	s_waitcnt lgkmcnt(0)
	v_add_u16_e32 v11, v11, v10
	v_mbcnt_hi_u32_b32 v12, -1, v12
	v_and_b32_e32 v13, 15, v12
	v_and_b32_e32 v14, 0xff, v11
	v_cmp_ne_u32_e32 vcc, 0, v13
	s_nop 0
	v_mov_b32_dpp v14, v14 row_shr:1 row_mask:0xf bank_mask:0xf
	v_cndmask_b32_e32 v14, 0, v14, vcc
	v_add_u16_e32 v11, v14, v11
	v_and_b32_e32 v14, 0xff, v11
	v_cmp_lt_u32_e32 vcc, 1, v13
	s_nop 0
	v_mov_b32_dpp v14, v14 row_shr:2 row_mask:0xf bank_mask:0xf
	v_cndmask_b32_e32 v14, 0, v14, vcc
	v_add_u16_e32 v11, v11, v14
	v_and_b32_e32 v14, 0xff, v11
	v_cmp_lt_u32_e32 vcc, 3, v13
	;; [unrolled: 6-line block ×3, first 2 shown]
	s_nop 0
	v_mov_b32_dpp v14, v14 row_shr:8 row_mask:0xf bank_mask:0xf
	v_cndmask_b32_e32 v13, 0, v14, vcc
	v_add_u16_e32 v11, v11, v13
	v_and_b32_e32 v13, 0xff, v11
	v_and_b32_e32 v14, 16, v12
	v_cmp_ne_u32_e32 vcc, 0, v14
	v_mov_b32_dpp v13, v13 row_bcast:15 row_mask:0xf bank_mask:0xf
	v_cndmask_b32_e32 v13, 0, v13, vcc
	v_add_u16_e32 v11, v11, v13
	v_and_b32_e32 v13, 0xff, v11
	v_cmp_lt_u32_e32 vcc, 31, v12
	v_and_b32_e32 v14, 64, v12
	v_mov_b32_dpp v13, v13 row_bcast:31 row_mask:0xf bank_mask:0xf
	v_cndmask_b32_e32 v13, 0, v13, vcc
	v_add_u16_e32 v11, v11, v13
	v_add_u32_e32 v13, -1, v12
	v_cmp_lt_i32_e32 vcc, v13, v14
	v_cndmask_b32_e32 v12, v13, v12, vcc
	v_and_b32_e32 v11, 0xff, v11
	v_lshlrev_b32_e32 v12, 2, v12
	ds_bpermute_b32 v11, v12, v11
	v_cmp_eq_u32_e32 vcc, 0, v0
	s_waitcnt lgkmcnt(0)
	v_add_u16_e32 v5, v5, v11
	v_cndmask_b32_e32 v1, v5, v1, vcc
	ds_write_b8 v4, v1
	v_add_u16_e32 v1, v1, v6
	ds_write_b8 v4, v1 offset:1
	v_add_u16_e32 v1, v1, v7
	ds_write_b8 v4, v1 offset:2
	;; [unrolled: 2-line block ×5, first 2 shown]
.LBB24_2:
	s_or_b64 exec, exec, s[0:1]
	s_waitcnt lgkmcnt(0)
	s_barrier
	ds_read_u8 v1, v0
	v_cmp_eq_u32_e32 vcc, 0, v0
	s_waitcnt lgkmcnt(0)
	global_store_byte v[2:3], v1, off
	s_and_saveexec_b64 s[0:1], vcc
	s_cbranch_execz .LBB24_4
; %bb.3:
	v_mov_b32_e32 v0, 0
	ds_read_u8 v0, v0 offset:376
	v_mov_b32_e32 v1, s6
	s_waitcnt lgkmcnt(0)
	global_store_byte v1, v0, s[2:3]
.LBB24_4:
	s_endpgm
	.section	.rodata,"a",@progbits
	.p2align	6, 0x0
	.amdhsa_kernel _Z28inclusive_scan_reduce_kernelILj377ELN6hipcub18BlockScanAlgorithmE1EhEvPT1_S3_
		.amdhsa_group_segment_fixed_size 384
		.amdhsa_private_segment_fixed_size 0
		.amdhsa_kernarg_size 16
		.amdhsa_user_sgpr_count 6
		.amdhsa_user_sgpr_private_segment_buffer 1
		.amdhsa_user_sgpr_dispatch_ptr 0
		.amdhsa_user_sgpr_queue_ptr 0
		.amdhsa_user_sgpr_kernarg_segment_ptr 1
		.amdhsa_user_sgpr_dispatch_id 0
		.amdhsa_user_sgpr_flat_scratch_init 0
		.amdhsa_user_sgpr_kernarg_preload_length 0
		.amdhsa_user_sgpr_kernarg_preload_offset 0
		.amdhsa_user_sgpr_private_segment_size 0
		.amdhsa_uses_dynamic_stack 0
		.amdhsa_system_sgpr_private_segment_wavefront_offset 0
		.amdhsa_system_sgpr_workgroup_id_x 1
		.amdhsa_system_sgpr_workgroup_id_y 0
		.amdhsa_system_sgpr_workgroup_id_z 0
		.amdhsa_system_sgpr_workgroup_info 0
		.amdhsa_system_vgpr_workitem_id 0
		.amdhsa_next_free_vgpr 15
		.amdhsa_next_free_sgpr 7
		.amdhsa_accum_offset 16
		.amdhsa_reserve_vcc 1
		.amdhsa_reserve_flat_scratch 0
		.amdhsa_float_round_mode_32 0
		.amdhsa_float_round_mode_16_64 0
		.amdhsa_float_denorm_mode_32 3
		.amdhsa_float_denorm_mode_16_64 3
		.amdhsa_dx10_clamp 1
		.amdhsa_ieee_mode 1
		.amdhsa_fp16_overflow 0
		.amdhsa_tg_split 0
		.amdhsa_exception_fp_ieee_invalid_op 0
		.amdhsa_exception_fp_denorm_src 0
		.amdhsa_exception_fp_ieee_div_zero 0
		.amdhsa_exception_fp_ieee_overflow 0
		.amdhsa_exception_fp_ieee_underflow 0
		.amdhsa_exception_fp_ieee_inexact 0
		.amdhsa_exception_int_div_zero 0
	.end_amdhsa_kernel
	.section	.text._Z28inclusive_scan_reduce_kernelILj377ELN6hipcub18BlockScanAlgorithmE1EhEvPT1_S3_,"axG",@progbits,_Z28inclusive_scan_reduce_kernelILj377ELN6hipcub18BlockScanAlgorithmE1EhEvPT1_S3_,comdat
.Lfunc_end24:
	.size	_Z28inclusive_scan_reduce_kernelILj377ELN6hipcub18BlockScanAlgorithmE1EhEvPT1_S3_, .Lfunc_end24-_Z28inclusive_scan_reduce_kernelILj377ELN6hipcub18BlockScanAlgorithmE1EhEvPT1_S3_
                                        ; -- End function
	.section	.AMDGPU.csdata,"",@progbits
; Kernel info:
; codeLenInByte = 572
; NumSgprs: 11
; NumVgprs: 15
; NumAgprs: 0
; TotalNumVgprs: 15
; ScratchSize: 0
; MemoryBound: 0
; FloatMode: 240
; IeeeMode: 1
; LDSByteSize: 384 bytes/workgroup (compile time only)
; SGPRBlocks: 1
; VGPRBlocks: 1
; NumSGPRsForWavesPerEU: 11
; NumVGPRsForWavesPerEU: 15
; AccumOffset: 16
; Occupancy: 8
; WaveLimiterHint : 0
; COMPUTE_PGM_RSRC2:SCRATCH_EN: 0
; COMPUTE_PGM_RSRC2:USER_SGPR: 6
; COMPUTE_PGM_RSRC2:TRAP_HANDLER: 0
; COMPUTE_PGM_RSRC2:TGID_X_EN: 1
; COMPUTE_PGM_RSRC2:TGID_Y_EN: 0
; COMPUTE_PGM_RSRC2:TGID_Z_EN: 0
; COMPUTE_PGM_RSRC2:TIDIG_COMP_CNT: 0
; COMPUTE_PGM_RSRC3_GFX90A:ACCUM_OFFSET: 3
; COMPUTE_PGM_RSRC3_GFX90A:TG_SPLIT: 0
	.section	.text._Z28inclusive_scan_reduce_kernelILj377ELN6hipcub18BlockScanAlgorithmE1EiEvPT1_S3_,"axG",@progbits,_Z28inclusive_scan_reduce_kernelILj377ELN6hipcub18BlockScanAlgorithmE1EiEvPT1_S3_,comdat
	.protected	_Z28inclusive_scan_reduce_kernelILj377ELN6hipcub18BlockScanAlgorithmE1EiEvPT1_S3_ ; -- Begin function _Z28inclusive_scan_reduce_kernelILj377ELN6hipcub18BlockScanAlgorithmE1EiEvPT1_S3_
	.globl	_Z28inclusive_scan_reduce_kernelILj377ELN6hipcub18BlockScanAlgorithmE1EiEvPT1_S3_
	.p2align	8
	.type	_Z28inclusive_scan_reduce_kernelILj377ELN6hipcub18BlockScanAlgorithmE1EiEvPT1_S3_,@function
_Z28inclusive_scan_reduce_kernelILj377ELN6hipcub18BlockScanAlgorithmE1EiEvPT1_S3_: ; @_Z28inclusive_scan_reduce_kernelILj377ELN6hipcub18BlockScanAlgorithmE1EiEvPT1_S3_
; %bb.0:
	s_load_dwordx4 s[0:3], s[4:5], 0x0
	s_mul_i32 s4, s6, 0x179
	v_add_u32_e32 v2, s4, v0
	v_mov_b32_e32 v3, 0
	v_lshlrev_b64 v[2:3], 2, v[2:3]
	s_waitcnt lgkmcnt(0)
	v_mov_b32_e32 v1, s1
	v_add_co_u32_e32 v2, vcc, s0, v2
	v_addc_co_u32_e32 v3, vcc, v1, v3, vcc
	global_load_dword v4, v[2:3], off
	v_lshlrev_b32_e32 v1, 2, v0
	v_cmp_gt_u32_e32 vcc, 64, v0
	s_waitcnt vmcnt(0)
	ds_write_b32 v1, v4
	s_waitcnt lgkmcnt(0)
	s_barrier
	s_and_saveexec_b64 s[0:1], vcc
	s_cbranch_execz .LBB25_2
; %bb.1:
	v_mul_u32_u24_e32 v5, 6, v0
	v_lshlrev_b32_e32 v5, 2, v5
	ds_read2_b32 v[6:7], v5 offset1:1
	ds_read2_b32 v[8:9], v5 offset0:2 offset1:3
	ds_read2_b32 v[10:11], v5 offset0:4 offset1:5
	v_mbcnt_lo_u32_b32 v12, -1, 0
	v_mbcnt_hi_u32_b32 v12, -1, v12
	s_waitcnt lgkmcnt(2)
	v_add_u32_e32 v13, v7, v6
	s_waitcnt lgkmcnt(1)
	v_add3_u32 v13, v13, v8, v9
	s_waitcnt lgkmcnt(0)
	v_add3_u32 v13, v13, v10, v11
	v_and_b32_e32 v14, 15, v12
	v_cmp_ne_u32_e32 vcc, 0, v14
	v_mov_b32_dpp v15, v13 row_shr:1 row_mask:0xf bank_mask:0xf
	v_cndmask_b32_e32 v15, 0, v15, vcc
	v_add_u32_e32 v13, v15, v13
	v_cmp_lt_u32_e32 vcc, 1, v14
	s_nop 0
	v_mov_b32_dpp v15, v13 row_shr:2 row_mask:0xf bank_mask:0xf
	v_cndmask_b32_e32 v15, 0, v15, vcc
	v_add_u32_e32 v13, v13, v15
	v_cmp_lt_u32_e32 vcc, 3, v14
	s_nop 0
	;; [unrolled: 5-line block ×3, first 2 shown]
	v_mov_b32_dpp v15, v13 row_shr:8 row_mask:0xf bank_mask:0xf
	v_cndmask_b32_e32 v14, 0, v15, vcc
	v_add_u32_e32 v13, v13, v14
	v_bfe_i32 v15, v12, 4, 1
	v_cmp_lt_u32_e32 vcc, 31, v12
	v_mov_b32_dpp v14, v13 row_bcast:15 row_mask:0xf bank_mask:0xf
	v_and_b32_e32 v14, v15, v14
	v_add_u32_e32 v13, v13, v14
	v_and_b32_e32 v15, 64, v12
	s_nop 0
	v_mov_b32_dpp v14, v13 row_bcast:31 row_mask:0xf bank_mask:0xf
	v_cndmask_b32_e32 v14, 0, v14, vcc
	v_add_u32_e32 v13, v13, v14
	v_add_u32_e32 v14, -1, v12
	v_cmp_lt_i32_e32 vcc, v14, v15
	v_cndmask_b32_e32 v12, v14, v12, vcc
	v_lshlrev_b32_e32 v12, 2, v12
	ds_bpermute_b32 v12, v12, v13
	v_cmp_eq_u32_e32 vcc, 0, v0
	s_waitcnt lgkmcnt(0)
	v_add_u32_e32 v6, v12, v6
	v_cndmask_b32_e32 v4, v6, v4, vcc
	v_add_u32_e32 v6, v4, v7
	ds_write2_b32 v5, v4, v6 offset1:1
	v_add_u32_e32 v4, v6, v8
	v_add_u32_e32 v6, v4, v9
	ds_write2_b32 v5, v4, v6 offset0:2 offset1:3
	v_add_u32_e32 v4, v6, v10
	v_add_u32_e32 v6, v4, v11
	ds_write2_b32 v5, v4, v6 offset0:4 offset1:5
.LBB25_2:
	s_or_b64 exec, exec, s[0:1]
	s_waitcnt lgkmcnt(0)
	s_barrier
	ds_read_b32 v1, v1
	s_mov_b32 s7, 0
	v_cmp_eq_u32_e32 vcc, 0, v0
	s_waitcnt lgkmcnt(0)
	global_store_dword v[2:3], v1, off
	s_and_saveexec_b64 s[0:1], vcc
	s_cbranch_execz .LBB25_4
; %bb.3:
	v_mov_b32_e32 v0, 0
	ds_read_b32 v1, v0 offset:1504
	s_lshl_b64 s[0:1], s[6:7], 2
	s_add_u32 s0, s2, s0
	s_addc_u32 s1, s3, s1
	s_waitcnt lgkmcnt(0)
	global_store_dword v0, v1, s[0:1]
.LBB25_4:
	s_endpgm
	.section	.rodata,"a",@progbits
	.p2align	6, 0x0
	.amdhsa_kernel _Z28inclusive_scan_reduce_kernelILj377ELN6hipcub18BlockScanAlgorithmE1EiEvPT1_S3_
		.amdhsa_group_segment_fixed_size 1536
		.amdhsa_private_segment_fixed_size 0
		.amdhsa_kernarg_size 16
		.amdhsa_user_sgpr_count 6
		.amdhsa_user_sgpr_private_segment_buffer 1
		.amdhsa_user_sgpr_dispatch_ptr 0
		.amdhsa_user_sgpr_queue_ptr 0
		.amdhsa_user_sgpr_kernarg_segment_ptr 1
		.amdhsa_user_sgpr_dispatch_id 0
		.amdhsa_user_sgpr_flat_scratch_init 0
		.amdhsa_user_sgpr_kernarg_preload_length 0
		.amdhsa_user_sgpr_kernarg_preload_offset 0
		.amdhsa_user_sgpr_private_segment_size 0
		.amdhsa_uses_dynamic_stack 0
		.amdhsa_system_sgpr_private_segment_wavefront_offset 0
		.amdhsa_system_sgpr_workgroup_id_x 1
		.amdhsa_system_sgpr_workgroup_id_y 0
		.amdhsa_system_sgpr_workgroup_id_z 0
		.amdhsa_system_sgpr_workgroup_info 0
		.amdhsa_system_vgpr_workitem_id 0
		.amdhsa_next_free_vgpr 16
		.amdhsa_next_free_sgpr 8
		.amdhsa_accum_offset 16
		.amdhsa_reserve_vcc 1
		.amdhsa_reserve_flat_scratch 0
		.amdhsa_float_round_mode_32 0
		.amdhsa_float_round_mode_16_64 0
		.amdhsa_float_denorm_mode_32 3
		.amdhsa_float_denorm_mode_16_64 3
		.amdhsa_dx10_clamp 1
		.amdhsa_ieee_mode 1
		.amdhsa_fp16_overflow 0
		.amdhsa_tg_split 0
		.amdhsa_exception_fp_ieee_invalid_op 0
		.amdhsa_exception_fp_denorm_src 0
		.amdhsa_exception_fp_ieee_div_zero 0
		.amdhsa_exception_fp_ieee_overflow 0
		.amdhsa_exception_fp_ieee_underflow 0
		.amdhsa_exception_fp_ieee_inexact 0
		.amdhsa_exception_int_div_zero 0
	.end_amdhsa_kernel
	.section	.text._Z28inclusive_scan_reduce_kernelILj377ELN6hipcub18BlockScanAlgorithmE1EiEvPT1_S3_,"axG",@progbits,_Z28inclusive_scan_reduce_kernelILj377ELN6hipcub18BlockScanAlgorithmE1EiEvPT1_S3_,comdat
.Lfunc_end25:
	.size	_Z28inclusive_scan_reduce_kernelILj377ELN6hipcub18BlockScanAlgorithmE1EiEvPT1_S3_, .Lfunc_end25-_Z28inclusive_scan_reduce_kernelILj377ELN6hipcub18BlockScanAlgorithmE1EiEvPT1_S3_
                                        ; -- End function
	.section	.AMDGPU.csdata,"",@progbits
; Kernel info:
; codeLenInByte = 492
; NumSgprs: 12
; NumVgprs: 16
; NumAgprs: 0
; TotalNumVgprs: 16
; ScratchSize: 0
; MemoryBound: 0
; FloatMode: 240
; IeeeMode: 1
; LDSByteSize: 1536 bytes/workgroup (compile time only)
; SGPRBlocks: 1
; VGPRBlocks: 1
; NumSGPRsForWavesPerEU: 12
; NumVGPRsForWavesPerEU: 16
; AccumOffset: 16
; Occupancy: 8
; WaveLimiterHint : 0
; COMPUTE_PGM_RSRC2:SCRATCH_EN: 0
; COMPUTE_PGM_RSRC2:USER_SGPR: 6
; COMPUTE_PGM_RSRC2:TRAP_HANDLER: 0
; COMPUTE_PGM_RSRC2:TGID_X_EN: 1
; COMPUTE_PGM_RSRC2:TGID_Y_EN: 0
; COMPUTE_PGM_RSRC2:TGID_Z_EN: 0
; COMPUTE_PGM_RSRC2:TIDIG_COMP_CNT: 0
; COMPUTE_PGM_RSRC3_GFX90A:ACCUM_OFFSET: 3
; COMPUTE_PGM_RSRC3_GFX90A:TG_SPLIT: 0
	.section	.text._Z28inclusive_scan_reduce_kernelILj255ELN6hipcub18BlockScanAlgorithmE1EjEvPT1_S3_,"axG",@progbits,_Z28inclusive_scan_reduce_kernelILj255ELN6hipcub18BlockScanAlgorithmE1EjEvPT1_S3_,comdat
	.protected	_Z28inclusive_scan_reduce_kernelILj255ELN6hipcub18BlockScanAlgorithmE1EjEvPT1_S3_ ; -- Begin function _Z28inclusive_scan_reduce_kernelILj255ELN6hipcub18BlockScanAlgorithmE1EjEvPT1_S3_
	.globl	_Z28inclusive_scan_reduce_kernelILj255ELN6hipcub18BlockScanAlgorithmE1EjEvPT1_S3_
	.p2align	8
	.type	_Z28inclusive_scan_reduce_kernelILj255ELN6hipcub18BlockScanAlgorithmE1EjEvPT1_S3_,@function
_Z28inclusive_scan_reduce_kernelILj255ELN6hipcub18BlockScanAlgorithmE1EjEvPT1_S3_: ; @_Z28inclusive_scan_reduce_kernelILj255ELN6hipcub18BlockScanAlgorithmE1EjEvPT1_S3_
; %bb.0:
	s_load_dwordx4 s[0:3], s[4:5], 0x0
	s_mul_i32 s4, s6, 0xff
	v_add_u32_e32 v2, s4, v0
	v_mov_b32_e32 v3, 0
	v_lshlrev_b64 v[2:3], 2, v[2:3]
	s_waitcnt lgkmcnt(0)
	v_mov_b32_e32 v1, s1
	v_add_co_u32_e32 v2, vcc, s0, v2
	v_addc_co_u32_e32 v3, vcc, v1, v3, vcc
	global_load_dword v4, v[2:3], off
	v_lshrrev_b32_e32 v1, 5, v0
	v_add_lshl_u32 v1, v1, v0, 2
	v_cmp_gt_u32_e32 vcc, 64, v0
	s_waitcnt vmcnt(0)
	ds_write_b32 v1, v4
	s_waitcnt lgkmcnt(0)
	s_barrier
	s_and_saveexec_b64 s[0:1], vcc
	s_cbranch_execz .LBB26_2
; %bb.1:
	v_lshlrev_b32_e32 v5, 2, v0
	v_lshrrev_b32_e32 v6, 3, v0
	v_add_lshl_u32 v5, v6, v5, 2
	ds_read2_b32 v[6:7], v5 offset1:1
	ds_read2_b32 v[8:9], v5 offset0:2 offset1:3
	v_mbcnt_lo_u32_b32 v10, -1, 0
	v_mbcnt_hi_u32_b32 v10, -1, v10
	v_and_b32_e32 v12, 15, v10
	s_waitcnt lgkmcnt(1)
	v_add_u32_e32 v11, v7, v6
	s_waitcnt lgkmcnt(0)
	v_add3_u32 v11, v11, v8, v9
	v_cmp_ne_u32_e32 vcc, 0, v12
	s_nop 0
	v_mov_b32_dpp v13, v11 row_shr:1 row_mask:0xf bank_mask:0xf
	v_cndmask_b32_e32 v13, 0, v13, vcc
	v_add_u32_e32 v11, v13, v11
	v_cmp_lt_u32_e32 vcc, 1, v12
	s_nop 0
	v_mov_b32_dpp v13, v11 row_shr:2 row_mask:0xf bank_mask:0xf
	v_cndmask_b32_e32 v13, 0, v13, vcc
	v_add_u32_e32 v11, v11, v13
	v_cmp_lt_u32_e32 vcc, 3, v12
	;; [unrolled: 5-line block ×3, first 2 shown]
	s_nop 0
	v_mov_b32_dpp v13, v11 row_shr:8 row_mask:0xf bank_mask:0xf
	v_cndmask_b32_e32 v12, 0, v13, vcc
	v_add_u32_e32 v11, v11, v12
	v_bfe_i32 v13, v10, 4, 1
	v_cmp_lt_u32_e32 vcc, 31, v10
	v_mov_b32_dpp v12, v11 row_bcast:15 row_mask:0xf bank_mask:0xf
	v_and_b32_e32 v12, v13, v12
	v_add_u32_e32 v11, v11, v12
	v_and_b32_e32 v13, 64, v10
	s_nop 0
	v_mov_b32_dpp v12, v11 row_bcast:31 row_mask:0xf bank_mask:0xf
	v_cndmask_b32_e32 v12, 0, v12, vcc
	v_add_u32_e32 v11, v11, v12
	v_add_u32_e32 v12, -1, v10
	v_cmp_lt_i32_e32 vcc, v12, v13
	v_cndmask_b32_e32 v10, v12, v10, vcc
	v_lshlrev_b32_e32 v10, 2, v10
	ds_bpermute_b32 v10, v10, v11
	v_cmp_eq_u32_e32 vcc, 0, v0
	s_waitcnt lgkmcnt(0)
	v_add_u32_e32 v6, v10, v6
	v_cndmask_b32_e32 v4, v6, v4, vcc
	v_add_u32_e32 v6, v4, v7
	ds_write2_b32 v5, v4, v6 offset1:1
	v_add_u32_e32 v4, v6, v8
	v_add_u32_e32 v6, v4, v9
	ds_write2_b32 v5, v4, v6 offset0:2 offset1:3
.LBB26_2:
	s_or_b64 exec, exec, s[0:1]
	s_waitcnt lgkmcnt(0)
	s_barrier
	ds_read_b32 v1, v1
	s_mov_b32 s7, 0
	v_cmp_eq_u32_e32 vcc, 0, v0
	s_waitcnt lgkmcnt(0)
	global_store_dword v[2:3], v1, off
	s_and_saveexec_b64 s[0:1], vcc
	s_cbranch_execz .LBB26_4
; %bb.3:
	v_mov_b32_e32 v0, 0
	ds_read_b32 v1, v0 offset:1044
	s_lshl_b64 s[0:1], s[6:7], 2
	s_add_u32 s0, s2, s0
	s_addc_u32 s1, s3, s1
	s_waitcnt lgkmcnt(0)
	global_store_dword v0, v1, s[0:1]
.LBB26_4:
	s_endpgm
	.section	.rodata,"a",@progbits
	.p2align	6, 0x0
	.amdhsa_kernel _Z28inclusive_scan_reduce_kernelILj255ELN6hipcub18BlockScanAlgorithmE1EjEvPT1_S3_
		.amdhsa_group_segment_fixed_size 1056
		.amdhsa_private_segment_fixed_size 0
		.amdhsa_kernarg_size 16
		.amdhsa_user_sgpr_count 6
		.amdhsa_user_sgpr_private_segment_buffer 1
		.amdhsa_user_sgpr_dispatch_ptr 0
		.amdhsa_user_sgpr_queue_ptr 0
		.amdhsa_user_sgpr_kernarg_segment_ptr 1
		.amdhsa_user_sgpr_dispatch_id 0
		.amdhsa_user_sgpr_flat_scratch_init 0
		.amdhsa_user_sgpr_kernarg_preload_length 0
		.amdhsa_user_sgpr_kernarg_preload_offset 0
		.amdhsa_user_sgpr_private_segment_size 0
		.amdhsa_uses_dynamic_stack 0
		.amdhsa_system_sgpr_private_segment_wavefront_offset 0
		.amdhsa_system_sgpr_workgroup_id_x 1
		.amdhsa_system_sgpr_workgroup_id_y 0
		.amdhsa_system_sgpr_workgroup_id_z 0
		.amdhsa_system_sgpr_workgroup_info 0
		.amdhsa_system_vgpr_workitem_id 0
		.amdhsa_next_free_vgpr 14
		.amdhsa_next_free_sgpr 8
		.amdhsa_accum_offset 16
		.amdhsa_reserve_vcc 1
		.amdhsa_reserve_flat_scratch 0
		.amdhsa_float_round_mode_32 0
		.amdhsa_float_round_mode_16_64 0
		.amdhsa_float_denorm_mode_32 3
		.amdhsa_float_denorm_mode_16_64 3
		.amdhsa_dx10_clamp 1
		.amdhsa_ieee_mode 1
		.amdhsa_fp16_overflow 0
		.amdhsa_tg_split 0
		.amdhsa_exception_fp_ieee_invalid_op 0
		.amdhsa_exception_fp_denorm_src 0
		.amdhsa_exception_fp_ieee_div_zero 0
		.amdhsa_exception_fp_ieee_overflow 0
		.amdhsa_exception_fp_ieee_underflow 0
		.amdhsa_exception_fp_ieee_inexact 0
		.amdhsa_exception_int_div_zero 0
	.end_amdhsa_kernel
	.section	.text._Z28inclusive_scan_reduce_kernelILj255ELN6hipcub18BlockScanAlgorithmE1EjEvPT1_S3_,"axG",@progbits,_Z28inclusive_scan_reduce_kernelILj255ELN6hipcub18BlockScanAlgorithmE1EjEvPT1_S3_,comdat
.Lfunc_end26:
	.size	_Z28inclusive_scan_reduce_kernelILj255ELN6hipcub18BlockScanAlgorithmE1EjEvPT1_S3_, .Lfunc_end26-_Z28inclusive_scan_reduce_kernelILj255ELN6hipcub18BlockScanAlgorithmE1EjEvPT1_S3_
                                        ; -- End function
	.section	.AMDGPU.csdata,"",@progbits
; Kernel info:
; codeLenInByte = 476
; NumSgprs: 12
; NumVgprs: 14
; NumAgprs: 0
; TotalNumVgprs: 14
; ScratchSize: 0
; MemoryBound: 0
; FloatMode: 240
; IeeeMode: 1
; LDSByteSize: 1056 bytes/workgroup (compile time only)
; SGPRBlocks: 1
; VGPRBlocks: 1
; NumSGPRsForWavesPerEU: 12
; NumVGPRsForWavesPerEU: 14
; AccumOffset: 16
; Occupancy: 8
; WaveLimiterHint : 0
; COMPUTE_PGM_RSRC2:SCRATCH_EN: 0
; COMPUTE_PGM_RSRC2:USER_SGPR: 6
; COMPUTE_PGM_RSRC2:TRAP_HANDLER: 0
; COMPUTE_PGM_RSRC2:TGID_X_EN: 1
; COMPUTE_PGM_RSRC2:TGID_Y_EN: 0
; COMPUTE_PGM_RSRC2:TGID_Z_EN: 0
; COMPUTE_PGM_RSRC2:TIDIG_COMP_CNT: 0
; COMPUTE_PGM_RSRC3_GFX90A:ACCUM_OFFSET: 3
; COMPUTE_PGM_RSRC3_GFX90A:TG_SPLIT: 0
	.section	.text._Z28inclusive_scan_reduce_kernelILj162ELN6hipcub18BlockScanAlgorithmE1EsEvPT1_S3_,"axG",@progbits,_Z28inclusive_scan_reduce_kernelILj162ELN6hipcub18BlockScanAlgorithmE1EsEvPT1_S3_,comdat
	.protected	_Z28inclusive_scan_reduce_kernelILj162ELN6hipcub18BlockScanAlgorithmE1EsEvPT1_S3_ ; -- Begin function _Z28inclusive_scan_reduce_kernelILj162ELN6hipcub18BlockScanAlgorithmE1EsEvPT1_S3_
	.globl	_Z28inclusive_scan_reduce_kernelILj162ELN6hipcub18BlockScanAlgorithmE1EsEvPT1_S3_
	.p2align	8
	.type	_Z28inclusive_scan_reduce_kernelILj162ELN6hipcub18BlockScanAlgorithmE1EsEvPT1_S3_,@function
_Z28inclusive_scan_reduce_kernelILj162ELN6hipcub18BlockScanAlgorithmE1EsEvPT1_S3_: ; @_Z28inclusive_scan_reduce_kernelILj162ELN6hipcub18BlockScanAlgorithmE1EsEvPT1_S3_
; %bb.0:
	s_load_dwordx4 s[0:3], s[4:5], 0x0
	s_mul_i32 s4, s6, 0xa2
	v_add_u32_e32 v2, s4, v0
	v_mov_b32_e32 v3, 0
	v_lshlrev_b64 v[2:3], 1, v[2:3]
	s_waitcnt lgkmcnt(0)
	v_mov_b32_e32 v1, s1
	v_add_co_u32_e32 v2, vcc, s0, v2
	v_addc_co_u32_e32 v3, vcc, v1, v3, vcc
	global_load_ushort v4, v[2:3], off
	v_lshlrev_b32_e32 v1, 1, v0
	v_cmp_gt_u32_e32 vcc, 64, v0
	s_waitcnt vmcnt(0)
	ds_write_b16 v1, v4
	s_waitcnt lgkmcnt(0)
	s_barrier
	s_and_saveexec_b64 s[0:1], vcc
	s_cbranch_execz .LBB27_2
; %bb.1:
	v_mul_u32_u24_e32 v5, 3, v0
	v_lshlrev_b32_e32 v5, 1, v5
	ds_read_u16 v6, v5
	ds_read_u16 v7, v5 offset:2
	ds_read_u16 v8, v5 offset:4
	v_mbcnt_lo_u32_b32 v9, -1, 0
	v_mbcnt_hi_u32_b32 v9, -1, v9
	v_and_b32_e32 v11, 15, v9
	s_waitcnt lgkmcnt(1)
	v_add_u16_e32 v10, v7, v6
	s_waitcnt lgkmcnt(0)
	v_add_u16_e32 v10, v10, v8
	v_cmp_ne_u32_e32 vcc, 0, v11
	s_nop 0
	v_mov_b32_dpp v12, v10 row_shr:1 row_mask:0xf bank_mask:0xf
	v_cndmask_b32_e32 v12, 0, v12, vcc
	v_add_u16_e32 v10, v12, v10
	v_cmp_lt_u32_e32 vcc, 1, v11
	s_nop 0
	v_mov_b32_dpp v12, v10 row_shr:2 row_mask:0xf bank_mask:0xf
	v_cndmask_b32_e32 v12, 0, v12, vcc
	v_add_u16_e32 v10, v10, v12
	v_cmp_lt_u32_e32 vcc, 3, v11
	;; [unrolled: 5-line block ×3, first 2 shown]
	s_nop 0
	v_mov_b32_dpp v12, v10 row_shr:8 row_mask:0xf bank_mask:0xf
	v_cndmask_b32_e32 v11, 0, v12, vcc
	v_add_u16_e32 v10, v10, v11
	v_and_b32_e32 v12, 16, v9
	v_cmp_ne_u32_e32 vcc, 0, v12
	v_mov_b32_dpp v11, v10 row_bcast:15 row_mask:0xf bank_mask:0xf
	v_cndmask_b32_e32 v11, 0, v11, vcc
	v_add_u16_e32 v10, v10, v11
	v_cmp_lt_u32_e32 vcc, 31, v9
	v_and_b32_e32 v12, 64, v9
	v_mov_b32_dpp v11, v10 row_bcast:31 row_mask:0xf bank_mask:0xf
	v_cndmask_b32_e32 v11, 0, v11, vcc
	v_add_u16_e32 v10, v10, v11
	v_add_u32_e32 v11, -1, v9
	v_cmp_lt_i32_e32 vcc, v11, v12
	v_cndmask_b32_e32 v9, v11, v9, vcc
	v_lshlrev_b32_e32 v9, 2, v9
	ds_bpermute_b32 v9, v9, v10
	v_cmp_eq_u32_e32 vcc, 0, v0
	s_waitcnt lgkmcnt(0)
	v_add_u16_e32 v6, v6, v9
	v_cndmask_b32_e32 v4, v6, v4, vcc
	ds_write_b16 v5, v4
	v_add_u16_e32 v4, v4, v7
	ds_write_b16 v5, v4 offset:2
	v_add_u16_e32 v4, v4, v8
	ds_write_b16 v5, v4 offset:4
.LBB27_2:
	s_or_b64 exec, exec, s[0:1]
	s_waitcnt lgkmcnt(0)
	s_barrier
	ds_read_u16 v1, v1
	s_mov_b32 s7, 0
	v_cmp_eq_u32_e32 vcc, 0, v0
	s_waitcnt lgkmcnt(0)
	global_store_short v[2:3], v1, off
	s_and_saveexec_b64 s[0:1], vcc
	s_cbranch_execz .LBB27_4
; %bb.3:
	v_mov_b32_e32 v0, 0
	ds_read_u16 v1, v0 offset:322
	s_lshl_b64 s[0:1], s[6:7], 1
	s_add_u32 s0, s2, s0
	s_addc_u32 s1, s3, s1
	s_waitcnt lgkmcnt(0)
	global_store_short v0, v1, s[0:1]
.LBB27_4:
	s_endpgm
	.section	.rodata,"a",@progbits
	.p2align	6, 0x0
	.amdhsa_kernel _Z28inclusive_scan_reduce_kernelILj162ELN6hipcub18BlockScanAlgorithmE1EsEvPT1_S3_
		.amdhsa_group_segment_fixed_size 384
		.amdhsa_private_segment_fixed_size 0
		.amdhsa_kernarg_size 16
		.amdhsa_user_sgpr_count 6
		.amdhsa_user_sgpr_private_segment_buffer 1
		.amdhsa_user_sgpr_dispatch_ptr 0
		.amdhsa_user_sgpr_queue_ptr 0
		.amdhsa_user_sgpr_kernarg_segment_ptr 1
		.amdhsa_user_sgpr_dispatch_id 0
		.amdhsa_user_sgpr_flat_scratch_init 0
		.amdhsa_user_sgpr_kernarg_preload_length 0
		.amdhsa_user_sgpr_kernarg_preload_offset 0
		.amdhsa_user_sgpr_private_segment_size 0
		.amdhsa_uses_dynamic_stack 0
		.amdhsa_system_sgpr_private_segment_wavefront_offset 0
		.amdhsa_system_sgpr_workgroup_id_x 1
		.amdhsa_system_sgpr_workgroup_id_y 0
		.amdhsa_system_sgpr_workgroup_id_z 0
		.amdhsa_system_sgpr_workgroup_info 0
		.amdhsa_system_vgpr_workitem_id 0
		.amdhsa_next_free_vgpr 13
		.amdhsa_next_free_sgpr 8
		.amdhsa_accum_offset 16
		.amdhsa_reserve_vcc 1
		.amdhsa_reserve_flat_scratch 0
		.amdhsa_float_round_mode_32 0
		.amdhsa_float_round_mode_16_64 0
		.amdhsa_float_denorm_mode_32 3
		.amdhsa_float_denorm_mode_16_64 3
		.amdhsa_dx10_clamp 1
		.amdhsa_ieee_mode 1
		.amdhsa_fp16_overflow 0
		.amdhsa_tg_split 0
		.amdhsa_exception_fp_ieee_invalid_op 0
		.amdhsa_exception_fp_denorm_src 0
		.amdhsa_exception_fp_ieee_div_zero 0
		.amdhsa_exception_fp_ieee_overflow 0
		.amdhsa_exception_fp_ieee_underflow 0
		.amdhsa_exception_fp_ieee_inexact 0
		.amdhsa_exception_int_div_zero 0
	.end_amdhsa_kernel
	.section	.text._Z28inclusive_scan_reduce_kernelILj162ELN6hipcub18BlockScanAlgorithmE1EsEvPT1_S3_,"axG",@progbits,_Z28inclusive_scan_reduce_kernelILj162ELN6hipcub18BlockScanAlgorithmE1EsEvPT1_S3_,comdat
.Lfunc_end27:
	.size	_Z28inclusive_scan_reduce_kernelILj162ELN6hipcub18BlockScanAlgorithmE1EsEvPT1_S3_, .Lfunc_end27-_Z28inclusive_scan_reduce_kernelILj162ELN6hipcub18BlockScanAlgorithmE1EsEvPT1_S3_
                                        ; -- End function
	.section	.AMDGPU.csdata,"",@progbits
; Kernel info:
; codeLenInByte = 464
; NumSgprs: 12
; NumVgprs: 13
; NumAgprs: 0
; TotalNumVgprs: 13
; ScratchSize: 0
; MemoryBound: 0
; FloatMode: 240
; IeeeMode: 1
; LDSByteSize: 384 bytes/workgroup (compile time only)
; SGPRBlocks: 1
; VGPRBlocks: 1
; NumSGPRsForWavesPerEU: 12
; NumVGPRsForWavesPerEU: 13
; AccumOffset: 16
; Occupancy: 8
; WaveLimiterHint : 0
; COMPUTE_PGM_RSRC2:SCRATCH_EN: 0
; COMPUTE_PGM_RSRC2:USER_SGPR: 6
; COMPUTE_PGM_RSRC2:TRAP_HANDLER: 0
; COMPUTE_PGM_RSRC2:TGID_X_EN: 1
; COMPUTE_PGM_RSRC2:TGID_Y_EN: 0
; COMPUTE_PGM_RSRC2:TGID_Z_EN: 0
; COMPUTE_PGM_RSRC2:TIDIG_COMP_CNT: 0
; COMPUTE_PGM_RSRC3_GFX90A:ACCUM_OFFSET: 3
; COMPUTE_PGM_RSRC3_GFX90A:TG_SPLIT: 0
	.section	.text._Z28inclusive_scan_reduce_kernelILj37ELN6hipcub18BlockScanAlgorithmE1ElEvPT1_S3_,"axG",@progbits,_Z28inclusive_scan_reduce_kernelILj37ELN6hipcub18BlockScanAlgorithmE1ElEvPT1_S3_,comdat
	.protected	_Z28inclusive_scan_reduce_kernelILj37ELN6hipcub18BlockScanAlgorithmE1ElEvPT1_S3_ ; -- Begin function _Z28inclusive_scan_reduce_kernelILj37ELN6hipcub18BlockScanAlgorithmE1ElEvPT1_S3_
	.globl	_Z28inclusive_scan_reduce_kernelILj37ELN6hipcub18BlockScanAlgorithmE1ElEvPT1_S3_
	.p2align	8
	.type	_Z28inclusive_scan_reduce_kernelILj37ELN6hipcub18BlockScanAlgorithmE1ElEvPT1_S3_,@function
_Z28inclusive_scan_reduce_kernelILj37ELN6hipcub18BlockScanAlgorithmE1ElEvPT1_S3_: ; @_Z28inclusive_scan_reduce_kernelILj37ELN6hipcub18BlockScanAlgorithmE1ElEvPT1_S3_
; %bb.0:
	s_load_dwordx4 s[0:3], s[4:5], 0x0
	v_mad_u64_u32 v[2:3], s[4:5], s6, 37, v[0:1]
	v_mov_b32_e32 v3, 0
	v_lshlrev_b64 v[2:3], 3, v[2:3]
	s_waitcnt lgkmcnt(0)
	v_mov_b32_e32 v1, s1
	v_add_co_u32_e32 v2, vcc, s0, v2
	v_addc_co_u32_e32 v3, vcc, v1, v3, vcc
	global_load_dwordx2 v[4:5], v[2:3], off
	v_mbcnt_lo_u32_b32 v1, -1, 0
	v_mbcnt_hi_u32_b32 v7, -1, v1
	v_and_b32_e32 v1, 15, v7
	v_and_b32_e32 v9, 16, v7
	v_cmp_ne_u32_e64 s[0:1], 0, v7
	s_waitcnt vmcnt(0)
	v_mov_b32_dpp v6, v4 row_shr:1 row_mask:0xf bank_mask:0xf
	v_add_co_u32_e32 v6, vcc, v4, v6
	v_addc_co_u32_e32 v10, vcc, 0, v5, vcc
	v_mov_b32_dpp v8, v5 row_shr:1 row_mask:0xf bank_mask:0xf
	v_add_co_u32_e32 v11, vcc, 0, v6
	v_addc_co_u32_e32 v8, vcc, v8, v10, vcc
	v_cmp_eq_u32_e32 vcc, 0, v1
	v_cndmask_b32_e32 v6, v6, v4, vcc
	v_cndmask_b32_e32 v8, v8, v5, vcc
	v_cndmask_b32_e32 v10, v11, v4, vcc
	v_mov_b32_dpp v11, v6 row_shr:2 row_mask:0xf bank_mask:0xf
	v_mov_b32_dpp v12, v8 row_shr:2 row_mask:0xf bank_mask:0xf
	v_add_co_u32_e32 v11, vcc, v11, v10
	v_addc_co_u32_e32 v12, vcc, v12, v8, vcc
	v_cmp_lt_u32_e32 vcc, 1, v1
	v_cndmask_b32_e32 v6, v6, v11, vcc
	v_cndmask_b32_e32 v8, v8, v12, vcc
	v_cndmask_b32_e32 v10, v10, v11, vcc
	v_mov_b32_dpp v11, v6 row_shr:4 row_mask:0xf bank_mask:0xf
	v_mov_b32_dpp v12, v8 row_shr:4 row_mask:0xf bank_mask:0xf
	v_add_co_u32_e32 v11, vcc, v11, v10
	v_addc_co_u32_e32 v12, vcc, v12, v8, vcc
	v_cmp_lt_u32_e32 vcc, 3, v1
	;; [unrolled: 8-line block ×3, first 2 shown]
	v_cndmask_b32_e32 v13, v6, v11, vcc
	v_cndmask_b32_e32 v1, v8, v12, vcc
	;; [unrolled: 1-line block ×3, first 2 shown]
	v_mov_b32_dpp v8, v13 row_bcast:15 row_mask:0xf bank_mask:0xf
	v_mov_b32_dpp v10, v1 row_bcast:15 row_mask:0xf bank_mask:0xf
	v_add_co_u32_e32 v8, vcc, v8, v6
	v_addc_co_u32_e32 v10, vcc, v10, v1, vcc
	v_cmp_eq_u32_e32 vcc, 0, v9
	v_cndmask_b32_e32 v11, v10, v1, vcc
	v_cndmask_b32_e32 v9, v8, v13, vcc
	s_nop 0
	v_mov_b32_dpp v11, v11 row_bcast:31 row_mask:0xf bank_mask:0xf
	v_mov_b32_dpp v9, v9 row_bcast:31 row_mask:0xf bank_mask:0xf
	s_and_saveexec_b64 s[4:5], s[0:1]
; %bb.1:
	v_cndmask_b32_e32 v1, v10, v1, vcc
	v_cndmask_b32_e32 v4, v8, v6, vcc
	v_cmp_lt_u32_e32 vcc, 31, v7
	v_cndmask_b32_e32 v6, 0, v9, vcc
	v_cndmask_b32_e32 v5, 0, v11, vcc
	v_add_co_u32_e32 v4, vcc, v6, v4
	v_addc_co_u32_e32 v5, vcc, v5, v1, vcc
; %bb.2:
	s_or_b64 exec, exec, s[4:5]
	v_cmp_eq_u32_e32 vcc, 36, v0
	s_and_saveexec_b64 s[0:1], vcc
	s_cbranch_execz .LBB28_4
; %bb.3:
	v_mov_b32_e32 v1, 0
	ds_write_b64 v1, v[4:5]
.LBB28_4:
	s_or_b64 exec, exec, s[0:1]
	s_mov_b32 s7, 0
	v_cmp_eq_u32_e32 vcc, 0, v0
	s_waitcnt lgkmcnt(0)
	; wave barrier
	s_waitcnt lgkmcnt(0)
	global_store_dwordx2 v[2:3], v[4:5], off
	s_and_saveexec_b64 s[0:1], vcc
	s_cbranch_execz .LBB28_6
; %bb.5:
	v_mov_b32_e32 v2, 0
	ds_read_b64 v[0:1], v2
	s_lshl_b64 s[0:1], s[6:7], 3
	s_add_u32 s0, s2, s0
	s_addc_u32 s1, s3, s1
	s_waitcnt lgkmcnt(0)
	global_store_dwordx2 v2, v[0:1], s[0:1]
.LBB28_6:
	s_endpgm
	.section	.rodata,"a",@progbits
	.p2align	6, 0x0
	.amdhsa_kernel _Z28inclusive_scan_reduce_kernelILj37ELN6hipcub18BlockScanAlgorithmE1ElEvPT1_S3_
		.amdhsa_group_segment_fixed_size 8
		.amdhsa_private_segment_fixed_size 0
		.amdhsa_kernarg_size 16
		.amdhsa_user_sgpr_count 6
		.amdhsa_user_sgpr_private_segment_buffer 1
		.amdhsa_user_sgpr_dispatch_ptr 0
		.amdhsa_user_sgpr_queue_ptr 0
		.amdhsa_user_sgpr_kernarg_segment_ptr 1
		.amdhsa_user_sgpr_dispatch_id 0
		.amdhsa_user_sgpr_flat_scratch_init 0
		.amdhsa_user_sgpr_kernarg_preload_length 0
		.amdhsa_user_sgpr_kernarg_preload_offset 0
		.amdhsa_user_sgpr_private_segment_size 0
		.amdhsa_uses_dynamic_stack 0
		.amdhsa_system_sgpr_private_segment_wavefront_offset 0
		.amdhsa_system_sgpr_workgroup_id_x 1
		.amdhsa_system_sgpr_workgroup_id_y 0
		.amdhsa_system_sgpr_workgroup_id_z 0
		.amdhsa_system_sgpr_workgroup_info 0
		.amdhsa_system_vgpr_workitem_id 0
		.amdhsa_next_free_vgpr 14
		.amdhsa_next_free_sgpr 8
		.amdhsa_accum_offset 16
		.amdhsa_reserve_vcc 1
		.amdhsa_reserve_flat_scratch 0
		.amdhsa_float_round_mode_32 0
		.amdhsa_float_round_mode_16_64 0
		.amdhsa_float_denorm_mode_32 3
		.amdhsa_float_denorm_mode_16_64 3
		.amdhsa_dx10_clamp 1
		.amdhsa_ieee_mode 1
		.amdhsa_fp16_overflow 0
		.amdhsa_tg_split 0
		.amdhsa_exception_fp_ieee_invalid_op 0
		.amdhsa_exception_fp_denorm_src 0
		.amdhsa_exception_fp_ieee_div_zero 0
		.amdhsa_exception_fp_ieee_overflow 0
		.amdhsa_exception_fp_ieee_underflow 0
		.amdhsa_exception_fp_ieee_inexact 0
		.amdhsa_exception_int_div_zero 0
	.end_amdhsa_kernel
	.section	.text._Z28inclusive_scan_reduce_kernelILj37ELN6hipcub18BlockScanAlgorithmE1ElEvPT1_S3_,"axG",@progbits,_Z28inclusive_scan_reduce_kernelILj37ELN6hipcub18BlockScanAlgorithmE1ElEvPT1_S3_,comdat
.Lfunc_end28:
	.size	_Z28inclusive_scan_reduce_kernelILj37ELN6hipcub18BlockScanAlgorithmE1ElEvPT1_S3_, .Lfunc_end28-_Z28inclusive_scan_reduce_kernelILj37ELN6hipcub18BlockScanAlgorithmE1ElEvPT1_S3_
                                        ; -- End function
	.section	.AMDGPU.csdata,"",@progbits
; Kernel info:
; codeLenInByte = 448
; NumSgprs: 12
; NumVgprs: 14
; NumAgprs: 0
; TotalNumVgprs: 14
; ScratchSize: 0
; MemoryBound: 0
; FloatMode: 240
; IeeeMode: 1
; LDSByteSize: 8 bytes/workgroup (compile time only)
; SGPRBlocks: 1
; VGPRBlocks: 1
; NumSGPRsForWavesPerEU: 12
; NumVGPRsForWavesPerEU: 14
; AccumOffset: 16
; Occupancy: 8
; WaveLimiterHint : 0
; COMPUTE_PGM_RSRC2:SCRATCH_EN: 0
; COMPUTE_PGM_RSRC2:USER_SGPR: 6
; COMPUTE_PGM_RSRC2:TRAP_HANDLER: 0
; COMPUTE_PGM_RSRC2:TGID_X_EN: 1
; COMPUTE_PGM_RSRC2:TGID_Y_EN: 0
; COMPUTE_PGM_RSRC2:TGID_Z_EN: 0
; COMPUTE_PGM_RSRC2:TIDIG_COMP_CNT: 0
; COMPUTE_PGM_RSRC3_GFX90A:ACCUM_OFFSET: 3
; COMPUTE_PGM_RSRC3_GFX90A:TG_SPLIT: 0
	.section	.text._Z28inclusive_scan_reduce_kernelILj65ELN6hipcub18BlockScanAlgorithmE1EmEvPT1_S3_,"axG",@progbits,_Z28inclusive_scan_reduce_kernelILj65ELN6hipcub18BlockScanAlgorithmE1EmEvPT1_S3_,comdat
	.protected	_Z28inclusive_scan_reduce_kernelILj65ELN6hipcub18BlockScanAlgorithmE1EmEvPT1_S3_ ; -- Begin function _Z28inclusive_scan_reduce_kernelILj65ELN6hipcub18BlockScanAlgorithmE1EmEvPT1_S3_
	.globl	_Z28inclusive_scan_reduce_kernelILj65ELN6hipcub18BlockScanAlgorithmE1EmEvPT1_S3_
	.p2align	8
	.type	_Z28inclusive_scan_reduce_kernelILj65ELN6hipcub18BlockScanAlgorithmE1EmEvPT1_S3_,@function
_Z28inclusive_scan_reduce_kernelILj65ELN6hipcub18BlockScanAlgorithmE1EmEvPT1_S3_: ; @_Z28inclusive_scan_reduce_kernelILj65ELN6hipcub18BlockScanAlgorithmE1EmEvPT1_S3_
; %bb.0:
	s_load_dwordx4 s[0:3], s[4:5], 0x0
	s_mul_i32 s4, s6, 0x41
	v_add_u32_e32 v2, s4, v0
	v_mov_b32_e32 v3, 0
	v_lshlrev_b64 v[2:3], 3, v[2:3]
	s_waitcnt lgkmcnt(0)
	v_mov_b32_e32 v1, s1
	v_add_co_u32_e32 v2, vcc, s0, v2
	v_addc_co_u32_e32 v3, vcc, v1, v3, vcc
	global_load_dwordx2 v[4:5], v[2:3], off
	v_lshrrev_b32_e32 v1, 5, v0
	v_add_lshl_u32 v1, v1, v0, 3
	v_cmp_gt_u32_e32 vcc, 64, v0
	s_waitcnt vmcnt(0)
	ds_write_b64 v1, v[4:5]
	s_waitcnt lgkmcnt(0)
	s_barrier
	s_and_saveexec_b64 s[4:5], vcc
	s_cbranch_execz .LBB29_2
; %bb.1:
	v_lshlrev_b32_e32 v6, 1, v0
	v_lshrrev_b32_e32 v7, 4, v0
	v_add_lshl_u32 v10, v7, v6, 3
	ds_read2_b64 v[6:9], v10 offset1:1
	v_mbcnt_lo_u32_b32 v13, -1, 0
	v_mbcnt_hi_u32_b32 v13, -1, v13
	v_and_b32_e32 v14, 15, v13
	s_waitcnt lgkmcnt(0)
	v_add_co_u32_e32 v11, vcc, v8, v6
	v_addc_co_u32_e32 v12, vcc, v9, v7, vcc
	s_nop 0
	v_mov_b32_dpp v15, v11 row_shr:1 row_mask:0xf bank_mask:0xf
	v_add_co_u32_e32 v15, vcc, v11, v15
	v_addc_co_u32_e32 v17, vcc, 0, v12, vcc
	v_mov_b32_dpp v16, v12 row_shr:1 row_mask:0xf bank_mask:0xf
	v_add_co_u32_e32 v18, vcc, 0, v15
	v_addc_co_u32_e32 v16, vcc, v16, v17, vcc
	v_cmp_eq_u32_e32 vcc, 0, v14
	v_cndmask_b32_e32 v15, v15, v11, vcc
	v_cndmask_b32_e32 v12, v16, v12, vcc
	v_cndmask_b32_e32 v11, v18, v11, vcc
	v_mov_b32_dpp v16, v15 row_shr:2 row_mask:0xf bank_mask:0xf
	v_add_co_u32_e32 v16, vcc, v11, v16
	v_addc_co_u32_e32 v18, vcc, 0, v12, vcc
	v_mov_b32_dpp v17, v12 row_shr:2 row_mask:0xf bank_mask:0xf
	v_add_co_u32_e32 v19, vcc, 0, v16
	v_addc_co_u32_e32 v17, vcc, v18, v17, vcc
	v_cmp_lt_u32_e32 vcc, 1, v14
	v_cndmask_b32_e32 v15, v15, v16, vcc
	v_cndmask_b32_e32 v11, v11, v19, vcc
	v_cndmask_b32_e32 v12, v12, v17, vcc
	v_mov_b32_dpp v16, v15 row_shr:4 row_mask:0xf bank_mask:0xf
	v_add_co_u32_e32 v16, vcc, v11, v16
	v_addc_co_u32_e32 v18, vcc, 0, v12, vcc
	v_mov_b32_dpp v17, v12 row_shr:4 row_mask:0xf bank_mask:0xf
	v_add_co_u32_e32 v19, vcc, 0, v16
	v_addc_co_u32_e32 v17, vcc, v18, v17, vcc
	v_cmp_lt_u32_e32 vcc, 3, v14
	;; [unrolled: 10-line block ×3, first 2 shown]
	v_cndmask_b32_e32 v14, v15, v16, vcc
	v_cndmask_b32_e32 v11, v11, v19, vcc
	;; [unrolled: 1-line block ×3, first 2 shown]
	v_mov_b32_dpp v15, v14 row_bcast:15 row_mask:0xf bank_mask:0xf
	v_add_co_u32_e32 v15, vcc, v11, v15
	v_addc_co_u32_e32 v18, vcc, 0, v12, vcc
	v_mov_b32_dpp v16, v12 row_bcast:15 row_mask:0xf bank_mask:0xf
	v_add_co_u32_e32 v19, vcc, 0, v15
	v_and_b32_e32 v17, 16, v13
	v_addc_co_u32_e32 v16, vcc, v18, v16, vcc
	v_cmp_eq_u32_e32 vcc, 0, v17
	v_cndmask_b32_e32 v14, v15, v14, vcc
	v_cndmask_b32_e32 v11, v19, v11, vcc
	;; [unrolled: 1-line block ×3, first 2 shown]
	v_mov_b32_dpp v15, v14 row_bcast:31 row_mask:0xf bank_mask:0xf
	v_add_co_u32_e32 v11, vcc, v11, v15
	v_addc_co_u32_e32 v15, vcc, 0, v12, vcc
	v_cmp_lt_u32_e32 vcc, 31, v13
	v_cndmask_b32_e32 v11, v14, v11, vcc
	v_add_u32_e32 v14, -1, v13
	v_and_b32_e32 v17, 64, v13
	v_cmp_lt_i32_e64 s[0:1], v14, v17
	v_cndmask_b32_e64 v13, v14, v13, s[0:1]
	v_lshlrev_b32_e32 v13, 2, v13
	v_mov_b32_dpp v16, v12 row_bcast:31 row_mask:0xf bank_mask:0xf
	ds_bpermute_b32 v11, v13, v11
	v_add_u32_e32 v14, v16, v15
	v_cndmask_b32_e32 v12, v12, v14, vcc
	ds_bpermute_b32 v12, v13, v12
	s_waitcnt lgkmcnt(1)
	v_add_co_u32_e32 v6, vcc, v6, v11
	v_addc_co_u32_e32 v7, vcc, 0, v7, vcc
	v_add_co_u32_e32 v6, vcc, 0, v6
	s_waitcnt lgkmcnt(0)
	v_addc_co_u32_e32 v7, vcc, v7, v12, vcc
	v_cmp_eq_u32_e32 vcc, 0, v0
	v_cndmask_b32_e32 v4, v6, v4, vcc
	v_cndmask_b32_e32 v5, v7, v5, vcc
	v_add_co_u32_e32 v6, vcc, v4, v8
	v_addc_co_u32_e32 v7, vcc, v5, v9, vcc
	ds_write2_b64 v10, v[4:5], v[6:7] offset1:1
.LBB29_2:
	s_or_b64 exec, exec, s[4:5]
	s_waitcnt lgkmcnt(0)
	s_barrier
	ds_read_b64 v[4:5], v1
	s_mov_b32 s7, 0
	v_cmp_eq_u32_e32 vcc, 0, v0
	s_waitcnt lgkmcnt(0)
	global_store_dwordx2 v[2:3], v[4:5], off
	s_and_saveexec_b64 s[0:1], vcc
	s_cbranch_execz .LBB29_4
; %bb.3:
	v_mov_b32_e32 v2, 0
	ds_read_b64 v[0:1], v2 offset:528
	s_lshl_b64 s[0:1], s[6:7], 3
	s_add_u32 s0, s2, s0
	s_addc_u32 s1, s3, s1
	s_waitcnt lgkmcnt(0)
	global_store_dwordx2 v2, v[0:1], s[0:1]
.LBB29_4:
	s_endpgm
	.section	.rodata,"a",@progbits
	.p2align	6, 0x0
	.amdhsa_kernel _Z28inclusive_scan_reduce_kernelILj65ELN6hipcub18BlockScanAlgorithmE1EmEvPT1_S3_
		.amdhsa_group_segment_fixed_size 1056
		.amdhsa_private_segment_fixed_size 0
		.amdhsa_kernarg_size 16
		.amdhsa_user_sgpr_count 6
		.amdhsa_user_sgpr_private_segment_buffer 1
		.amdhsa_user_sgpr_dispatch_ptr 0
		.amdhsa_user_sgpr_queue_ptr 0
		.amdhsa_user_sgpr_kernarg_segment_ptr 1
		.amdhsa_user_sgpr_dispatch_id 0
		.amdhsa_user_sgpr_flat_scratch_init 0
		.amdhsa_user_sgpr_kernarg_preload_length 0
		.amdhsa_user_sgpr_kernarg_preload_offset 0
		.amdhsa_user_sgpr_private_segment_size 0
		.amdhsa_uses_dynamic_stack 0
		.amdhsa_system_sgpr_private_segment_wavefront_offset 0
		.amdhsa_system_sgpr_workgroup_id_x 1
		.amdhsa_system_sgpr_workgroup_id_y 0
		.amdhsa_system_sgpr_workgroup_id_z 0
		.amdhsa_system_sgpr_workgroup_info 0
		.amdhsa_system_vgpr_workitem_id 0
		.amdhsa_next_free_vgpr 20
		.amdhsa_next_free_sgpr 8
		.amdhsa_accum_offset 20
		.amdhsa_reserve_vcc 1
		.amdhsa_reserve_flat_scratch 0
		.amdhsa_float_round_mode_32 0
		.amdhsa_float_round_mode_16_64 0
		.amdhsa_float_denorm_mode_32 3
		.amdhsa_float_denorm_mode_16_64 3
		.amdhsa_dx10_clamp 1
		.amdhsa_ieee_mode 1
		.amdhsa_fp16_overflow 0
		.amdhsa_tg_split 0
		.amdhsa_exception_fp_ieee_invalid_op 0
		.amdhsa_exception_fp_denorm_src 0
		.amdhsa_exception_fp_ieee_div_zero 0
		.amdhsa_exception_fp_ieee_overflow 0
		.amdhsa_exception_fp_ieee_underflow 0
		.amdhsa_exception_fp_ieee_inexact 0
		.amdhsa_exception_int_div_zero 0
	.end_amdhsa_kernel
	.section	.text._Z28inclusive_scan_reduce_kernelILj65ELN6hipcub18BlockScanAlgorithmE1EmEvPT1_S3_,"axG",@progbits,_Z28inclusive_scan_reduce_kernelILj65ELN6hipcub18BlockScanAlgorithmE1EmEvPT1_S3_,comdat
.Lfunc_end29:
	.size	_Z28inclusive_scan_reduce_kernelILj65ELN6hipcub18BlockScanAlgorithmE1EmEvPT1_S3_, .Lfunc_end29-_Z28inclusive_scan_reduce_kernelILj65ELN6hipcub18BlockScanAlgorithmE1EmEvPT1_S3_
                                        ; -- End function
	.section	.AMDGPU.csdata,"",@progbits
; Kernel info:
; codeLenInByte = 628
; NumSgprs: 12
; NumVgprs: 20
; NumAgprs: 0
; TotalNumVgprs: 20
; ScratchSize: 0
; MemoryBound: 0
; FloatMode: 240
; IeeeMode: 1
; LDSByteSize: 1056 bytes/workgroup (compile time only)
; SGPRBlocks: 1
; VGPRBlocks: 2
; NumSGPRsForWavesPerEU: 12
; NumVGPRsForWavesPerEU: 20
; AccumOffset: 20
; Occupancy: 8
; WaveLimiterHint : 0
; COMPUTE_PGM_RSRC2:SCRATCH_EN: 0
; COMPUTE_PGM_RSRC2:USER_SGPR: 6
; COMPUTE_PGM_RSRC2:TRAP_HANDLER: 0
; COMPUTE_PGM_RSRC2:TGID_X_EN: 1
; COMPUTE_PGM_RSRC2:TGID_Y_EN: 0
; COMPUTE_PGM_RSRC2:TGID_Z_EN: 0
; COMPUTE_PGM_RSRC2:TIDIG_COMP_CNT: 0
; COMPUTE_PGM_RSRC3_GFX90A:ACCUM_OFFSET: 4
; COMPUTE_PGM_RSRC3_GFX90A:TG_SPLIT: 0
	.section	.text._Z28inclusive_scan_reduce_kernelILj512ELN6hipcub18BlockScanAlgorithmE1EiEvPT1_S3_,"axG",@progbits,_Z28inclusive_scan_reduce_kernelILj512ELN6hipcub18BlockScanAlgorithmE1EiEvPT1_S3_,comdat
	.protected	_Z28inclusive_scan_reduce_kernelILj512ELN6hipcub18BlockScanAlgorithmE1EiEvPT1_S3_ ; -- Begin function _Z28inclusive_scan_reduce_kernelILj512ELN6hipcub18BlockScanAlgorithmE1EiEvPT1_S3_
	.globl	_Z28inclusive_scan_reduce_kernelILj512ELN6hipcub18BlockScanAlgorithmE1EiEvPT1_S3_
	.p2align	8
	.type	_Z28inclusive_scan_reduce_kernelILj512ELN6hipcub18BlockScanAlgorithmE1EiEvPT1_S3_,@function
_Z28inclusive_scan_reduce_kernelILj512ELN6hipcub18BlockScanAlgorithmE1EiEvPT1_S3_: ; @_Z28inclusive_scan_reduce_kernelILj512ELN6hipcub18BlockScanAlgorithmE1EiEvPT1_S3_
; %bb.0:
	s_load_dwordx4 s[0:3], s[4:5], 0x0
	v_lshl_or_b32 v2, s6, 9, v0
	v_mov_b32_e32 v3, 0
	v_lshlrev_b64 v[2:3], 2, v[2:3]
	s_waitcnt lgkmcnt(0)
	v_mov_b32_e32 v1, s1
	v_add_co_u32_e32 v2, vcc, s0, v2
	v_addc_co_u32_e32 v3, vcc, v1, v3, vcc
	global_load_dword v4, v[2:3], off
	v_lshrrev_b32_e32 v1, 5, v0
	v_add_lshl_u32 v1, v1, v0, 2
	v_cmp_gt_u32_e32 vcc, 64, v0
	s_waitcnt vmcnt(0)
	ds_write_b32 v1, v4
	s_waitcnt lgkmcnt(0)
	s_barrier
	s_and_saveexec_b64 s[0:1], vcc
	s_cbranch_execz .LBB30_2
; %bb.1:
	v_lshlrev_b32_e32 v5, 3, v0
	v_lshrrev_b32_e32 v6, 2, v0
	v_add_lshl_u32 v5, v6, v5, 2
	ds_read2_b32 v[6:7], v5 offset1:1
	ds_read2_b32 v[8:9], v5 offset0:2 offset1:3
	ds_read2_b32 v[10:11], v5 offset0:4 offset1:5
	;; [unrolled: 1-line block ×3, first 2 shown]
	v_mbcnt_lo_u32_b32 v15, -1, 0
	s_waitcnt lgkmcnt(3)
	v_add_u32_e32 v14, v7, v6
	s_waitcnt lgkmcnt(2)
	v_add3_u32 v14, v14, v8, v9
	s_waitcnt lgkmcnt(1)
	v_add3_u32 v14, v14, v10, v11
	v_mbcnt_hi_u32_b32 v15, -1, v15
	s_waitcnt lgkmcnt(0)
	v_add3_u32 v14, v14, v12, v13
	v_and_b32_e32 v16, 15, v15
	v_cmp_ne_u32_e32 vcc, 0, v16
	v_mov_b32_dpp v17, v14 row_shr:1 row_mask:0xf bank_mask:0xf
	v_cndmask_b32_e32 v17, 0, v17, vcc
	v_add_u32_e32 v14, v17, v14
	v_cmp_lt_u32_e32 vcc, 1, v16
	s_nop 0
	v_mov_b32_dpp v17, v14 row_shr:2 row_mask:0xf bank_mask:0xf
	v_cndmask_b32_e32 v17, 0, v17, vcc
	v_add_u32_e32 v14, v14, v17
	v_cmp_lt_u32_e32 vcc, 3, v16
	s_nop 0
	v_mov_b32_dpp v17, v14 row_shr:4 row_mask:0xf bank_mask:0xf
	v_cndmask_b32_e32 v17, 0, v17, vcc
	v_add_u32_e32 v14, v14, v17
	v_cmp_lt_u32_e32 vcc, 7, v16
	s_nop 0
	v_mov_b32_dpp v17, v14 row_shr:8 row_mask:0xf bank_mask:0xf
	v_cndmask_b32_e32 v16, 0, v17, vcc
	v_add_u32_e32 v14, v14, v16
	v_bfe_i32 v17, v15, 4, 1
	v_cmp_lt_u32_e32 vcc, 31, v15
	v_mov_b32_dpp v16, v14 row_bcast:15 row_mask:0xf bank_mask:0xf
	v_and_b32_e32 v16, v17, v16
	v_add_u32_e32 v14, v14, v16
	v_and_b32_e32 v17, 64, v15
	s_nop 0
	v_mov_b32_dpp v16, v14 row_bcast:31 row_mask:0xf bank_mask:0xf
	v_cndmask_b32_e32 v16, 0, v16, vcc
	v_add_u32_e32 v14, v14, v16
	v_add_u32_e32 v16, -1, v15
	v_cmp_lt_i32_e32 vcc, v16, v17
	v_cndmask_b32_e32 v15, v16, v15, vcc
	v_lshlrev_b32_e32 v15, 2, v15
	ds_bpermute_b32 v14, v15, v14
	v_cmp_eq_u32_e32 vcc, 0, v0
	s_waitcnt lgkmcnt(0)
	v_add_u32_e32 v6, v14, v6
	v_cndmask_b32_e32 v4, v6, v4, vcc
	v_add_u32_e32 v6, v4, v7
	ds_write2_b32 v5, v4, v6 offset1:1
	v_add_u32_e32 v4, v6, v8
	v_add_u32_e32 v6, v4, v9
	ds_write2_b32 v5, v4, v6 offset0:2 offset1:3
	v_add_u32_e32 v4, v6, v10
	v_add_u32_e32 v6, v4, v11
	ds_write2_b32 v5, v4, v6 offset0:4 offset1:5
	;; [unrolled: 3-line block ×3, first 2 shown]
.LBB30_2:
	s_or_b64 exec, exec, s[0:1]
	s_waitcnt lgkmcnt(0)
	s_barrier
	ds_read_b32 v1, v1
	s_mov_b32 s7, 0
	v_cmp_eq_u32_e32 vcc, 0, v0
	s_waitcnt lgkmcnt(0)
	global_store_dword v[2:3], v1, off
	s_and_saveexec_b64 s[0:1], vcc
	s_cbranch_execz .LBB30_4
; %bb.3:
	v_mov_b32_e32 v0, 0
	ds_read_b32 v1, v0 offset:2104
	s_lshl_b64 s[0:1], s[6:7], 2
	s_add_u32 s0, s2, s0
	s_addc_u32 s1, s3, s1
	s_waitcnt lgkmcnt(0)
	global_store_dword v0, v1, s[0:1]
.LBB30_4:
	s_endpgm
	.section	.rodata,"a",@progbits
	.p2align	6, 0x0
	.amdhsa_kernel _Z28inclusive_scan_reduce_kernelILj512ELN6hipcub18BlockScanAlgorithmE1EiEvPT1_S3_
		.amdhsa_group_segment_fixed_size 2112
		.amdhsa_private_segment_fixed_size 0
		.amdhsa_kernarg_size 16
		.amdhsa_user_sgpr_count 6
		.amdhsa_user_sgpr_private_segment_buffer 1
		.amdhsa_user_sgpr_dispatch_ptr 0
		.amdhsa_user_sgpr_queue_ptr 0
		.amdhsa_user_sgpr_kernarg_segment_ptr 1
		.amdhsa_user_sgpr_dispatch_id 0
		.amdhsa_user_sgpr_flat_scratch_init 0
		.amdhsa_user_sgpr_kernarg_preload_length 0
		.amdhsa_user_sgpr_kernarg_preload_offset 0
		.amdhsa_user_sgpr_private_segment_size 0
		.amdhsa_uses_dynamic_stack 0
		.amdhsa_system_sgpr_private_segment_wavefront_offset 0
		.amdhsa_system_sgpr_workgroup_id_x 1
		.amdhsa_system_sgpr_workgroup_id_y 0
		.amdhsa_system_sgpr_workgroup_id_z 0
		.amdhsa_system_sgpr_workgroup_info 0
		.amdhsa_system_vgpr_workitem_id 0
		.amdhsa_next_free_vgpr 18
		.amdhsa_next_free_sgpr 8
		.amdhsa_accum_offset 20
		.amdhsa_reserve_vcc 1
		.amdhsa_reserve_flat_scratch 0
		.amdhsa_float_round_mode_32 0
		.amdhsa_float_round_mode_16_64 0
		.amdhsa_float_denorm_mode_32 3
		.amdhsa_float_denorm_mode_16_64 3
		.amdhsa_dx10_clamp 1
		.amdhsa_ieee_mode 1
		.amdhsa_fp16_overflow 0
		.amdhsa_tg_split 0
		.amdhsa_exception_fp_ieee_invalid_op 0
		.amdhsa_exception_fp_denorm_src 0
		.amdhsa_exception_fp_ieee_div_zero 0
		.amdhsa_exception_fp_ieee_overflow 0
		.amdhsa_exception_fp_ieee_underflow 0
		.amdhsa_exception_fp_ieee_inexact 0
		.amdhsa_exception_int_div_zero 0
	.end_amdhsa_kernel
	.section	.text._Z28inclusive_scan_reduce_kernelILj512ELN6hipcub18BlockScanAlgorithmE1EiEvPT1_S3_,"axG",@progbits,_Z28inclusive_scan_reduce_kernelILj512ELN6hipcub18BlockScanAlgorithmE1EiEvPT1_S3_,comdat
.Lfunc_end30:
	.size	_Z28inclusive_scan_reduce_kernelILj512ELN6hipcub18BlockScanAlgorithmE1EiEvPT1_S3_, .Lfunc_end30-_Z28inclusive_scan_reduce_kernelILj512ELN6hipcub18BlockScanAlgorithmE1EiEvPT1_S3_
                                        ; -- End function
	.section	.AMDGPU.csdata,"",@progbits
; Kernel info:
; codeLenInByte = 540
; NumSgprs: 12
; NumVgprs: 18
; NumAgprs: 0
; TotalNumVgprs: 18
; ScratchSize: 0
; MemoryBound: 0
; FloatMode: 240
; IeeeMode: 1
; LDSByteSize: 2112 bytes/workgroup (compile time only)
; SGPRBlocks: 1
; VGPRBlocks: 2
; NumSGPRsForWavesPerEU: 12
; NumVGPRsForWavesPerEU: 18
; AccumOffset: 20
; Occupancy: 8
; WaveLimiterHint : 0
; COMPUTE_PGM_RSRC2:SCRATCH_EN: 0
; COMPUTE_PGM_RSRC2:USER_SGPR: 6
; COMPUTE_PGM_RSRC2:TRAP_HANDLER: 0
; COMPUTE_PGM_RSRC2:TGID_X_EN: 1
; COMPUTE_PGM_RSRC2:TGID_Y_EN: 0
; COMPUTE_PGM_RSRC2:TGID_Z_EN: 0
; COMPUTE_PGM_RSRC2:TIDIG_COMP_CNT: 0
; COMPUTE_PGM_RSRC3_GFX90A:ACCUM_OFFSET: 4
; COMPUTE_PGM_RSRC3_GFX90A:TG_SPLIT: 0
	.section	.text._Z28inclusive_scan_reduce_kernelILj256ELN6hipcub18BlockScanAlgorithmE1EiEvPT1_S3_,"axG",@progbits,_Z28inclusive_scan_reduce_kernelILj256ELN6hipcub18BlockScanAlgorithmE1EiEvPT1_S3_,comdat
	.protected	_Z28inclusive_scan_reduce_kernelILj256ELN6hipcub18BlockScanAlgorithmE1EiEvPT1_S3_ ; -- Begin function _Z28inclusive_scan_reduce_kernelILj256ELN6hipcub18BlockScanAlgorithmE1EiEvPT1_S3_
	.globl	_Z28inclusive_scan_reduce_kernelILj256ELN6hipcub18BlockScanAlgorithmE1EiEvPT1_S3_
	.p2align	8
	.type	_Z28inclusive_scan_reduce_kernelILj256ELN6hipcub18BlockScanAlgorithmE1EiEvPT1_S3_,@function
_Z28inclusive_scan_reduce_kernelILj256ELN6hipcub18BlockScanAlgorithmE1EiEvPT1_S3_: ; @_Z28inclusive_scan_reduce_kernelILj256ELN6hipcub18BlockScanAlgorithmE1EiEvPT1_S3_
; %bb.0:
	s_load_dwordx4 s[0:3], s[4:5], 0x0
	v_lshl_or_b32 v2, s6, 8, v0
	v_mov_b32_e32 v3, 0
	v_lshlrev_b64 v[2:3], 2, v[2:3]
	s_waitcnt lgkmcnt(0)
	v_mov_b32_e32 v1, s1
	v_add_co_u32_e32 v2, vcc, s0, v2
	v_addc_co_u32_e32 v3, vcc, v1, v3, vcc
	global_load_dword v4, v[2:3], off
	v_lshrrev_b32_e32 v1, 5, v0
	v_add_lshl_u32 v1, v1, v0, 2
	v_cmp_gt_u32_e32 vcc, 64, v0
	s_waitcnt vmcnt(0)
	ds_write_b32 v1, v4
	s_waitcnt lgkmcnt(0)
	s_barrier
	s_and_saveexec_b64 s[0:1], vcc
	s_cbranch_execz .LBB31_2
; %bb.1:
	v_lshlrev_b32_e32 v5, 2, v0
	v_lshrrev_b32_e32 v6, 3, v0
	v_add_lshl_u32 v5, v6, v5, 2
	ds_read2_b32 v[6:7], v5 offset1:1
	ds_read2_b32 v[8:9], v5 offset0:2 offset1:3
	v_mbcnt_lo_u32_b32 v10, -1, 0
	v_mbcnt_hi_u32_b32 v10, -1, v10
	v_and_b32_e32 v12, 15, v10
	s_waitcnt lgkmcnt(1)
	v_add_u32_e32 v11, v7, v6
	s_waitcnt lgkmcnt(0)
	v_add3_u32 v11, v11, v8, v9
	v_cmp_ne_u32_e32 vcc, 0, v12
	s_nop 0
	v_mov_b32_dpp v13, v11 row_shr:1 row_mask:0xf bank_mask:0xf
	v_cndmask_b32_e32 v13, 0, v13, vcc
	v_add_u32_e32 v11, v13, v11
	v_cmp_lt_u32_e32 vcc, 1, v12
	s_nop 0
	v_mov_b32_dpp v13, v11 row_shr:2 row_mask:0xf bank_mask:0xf
	v_cndmask_b32_e32 v13, 0, v13, vcc
	v_add_u32_e32 v11, v11, v13
	v_cmp_lt_u32_e32 vcc, 3, v12
	;; [unrolled: 5-line block ×3, first 2 shown]
	s_nop 0
	v_mov_b32_dpp v13, v11 row_shr:8 row_mask:0xf bank_mask:0xf
	v_cndmask_b32_e32 v12, 0, v13, vcc
	v_add_u32_e32 v11, v11, v12
	v_bfe_i32 v13, v10, 4, 1
	v_cmp_lt_u32_e32 vcc, 31, v10
	v_mov_b32_dpp v12, v11 row_bcast:15 row_mask:0xf bank_mask:0xf
	v_and_b32_e32 v12, v13, v12
	v_add_u32_e32 v11, v11, v12
	v_and_b32_e32 v13, 64, v10
	s_nop 0
	v_mov_b32_dpp v12, v11 row_bcast:31 row_mask:0xf bank_mask:0xf
	v_cndmask_b32_e32 v12, 0, v12, vcc
	v_add_u32_e32 v11, v11, v12
	v_add_u32_e32 v12, -1, v10
	v_cmp_lt_i32_e32 vcc, v12, v13
	v_cndmask_b32_e32 v10, v12, v10, vcc
	v_lshlrev_b32_e32 v10, 2, v10
	ds_bpermute_b32 v10, v10, v11
	v_cmp_eq_u32_e32 vcc, 0, v0
	s_waitcnt lgkmcnt(0)
	v_add_u32_e32 v6, v10, v6
	v_cndmask_b32_e32 v4, v6, v4, vcc
	v_add_u32_e32 v6, v4, v7
	ds_write2_b32 v5, v4, v6 offset1:1
	v_add_u32_e32 v4, v6, v8
	v_add_u32_e32 v6, v4, v9
	ds_write2_b32 v5, v4, v6 offset0:2 offset1:3
.LBB31_2:
	s_or_b64 exec, exec, s[0:1]
	s_waitcnt lgkmcnt(0)
	s_barrier
	ds_read_b32 v1, v1
	s_mov_b32 s7, 0
	v_cmp_eq_u32_e32 vcc, 0, v0
	s_waitcnt lgkmcnt(0)
	global_store_dword v[2:3], v1, off
	s_and_saveexec_b64 s[0:1], vcc
	s_cbranch_execz .LBB31_4
; %bb.3:
	v_mov_b32_e32 v0, 0
	ds_read_b32 v1, v0 offset:1048
	s_lshl_b64 s[0:1], s[6:7], 2
	s_add_u32 s0, s2, s0
	s_addc_u32 s1, s3, s1
	s_waitcnt lgkmcnt(0)
	global_store_dword v0, v1, s[0:1]
.LBB31_4:
	s_endpgm
	.section	.rodata,"a",@progbits
	.p2align	6, 0x0
	.amdhsa_kernel _Z28inclusive_scan_reduce_kernelILj256ELN6hipcub18BlockScanAlgorithmE1EiEvPT1_S3_
		.amdhsa_group_segment_fixed_size 1056
		.amdhsa_private_segment_fixed_size 0
		.amdhsa_kernarg_size 16
		.amdhsa_user_sgpr_count 6
		.amdhsa_user_sgpr_private_segment_buffer 1
		.amdhsa_user_sgpr_dispatch_ptr 0
		.amdhsa_user_sgpr_queue_ptr 0
		.amdhsa_user_sgpr_kernarg_segment_ptr 1
		.amdhsa_user_sgpr_dispatch_id 0
		.amdhsa_user_sgpr_flat_scratch_init 0
		.amdhsa_user_sgpr_kernarg_preload_length 0
		.amdhsa_user_sgpr_kernarg_preload_offset 0
		.amdhsa_user_sgpr_private_segment_size 0
		.amdhsa_uses_dynamic_stack 0
		.amdhsa_system_sgpr_private_segment_wavefront_offset 0
		.amdhsa_system_sgpr_workgroup_id_x 1
		.amdhsa_system_sgpr_workgroup_id_y 0
		.amdhsa_system_sgpr_workgroup_id_z 0
		.amdhsa_system_sgpr_workgroup_info 0
		.amdhsa_system_vgpr_workitem_id 0
		.amdhsa_next_free_vgpr 14
		.amdhsa_next_free_sgpr 8
		.amdhsa_accum_offset 16
		.amdhsa_reserve_vcc 1
		.amdhsa_reserve_flat_scratch 0
		.amdhsa_float_round_mode_32 0
		.amdhsa_float_round_mode_16_64 0
		.amdhsa_float_denorm_mode_32 3
		.amdhsa_float_denorm_mode_16_64 3
		.amdhsa_dx10_clamp 1
		.amdhsa_ieee_mode 1
		.amdhsa_fp16_overflow 0
		.amdhsa_tg_split 0
		.amdhsa_exception_fp_ieee_invalid_op 0
		.amdhsa_exception_fp_denorm_src 0
		.amdhsa_exception_fp_ieee_div_zero 0
		.amdhsa_exception_fp_ieee_overflow 0
		.amdhsa_exception_fp_ieee_underflow 0
		.amdhsa_exception_fp_ieee_inexact 0
		.amdhsa_exception_int_div_zero 0
	.end_amdhsa_kernel
	.section	.text._Z28inclusive_scan_reduce_kernelILj256ELN6hipcub18BlockScanAlgorithmE1EiEvPT1_S3_,"axG",@progbits,_Z28inclusive_scan_reduce_kernelILj256ELN6hipcub18BlockScanAlgorithmE1EiEvPT1_S3_,comdat
.Lfunc_end31:
	.size	_Z28inclusive_scan_reduce_kernelILj256ELN6hipcub18BlockScanAlgorithmE1EiEvPT1_S3_, .Lfunc_end31-_Z28inclusive_scan_reduce_kernelILj256ELN6hipcub18BlockScanAlgorithmE1EiEvPT1_S3_
                                        ; -- End function
	.section	.AMDGPU.csdata,"",@progbits
; Kernel info:
; codeLenInByte = 472
; NumSgprs: 12
; NumVgprs: 14
; NumAgprs: 0
; TotalNumVgprs: 14
; ScratchSize: 0
; MemoryBound: 0
; FloatMode: 240
; IeeeMode: 1
; LDSByteSize: 1056 bytes/workgroup (compile time only)
; SGPRBlocks: 1
; VGPRBlocks: 1
; NumSGPRsForWavesPerEU: 12
; NumVGPRsForWavesPerEU: 14
; AccumOffset: 16
; Occupancy: 8
; WaveLimiterHint : 0
; COMPUTE_PGM_RSRC2:SCRATCH_EN: 0
; COMPUTE_PGM_RSRC2:USER_SGPR: 6
; COMPUTE_PGM_RSRC2:TRAP_HANDLER: 0
; COMPUTE_PGM_RSRC2:TGID_X_EN: 1
; COMPUTE_PGM_RSRC2:TGID_Y_EN: 0
; COMPUTE_PGM_RSRC2:TGID_Z_EN: 0
; COMPUTE_PGM_RSRC2:TIDIG_COMP_CNT: 0
; COMPUTE_PGM_RSRC3_GFX90A:ACCUM_OFFSET: 3
; COMPUTE_PGM_RSRC3_GFX90A:TG_SPLIT: 0
	.section	.text._Z28inclusive_scan_reduce_kernelILj128ELN6hipcub18BlockScanAlgorithmE1EiEvPT1_S3_,"axG",@progbits,_Z28inclusive_scan_reduce_kernelILj128ELN6hipcub18BlockScanAlgorithmE1EiEvPT1_S3_,comdat
	.protected	_Z28inclusive_scan_reduce_kernelILj128ELN6hipcub18BlockScanAlgorithmE1EiEvPT1_S3_ ; -- Begin function _Z28inclusive_scan_reduce_kernelILj128ELN6hipcub18BlockScanAlgorithmE1EiEvPT1_S3_
	.globl	_Z28inclusive_scan_reduce_kernelILj128ELN6hipcub18BlockScanAlgorithmE1EiEvPT1_S3_
	.p2align	8
	.type	_Z28inclusive_scan_reduce_kernelILj128ELN6hipcub18BlockScanAlgorithmE1EiEvPT1_S3_,@function
_Z28inclusive_scan_reduce_kernelILj128ELN6hipcub18BlockScanAlgorithmE1EiEvPT1_S3_: ; @_Z28inclusive_scan_reduce_kernelILj128ELN6hipcub18BlockScanAlgorithmE1EiEvPT1_S3_
; %bb.0:
	s_load_dwordx4 s[0:3], s[4:5], 0x0
	v_lshl_or_b32 v2, s6, 7, v0
	v_mov_b32_e32 v3, 0
	v_lshlrev_b64 v[2:3], 2, v[2:3]
	s_waitcnt lgkmcnt(0)
	v_mov_b32_e32 v1, s1
	v_add_co_u32_e32 v2, vcc, s0, v2
	v_addc_co_u32_e32 v3, vcc, v1, v3, vcc
	global_load_dword v4, v[2:3], off
	v_lshrrev_b32_e32 v1, 5, v0
	v_add_lshl_u32 v1, v1, v0, 2
	v_cmp_gt_u32_e32 vcc, 64, v0
	s_waitcnt vmcnt(0)
	ds_write_b32 v1, v4
	s_waitcnt lgkmcnt(0)
	s_barrier
	s_and_saveexec_b64 s[0:1], vcc
	s_cbranch_execz .LBB32_2
; %bb.1:
	v_lshlrev_b32_e32 v5, 1, v0
	v_lshrrev_b32_e32 v6, 4, v0
	v_add_lshl_u32 v5, v6, v5, 2
	ds_read2_b32 v[6:7], v5 offset1:1
	v_mbcnt_lo_u32_b32 v8, -1, 0
	v_mbcnt_hi_u32_b32 v8, -1, v8
	v_and_b32_e32 v9, 15, v8
	v_cmp_ne_u32_e32 vcc, 0, v9
	s_waitcnt lgkmcnt(0)
	v_add_u32_e32 v10, v7, v6
	s_nop 1
	v_mov_b32_dpp v11, v10 row_shr:1 row_mask:0xf bank_mask:0xf
	v_cndmask_b32_e32 v11, 0, v11, vcc
	v_add_u32_e32 v10, v11, v10
	v_cmp_lt_u32_e32 vcc, 1, v9
	s_nop 0
	v_mov_b32_dpp v11, v10 row_shr:2 row_mask:0xf bank_mask:0xf
	v_cndmask_b32_e32 v11, 0, v11, vcc
	v_add_u32_e32 v10, v10, v11
	v_cmp_lt_u32_e32 vcc, 3, v9
	;; [unrolled: 5-line block ×3, first 2 shown]
	s_nop 0
	v_mov_b32_dpp v11, v10 row_shr:8 row_mask:0xf bank_mask:0xf
	v_cndmask_b32_e32 v9, 0, v11, vcc
	v_add_u32_e32 v9, v10, v9
	v_bfe_i32 v11, v8, 4, 1
	v_cmp_lt_u32_e32 vcc, 31, v8
	v_mov_b32_dpp v10, v9 row_bcast:15 row_mask:0xf bank_mask:0xf
	v_and_b32_e32 v10, v11, v10
	v_add_u32_e32 v9, v9, v10
	v_and_b32_e32 v11, 64, v8
	s_nop 0
	v_mov_b32_dpp v10, v9 row_bcast:31 row_mask:0xf bank_mask:0xf
	v_cndmask_b32_e32 v10, 0, v10, vcc
	v_add_u32_e32 v9, v9, v10
	v_add_u32_e32 v10, -1, v8
	v_cmp_lt_i32_e32 vcc, v10, v11
	v_cndmask_b32_e32 v8, v10, v8, vcc
	v_lshlrev_b32_e32 v8, 2, v8
	ds_bpermute_b32 v8, v8, v9
	v_cmp_eq_u32_e32 vcc, 0, v0
	s_waitcnt lgkmcnt(0)
	v_add_u32_e32 v6, v8, v6
	v_cndmask_b32_e32 v4, v6, v4, vcc
	v_add_u32_e32 v6, v4, v7
	ds_write2_b32 v5, v4, v6 offset1:1
.LBB32_2:
	s_or_b64 exec, exec, s[0:1]
	s_waitcnt lgkmcnt(0)
	s_barrier
	ds_read_b32 v1, v1
	s_mov_b32 s7, 0
	v_cmp_eq_u32_e32 vcc, 0, v0
	s_waitcnt lgkmcnt(0)
	global_store_dword v[2:3], v1, off
	s_and_saveexec_b64 s[0:1], vcc
	s_cbranch_execz .LBB32_4
; %bb.3:
	v_mov_b32_e32 v0, 0
	ds_read_b32 v1, v0 offset:520
	s_lshl_b64 s[0:1], s[6:7], 2
	s_add_u32 s0, s2, s0
	s_addc_u32 s1, s3, s1
	s_waitcnt lgkmcnt(0)
	global_store_dword v0, v1, s[0:1]
.LBB32_4:
	s_endpgm
	.section	.rodata,"a",@progbits
	.p2align	6, 0x0
	.amdhsa_kernel _Z28inclusive_scan_reduce_kernelILj128ELN6hipcub18BlockScanAlgorithmE1EiEvPT1_S3_
		.amdhsa_group_segment_fixed_size 528
		.amdhsa_private_segment_fixed_size 0
		.amdhsa_kernarg_size 16
		.amdhsa_user_sgpr_count 6
		.amdhsa_user_sgpr_private_segment_buffer 1
		.amdhsa_user_sgpr_dispatch_ptr 0
		.amdhsa_user_sgpr_queue_ptr 0
		.amdhsa_user_sgpr_kernarg_segment_ptr 1
		.amdhsa_user_sgpr_dispatch_id 0
		.amdhsa_user_sgpr_flat_scratch_init 0
		.amdhsa_user_sgpr_kernarg_preload_length 0
		.amdhsa_user_sgpr_kernarg_preload_offset 0
		.amdhsa_user_sgpr_private_segment_size 0
		.amdhsa_uses_dynamic_stack 0
		.amdhsa_system_sgpr_private_segment_wavefront_offset 0
		.amdhsa_system_sgpr_workgroup_id_x 1
		.amdhsa_system_sgpr_workgroup_id_y 0
		.amdhsa_system_sgpr_workgroup_id_z 0
		.amdhsa_system_sgpr_workgroup_info 0
		.amdhsa_system_vgpr_workitem_id 0
		.amdhsa_next_free_vgpr 12
		.amdhsa_next_free_sgpr 8
		.amdhsa_accum_offset 12
		.amdhsa_reserve_vcc 1
		.amdhsa_reserve_flat_scratch 0
		.amdhsa_float_round_mode_32 0
		.amdhsa_float_round_mode_16_64 0
		.amdhsa_float_denorm_mode_32 3
		.amdhsa_float_denorm_mode_16_64 3
		.amdhsa_dx10_clamp 1
		.amdhsa_ieee_mode 1
		.amdhsa_fp16_overflow 0
		.amdhsa_tg_split 0
		.amdhsa_exception_fp_ieee_invalid_op 0
		.amdhsa_exception_fp_denorm_src 0
		.amdhsa_exception_fp_ieee_div_zero 0
		.amdhsa_exception_fp_ieee_overflow 0
		.amdhsa_exception_fp_ieee_underflow 0
		.amdhsa_exception_fp_ieee_inexact 0
		.amdhsa_exception_int_div_zero 0
	.end_amdhsa_kernel
	.section	.text._Z28inclusive_scan_reduce_kernelILj128ELN6hipcub18BlockScanAlgorithmE1EiEvPT1_S3_,"axG",@progbits,_Z28inclusive_scan_reduce_kernelILj128ELN6hipcub18BlockScanAlgorithmE1EiEvPT1_S3_,comdat
.Lfunc_end32:
	.size	_Z28inclusive_scan_reduce_kernelILj128ELN6hipcub18BlockScanAlgorithmE1EiEvPT1_S3_, .Lfunc_end32-_Z28inclusive_scan_reduce_kernelILj128ELN6hipcub18BlockScanAlgorithmE1EiEvPT1_S3_
                                        ; -- End function
	.section	.AMDGPU.csdata,"",@progbits
; Kernel info:
; codeLenInByte = 436
; NumSgprs: 12
; NumVgprs: 12
; NumAgprs: 0
; TotalNumVgprs: 12
; ScratchSize: 0
; MemoryBound: 0
; FloatMode: 240
; IeeeMode: 1
; LDSByteSize: 528 bytes/workgroup (compile time only)
; SGPRBlocks: 1
; VGPRBlocks: 1
; NumSGPRsForWavesPerEU: 12
; NumVGPRsForWavesPerEU: 12
; AccumOffset: 12
; Occupancy: 8
; WaveLimiterHint : 0
; COMPUTE_PGM_RSRC2:SCRATCH_EN: 0
; COMPUTE_PGM_RSRC2:USER_SGPR: 6
; COMPUTE_PGM_RSRC2:TRAP_HANDLER: 0
; COMPUTE_PGM_RSRC2:TGID_X_EN: 1
; COMPUTE_PGM_RSRC2:TGID_Y_EN: 0
; COMPUTE_PGM_RSRC2:TGID_Z_EN: 0
; COMPUTE_PGM_RSRC2:TIDIG_COMP_CNT: 0
; COMPUTE_PGM_RSRC3_GFX90A:ACCUM_OFFSET: 2
; COMPUTE_PGM_RSRC3_GFX90A:TG_SPLIT: 0
	.section	.text._Z28inclusive_scan_reduce_kernelILj64ELN6hipcub18BlockScanAlgorithmE1EiEvPT1_S3_,"axG",@progbits,_Z28inclusive_scan_reduce_kernelILj64ELN6hipcub18BlockScanAlgorithmE1EiEvPT1_S3_,comdat
	.protected	_Z28inclusive_scan_reduce_kernelILj64ELN6hipcub18BlockScanAlgorithmE1EiEvPT1_S3_ ; -- Begin function _Z28inclusive_scan_reduce_kernelILj64ELN6hipcub18BlockScanAlgorithmE1EiEvPT1_S3_
	.globl	_Z28inclusive_scan_reduce_kernelILj64ELN6hipcub18BlockScanAlgorithmE1EiEvPT1_S3_
	.p2align	8
	.type	_Z28inclusive_scan_reduce_kernelILj64ELN6hipcub18BlockScanAlgorithmE1EiEvPT1_S3_,@function
_Z28inclusive_scan_reduce_kernelILj64ELN6hipcub18BlockScanAlgorithmE1EiEvPT1_S3_: ; @_Z28inclusive_scan_reduce_kernelILj64ELN6hipcub18BlockScanAlgorithmE1EiEvPT1_S3_
; %bb.0:
	s_load_dwordx4 s[0:3], s[4:5], 0x0
	v_lshl_or_b32 v2, s6, 6, v0
	v_mov_b32_e32 v3, 0
	v_lshlrev_b64 v[4:5], 2, v[2:3]
	v_mbcnt_lo_u32_b32 v2, -1, 0
	s_waitcnt lgkmcnt(0)
	v_mov_b32_e32 v1, s1
	v_add_co_u32_e32 v4, vcc, s0, v4
	v_addc_co_u32_e32 v5, vcc, v1, v5, vcc
	global_load_dword v1, v[4:5], off
	v_mbcnt_hi_u32_b32 v2, -1, v2
	v_and_b32_e32 v6, 15, v2
	v_cmp_ne_u32_e32 vcc, 0, v6
	v_bfe_i32 v7, v2, 4, 1
	s_waitcnt vmcnt(0)
	v_mov_b32_dpp v8, v1 row_shr:1 row_mask:0xf bank_mask:0xf
	v_cndmask_b32_e32 v8, 0, v8, vcc
	v_add_u32_e32 v1, v8, v1
	v_cmp_lt_u32_e32 vcc, 1, v6
	s_nop 0
	v_mov_b32_dpp v8, v1 row_shr:2 row_mask:0xf bank_mask:0xf
	v_cndmask_b32_e32 v8, 0, v8, vcc
	v_add_u32_e32 v1, v1, v8
	v_cmp_lt_u32_e32 vcc, 3, v6
	s_nop 0
	;; [unrolled: 5-line block ×4, first 2 shown]
	v_mov_b32_dpp v6, v1 row_bcast:15 row_mask:0xf bank_mask:0xf
	v_and_b32_e32 v6, v7, v6
	v_add_u32_e32 v1, v1, v6
	s_nop 1
	v_mov_b32_dpp v6, v1 row_bcast:31 row_mask:0xf bank_mask:0xf
	v_cndmask_b32_e32 v2, 0, v6, vcc
	v_add_u32_e32 v1, v1, v2
	v_cmp_eq_u32_e32 vcc, 63, v0
	s_and_saveexec_b64 s[0:1], vcc
	s_cbranch_execz .LBB33_2
; %bb.1:
	ds_write_b32 v3, v1
.LBB33_2:
	s_or_b64 exec, exec, s[0:1]
	v_cmp_eq_u32_e32 vcc, 0, v0
	s_waitcnt lgkmcnt(0)
	; wave barrier
	s_waitcnt lgkmcnt(0)
	global_store_dword v[4:5], v1, off
	s_and_saveexec_b64 s[0:1], vcc
	s_cbranch_execz .LBB33_4
; %bb.3:
	v_mov_b32_e32 v0, 0
	ds_read_b32 v1, v0
	s_mov_b32 s7, 0
	s_lshl_b64 s[0:1], s[6:7], 2
	s_add_u32 s0, s2, s0
	s_addc_u32 s1, s3, s1
	s_waitcnt lgkmcnt(0)
	global_store_dword v0, v1, s[0:1]
.LBB33_4:
	s_endpgm
	.section	.rodata,"a",@progbits
	.p2align	6, 0x0
	.amdhsa_kernel _Z28inclusive_scan_reduce_kernelILj64ELN6hipcub18BlockScanAlgorithmE1EiEvPT1_S3_
		.amdhsa_group_segment_fixed_size 4
		.amdhsa_private_segment_fixed_size 0
		.amdhsa_kernarg_size 16
		.amdhsa_user_sgpr_count 6
		.amdhsa_user_sgpr_private_segment_buffer 1
		.amdhsa_user_sgpr_dispatch_ptr 0
		.amdhsa_user_sgpr_queue_ptr 0
		.amdhsa_user_sgpr_kernarg_segment_ptr 1
		.amdhsa_user_sgpr_dispatch_id 0
		.amdhsa_user_sgpr_flat_scratch_init 0
		.amdhsa_user_sgpr_kernarg_preload_length 0
		.amdhsa_user_sgpr_kernarg_preload_offset 0
		.amdhsa_user_sgpr_private_segment_size 0
		.amdhsa_uses_dynamic_stack 0
		.amdhsa_system_sgpr_private_segment_wavefront_offset 0
		.amdhsa_system_sgpr_workgroup_id_x 1
		.amdhsa_system_sgpr_workgroup_id_y 0
		.amdhsa_system_sgpr_workgroup_id_z 0
		.amdhsa_system_sgpr_workgroup_info 0
		.amdhsa_system_vgpr_workitem_id 0
		.amdhsa_next_free_vgpr 9
		.amdhsa_next_free_sgpr 8
		.amdhsa_accum_offset 12
		.amdhsa_reserve_vcc 1
		.amdhsa_reserve_flat_scratch 0
		.amdhsa_float_round_mode_32 0
		.amdhsa_float_round_mode_16_64 0
		.amdhsa_float_denorm_mode_32 3
		.amdhsa_float_denorm_mode_16_64 3
		.amdhsa_dx10_clamp 1
		.amdhsa_ieee_mode 1
		.amdhsa_fp16_overflow 0
		.amdhsa_tg_split 0
		.amdhsa_exception_fp_ieee_invalid_op 0
		.amdhsa_exception_fp_denorm_src 0
		.amdhsa_exception_fp_ieee_div_zero 0
		.amdhsa_exception_fp_ieee_overflow 0
		.amdhsa_exception_fp_ieee_underflow 0
		.amdhsa_exception_fp_ieee_inexact 0
		.amdhsa_exception_int_div_zero 0
	.end_amdhsa_kernel
	.section	.text._Z28inclusive_scan_reduce_kernelILj64ELN6hipcub18BlockScanAlgorithmE1EiEvPT1_S3_,"axG",@progbits,_Z28inclusive_scan_reduce_kernelILj64ELN6hipcub18BlockScanAlgorithmE1EiEvPT1_S3_,comdat
.Lfunc_end33:
	.size	_Z28inclusive_scan_reduce_kernelILj64ELN6hipcub18BlockScanAlgorithmE1EiEvPT1_S3_, .Lfunc_end33-_Z28inclusive_scan_reduce_kernelILj64ELN6hipcub18BlockScanAlgorithmE1EiEvPT1_S3_
                                        ; -- End function
	.section	.AMDGPU.csdata,"",@progbits
; Kernel info:
; codeLenInByte = 316
; NumSgprs: 12
; NumVgprs: 9
; NumAgprs: 0
; TotalNumVgprs: 9
; ScratchSize: 0
; MemoryBound: 0
; FloatMode: 240
; IeeeMode: 1
; LDSByteSize: 4 bytes/workgroup (compile time only)
; SGPRBlocks: 1
; VGPRBlocks: 1
; NumSGPRsForWavesPerEU: 12
; NumVGPRsForWavesPerEU: 9
; AccumOffset: 12
; Occupancy: 8
; WaveLimiterHint : 0
; COMPUTE_PGM_RSRC2:SCRATCH_EN: 0
; COMPUTE_PGM_RSRC2:USER_SGPR: 6
; COMPUTE_PGM_RSRC2:TRAP_HANDLER: 0
; COMPUTE_PGM_RSRC2:TGID_X_EN: 1
; COMPUTE_PGM_RSRC2:TGID_Y_EN: 0
; COMPUTE_PGM_RSRC2:TGID_Z_EN: 0
; COMPUTE_PGM_RSRC2:TIDIG_COMP_CNT: 0
; COMPUTE_PGM_RSRC3_GFX90A:ACCUM_OFFSET: 2
; COMPUTE_PGM_RSRC3_GFX90A:TG_SPLIT: 0
	.section	.text._Z28inclusive_scan_reduce_kernelILj377ELN6hipcub18BlockScanAlgorithmE0ElEvPT1_S3_,"axG",@progbits,_Z28inclusive_scan_reduce_kernelILj377ELN6hipcub18BlockScanAlgorithmE0ElEvPT1_S3_,comdat
	.protected	_Z28inclusive_scan_reduce_kernelILj377ELN6hipcub18BlockScanAlgorithmE0ElEvPT1_S3_ ; -- Begin function _Z28inclusive_scan_reduce_kernelILj377ELN6hipcub18BlockScanAlgorithmE0ElEvPT1_S3_
	.globl	_Z28inclusive_scan_reduce_kernelILj377ELN6hipcub18BlockScanAlgorithmE0ElEvPT1_S3_
	.p2align	8
	.type	_Z28inclusive_scan_reduce_kernelILj377ELN6hipcub18BlockScanAlgorithmE0ElEvPT1_S3_,@function
_Z28inclusive_scan_reduce_kernelILj377ELN6hipcub18BlockScanAlgorithmE0ElEvPT1_S3_: ; @_Z28inclusive_scan_reduce_kernelILj377ELN6hipcub18BlockScanAlgorithmE0ElEvPT1_S3_
; %bb.0:
	s_load_dwordx4 s[0:3], s[4:5], 0x0
	s_mul_i32 s4, s6, 0x179
	v_add_u32_e32 v2, s4, v0
	v_mov_b32_e32 v3, 0
	v_lshlrev_b64 v[2:3], 3, v[2:3]
	s_waitcnt lgkmcnt(0)
	v_mov_b32_e32 v1, s1
	v_add_co_u32_e32 v2, vcc, s0, v2
	v_addc_co_u32_e32 v3, vcc, v1, v3, vcc
	global_load_dwordx2 v[4:5], v[2:3], off
	v_mbcnt_lo_u32_b32 v1, -1, 0
	v_mbcnt_hi_u32_b32 v7, -1, v1
	v_and_b32_e32 v1, 15, v7
	v_and_b32_e32 v9, 16, v7
	v_cmp_ne_u32_e64 s[0:1], 0, v7
	s_waitcnt vmcnt(0)
	v_mov_b32_dpp v6, v4 row_shr:1 row_mask:0xf bank_mask:0xf
	v_add_co_u32_e32 v6, vcc, v4, v6
	v_addc_co_u32_e32 v10, vcc, 0, v5, vcc
	v_mov_b32_dpp v8, v5 row_shr:1 row_mask:0xf bank_mask:0xf
	v_add_co_u32_e32 v11, vcc, 0, v6
	v_addc_co_u32_e32 v8, vcc, v8, v10, vcc
	v_cmp_eq_u32_e32 vcc, 0, v1
	v_cndmask_b32_e32 v6, v6, v4, vcc
	v_cndmask_b32_e32 v8, v8, v5, vcc
	v_cndmask_b32_e32 v10, v11, v4, vcc
	v_mov_b32_dpp v11, v6 row_shr:2 row_mask:0xf bank_mask:0xf
	v_mov_b32_dpp v12, v8 row_shr:2 row_mask:0xf bank_mask:0xf
	v_add_co_u32_e32 v11, vcc, v11, v10
	v_addc_co_u32_e32 v12, vcc, v12, v8, vcc
	v_cmp_lt_u32_e32 vcc, 1, v1
	v_cndmask_b32_e32 v6, v6, v11, vcc
	v_cndmask_b32_e32 v8, v8, v12, vcc
	v_cndmask_b32_e32 v10, v10, v11, vcc
	v_mov_b32_dpp v11, v6 row_shr:4 row_mask:0xf bank_mask:0xf
	v_mov_b32_dpp v12, v8 row_shr:4 row_mask:0xf bank_mask:0xf
	v_add_co_u32_e32 v11, vcc, v11, v10
	v_addc_co_u32_e32 v12, vcc, v12, v8, vcc
	v_cmp_lt_u32_e32 vcc, 3, v1
	;; [unrolled: 8-line block ×3, first 2 shown]
	v_cndmask_b32_e32 v13, v6, v11, vcc
	v_cndmask_b32_e32 v1, v8, v12, vcc
	;; [unrolled: 1-line block ×3, first 2 shown]
	v_mov_b32_dpp v8, v13 row_bcast:15 row_mask:0xf bank_mask:0xf
	v_mov_b32_dpp v10, v1 row_bcast:15 row_mask:0xf bank_mask:0xf
	v_add_co_u32_e32 v8, vcc, v8, v6
	v_addc_co_u32_e32 v10, vcc, v10, v1, vcc
	v_cmp_eq_u32_e32 vcc, 0, v9
	v_cndmask_b32_e32 v11, v10, v1, vcc
	v_cndmask_b32_e32 v9, v8, v13, vcc
	s_nop 0
	v_mov_b32_dpp v11, v11 row_bcast:31 row_mask:0xf bank_mask:0xf
	v_mov_b32_dpp v9, v9 row_bcast:31 row_mask:0xf bank_mask:0xf
	s_and_saveexec_b64 s[4:5], s[0:1]
; %bb.1:
	v_cndmask_b32_e32 v1, v10, v1, vcc
	v_cndmask_b32_e32 v4, v8, v6, vcc
	v_cmp_lt_u32_e32 vcc, 31, v7
	v_cndmask_b32_e32 v6, 0, v9, vcc
	v_cndmask_b32_e32 v5, 0, v11, vcc
	v_add_co_u32_e32 v4, vcc, v6, v4
	v_addc_co_u32_e32 v5, vcc, v5, v1, vcc
; %bb.2:
	s_or_b64 exec, exec, s[4:5]
	v_and_b32_e32 v6, 0x1c0, v0
	v_min_u32_e32 v6, 0x139, v6
	v_add_u32_e32 v6, 63, v6
	v_lshrrev_b32_e32 v1, 6, v0
	v_cmp_eq_u32_e32 vcc, v6, v0
	s_and_saveexec_b64 s[0:1], vcc
	s_cbranch_execz .LBB34_4
; %bb.3:
	v_lshlrev_b32_e32 v6, 3, v1
	ds_write_b64 v6, v[4:5]
.LBB34_4:
	s_or_b64 exec, exec, s[0:1]
	v_cmp_gt_u32_e32 vcc, 6, v0
	s_waitcnt lgkmcnt(0)
	s_barrier
	s_and_saveexec_b64 s[0:1], vcc
	s_cbranch_execz .LBB34_6
; %bb.5:
	v_lshlrev_b32_e32 v10, 3, v0
	ds_read_b64 v[8:9], v10
	v_and_b32_e32 v6, 7, v7
	s_waitcnt lgkmcnt(0)
	v_mov_b32_dpp v7, v8 row_shr:1 row_mask:0xf bank_mask:0xf
	v_add_co_u32_e32 v7, vcc, v8, v7
	v_addc_co_u32_e32 v12, vcc, 0, v9, vcc
	v_mov_b32_dpp v11, v9 row_shr:1 row_mask:0xf bank_mask:0xf
	v_add_co_u32_e32 v13, vcc, 0, v7
	v_addc_co_u32_e32 v11, vcc, v11, v12, vcc
	v_cmp_eq_u32_e32 vcc, 0, v6
	v_cndmask_b32_e32 v7, v7, v8, vcc
	v_cndmask_b32_e32 v9, v11, v9, vcc
	;; [unrolled: 1-line block ×3, first 2 shown]
	v_mov_b32_dpp v8, v7 row_shr:2 row_mask:0xf bank_mask:0xf
	v_add_co_u32_e32 v8, vcc, v11, v8
	v_addc_co_u32_e32 v13, vcc, 0, v9, vcc
	v_mov_b32_dpp v12, v9 row_shr:2 row_mask:0xf bank_mask:0xf
	v_add_co_u32_e32 v14, vcc, 0, v8
	v_addc_co_u32_e32 v12, vcc, v13, v12, vcc
	v_cmp_lt_u32_e32 vcc, 1, v6
	v_cndmask_b32_e32 v7, v7, v8, vcc
	v_cndmask_b32_e32 v9, v9, v12, vcc
	v_cndmask_b32_e32 v11, v11, v14, vcc
	v_mov_b32_dpp v7, v7 row_shr:4 row_mask:0xf bank_mask:0xf
	v_cmp_lt_u32_e32 vcc, 3, v6
	v_mov_b32_dpp v8, v9 row_shr:4 row_mask:0xf bank_mask:0xf
	v_cndmask_b32_e32 v6, 0, v7, vcc
	v_cndmask_b32_e32 v7, 0, v8, vcc
	v_add_co_u32_e32 v6, vcc, v6, v11
	v_addc_co_u32_e32 v7, vcc, v7, v9, vcc
	ds_write_b64 v10, v[6:7]
.LBB34_6:
	s_or_b64 exec, exec, s[0:1]
	v_cmp_lt_u32_e32 vcc, 63, v0
	s_waitcnt lgkmcnt(0)
	s_barrier
	s_and_saveexec_b64 s[0:1], vcc
	s_cbranch_execz .LBB34_8
; %bb.7:
	v_lshl_add_u32 v1, v1, 3, -8
	ds_read_b64 v[6:7], v1
	s_waitcnt lgkmcnt(0)
	v_add_co_u32_e32 v4, vcc, v6, v4
	v_addc_co_u32_e32 v5, vcc, v7, v5, vcc
.LBB34_8:
	s_or_b64 exec, exec, s[0:1]
	s_mov_b32 s7, 0
	v_cmp_eq_u32_e32 vcc, 0, v0
	global_store_dwordx2 v[2:3], v[4:5], off
	s_and_saveexec_b64 s[0:1], vcc
	s_cbranch_execz .LBB34_10
; %bb.9:
	v_mov_b32_e32 v2, 0
	ds_read_b64 v[0:1], v2 offset:40
	s_lshl_b64 s[0:1], s[6:7], 3
	s_add_u32 s0, s2, s0
	s_addc_u32 s1, s3, s1
	s_waitcnt lgkmcnt(0)
	global_store_dwordx2 v2, v[0:1], s[0:1]
.LBB34_10:
	s_endpgm
	.section	.rodata,"a",@progbits
	.p2align	6, 0x0
	.amdhsa_kernel _Z28inclusive_scan_reduce_kernelILj377ELN6hipcub18BlockScanAlgorithmE0ElEvPT1_S3_
		.amdhsa_group_segment_fixed_size 48
		.amdhsa_private_segment_fixed_size 0
		.amdhsa_kernarg_size 16
		.amdhsa_user_sgpr_count 6
		.amdhsa_user_sgpr_private_segment_buffer 1
		.amdhsa_user_sgpr_dispatch_ptr 0
		.amdhsa_user_sgpr_queue_ptr 0
		.amdhsa_user_sgpr_kernarg_segment_ptr 1
		.amdhsa_user_sgpr_dispatch_id 0
		.amdhsa_user_sgpr_flat_scratch_init 0
		.amdhsa_user_sgpr_kernarg_preload_length 0
		.amdhsa_user_sgpr_kernarg_preload_offset 0
		.amdhsa_user_sgpr_private_segment_size 0
		.amdhsa_uses_dynamic_stack 0
		.amdhsa_system_sgpr_private_segment_wavefront_offset 0
		.amdhsa_system_sgpr_workgroup_id_x 1
		.amdhsa_system_sgpr_workgroup_id_y 0
		.amdhsa_system_sgpr_workgroup_id_z 0
		.amdhsa_system_sgpr_workgroup_info 0
		.amdhsa_system_vgpr_workitem_id 0
		.amdhsa_next_free_vgpr 15
		.amdhsa_next_free_sgpr 8
		.amdhsa_accum_offset 16
		.amdhsa_reserve_vcc 1
		.amdhsa_reserve_flat_scratch 0
		.amdhsa_float_round_mode_32 0
		.amdhsa_float_round_mode_16_64 0
		.amdhsa_float_denorm_mode_32 3
		.amdhsa_float_denorm_mode_16_64 3
		.amdhsa_dx10_clamp 1
		.amdhsa_ieee_mode 1
		.amdhsa_fp16_overflow 0
		.amdhsa_tg_split 0
		.amdhsa_exception_fp_ieee_invalid_op 0
		.amdhsa_exception_fp_denorm_src 0
		.amdhsa_exception_fp_ieee_div_zero 0
		.amdhsa_exception_fp_ieee_overflow 0
		.amdhsa_exception_fp_ieee_underflow 0
		.amdhsa_exception_fp_ieee_inexact 0
		.amdhsa_exception_int_div_zero 0
	.end_amdhsa_kernel
	.section	.text._Z28inclusive_scan_reduce_kernelILj377ELN6hipcub18BlockScanAlgorithmE0ElEvPT1_S3_,"axG",@progbits,_Z28inclusive_scan_reduce_kernelILj377ELN6hipcub18BlockScanAlgorithmE0ElEvPT1_S3_,comdat
.Lfunc_end34:
	.size	_Z28inclusive_scan_reduce_kernelILj377ELN6hipcub18BlockScanAlgorithmE0ElEvPT1_S3_, .Lfunc_end34-_Z28inclusive_scan_reduce_kernelILj377ELN6hipcub18BlockScanAlgorithmE0ElEvPT1_S3_
                                        ; -- End function
	.section	.AMDGPU.csdata,"",@progbits
; Kernel info:
; codeLenInByte = 704
; NumSgprs: 12
; NumVgprs: 15
; NumAgprs: 0
; TotalNumVgprs: 15
; ScratchSize: 0
; MemoryBound: 0
; FloatMode: 240
; IeeeMode: 1
; LDSByteSize: 48 bytes/workgroup (compile time only)
; SGPRBlocks: 1
; VGPRBlocks: 1
; NumSGPRsForWavesPerEU: 12
; NumVGPRsForWavesPerEU: 15
; AccumOffset: 16
; Occupancy: 8
; WaveLimiterHint : 0
; COMPUTE_PGM_RSRC2:SCRATCH_EN: 0
; COMPUTE_PGM_RSRC2:USER_SGPR: 6
; COMPUTE_PGM_RSRC2:TRAP_HANDLER: 0
; COMPUTE_PGM_RSRC2:TGID_X_EN: 1
; COMPUTE_PGM_RSRC2:TGID_Y_EN: 0
; COMPUTE_PGM_RSRC2:TGID_Z_EN: 0
; COMPUTE_PGM_RSRC2:TIDIG_COMP_CNT: 0
; COMPUTE_PGM_RSRC3_GFX90A:ACCUM_OFFSET: 3
; COMPUTE_PGM_RSRC3_GFX90A:TG_SPLIT: 0
	.section	.text._Z28inclusive_scan_reduce_kernelILj256ELN6hipcub18BlockScanAlgorithmE0ElEvPT1_S3_,"axG",@progbits,_Z28inclusive_scan_reduce_kernelILj256ELN6hipcub18BlockScanAlgorithmE0ElEvPT1_S3_,comdat
	.protected	_Z28inclusive_scan_reduce_kernelILj256ELN6hipcub18BlockScanAlgorithmE0ElEvPT1_S3_ ; -- Begin function _Z28inclusive_scan_reduce_kernelILj256ELN6hipcub18BlockScanAlgorithmE0ElEvPT1_S3_
	.globl	_Z28inclusive_scan_reduce_kernelILj256ELN6hipcub18BlockScanAlgorithmE0ElEvPT1_S3_
	.p2align	8
	.type	_Z28inclusive_scan_reduce_kernelILj256ELN6hipcub18BlockScanAlgorithmE0ElEvPT1_S3_,@function
_Z28inclusive_scan_reduce_kernelILj256ELN6hipcub18BlockScanAlgorithmE0ElEvPT1_S3_: ; @_Z28inclusive_scan_reduce_kernelILj256ELN6hipcub18BlockScanAlgorithmE0ElEvPT1_S3_
; %bb.0:
	s_load_dwordx4 s[0:3], s[4:5], 0x0
	v_lshl_or_b32 v2, s6, 8, v0
	v_mov_b32_e32 v3, 0
	v_lshlrev_b64 v[2:3], 3, v[2:3]
	s_waitcnt lgkmcnt(0)
	v_mov_b32_e32 v1, s1
	v_add_co_u32_e32 v2, vcc, s0, v2
	v_addc_co_u32_e32 v3, vcc, v1, v3, vcc
	global_load_dwordx2 v[4:5], v[2:3], off
	v_mbcnt_lo_u32_b32 v1, -1, 0
	v_mbcnt_hi_u32_b32 v7, -1, v1
	v_and_b32_e32 v1, 15, v7
	v_and_b32_e32 v9, 16, v7
	v_cmp_ne_u32_e64 s[0:1], 0, v7
	s_waitcnt vmcnt(0)
	v_mov_b32_dpp v6, v4 row_shr:1 row_mask:0xf bank_mask:0xf
	v_add_co_u32_e32 v6, vcc, v4, v6
	v_addc_co_u32_e32 v10, vcc, 0, v5, vcc
	v_mov_b32_dpp v8, v5 row_shr:1 row_mask:0xf bank_mask:0xf
	v_add_co_u32_e32 v11, vcc, 0, v6
	v_addc_co_u32_e32 v8, vcc, v8, v10, vcc
	v_cmp_eq_u32_e32 vcc, 0, v1
	v_cndmask_b32_e32 v6, v6, v4, vcc
	v_cndmask_b32_e32 v8, v8, v5, vcc
	v_cndmask_b32_e32 v10, v11, v4, vcc
	v_mov_b32_dpp v11, v6 row_shr:2 row_mask:0xf bank_mask:0xf
	v_mov_b32_dpp v12, v8 row_shr:2 row_mask:0xf bank_mask:0xf
	v_add_co_u32_e32 v11, vcc, v11, v10
	v_addc_co_u32_e32 v12, vcc, v12, v8, vcc
	v_cmp_lt_u32_e32 vcc, 1, v1
	v_cndmask_b32_e32 v6, v6, v11, vcc
	v_cndmask_b32_e32 v8, v8, v12, vcc
	v_cndmask_b32_e32 v10, v10, v11, vcc
	v_mov_b32_dpp v11, v6 row_shr:4 row_mask:0xf bank_mask:0xf
	v_mov_b32_dpp v12, v8 row_shr:4 row_mask:0xf bank_mask:0xf
	v_add_co_u32_e32 v11, vcc, v11, v10
	v_addc_co_u32_e32 v12, vcc, v12, v8, vcc
	v_cmp_lt_u32_e32 vcc, 3, v1
	;; [unrolled: 8-line block ×3, first 2 shown]
	v_cndmask_b32_e32 v13, v6, v11, vcc
	v_cndmask_b32_e32 v1, v8, v12, vcc
	;; [unrolled: 1-line block ×3, first 2 shown]
	v_mov_b32_dpp v8, v13 row_bcast:15 row_mask:0xf bank_mask:0xf
	v_mov_b32_dpp v10, v1 row_bcast:15 row_mask:0xf bank_mask:0xf
	v_add_co_u32_e32 v8, vcc, v8, v6
	v_addc_co_u32_e32 v10, vcc, v10, v1, vcc
	v_cmp_eq_u32_e32 vcc, 0, v9
	v_cndmask_b32_e32 v11, v10, v1, vcc
	v_cndmask_b32_e32 v9, v8, v13, vcc
	s_nop 0
	v_mov_b32_dpp v11, v11 row_bcast:31 row_mask:0xf bank_mask:0xf
	v_mov_b32_dpp v9, v9 row_bcast:31 row_mask:0xf bank_mask:0xf
	s_and_saveexec_b64 s[4:5], s[0:1]
; %bb.1:
	v_cndmask_b32_e32 v1, v10, v1, vcc
	v_cndmask_b32_e32 v4, v8, v6, vcc
	v_cmp_lt_u32_e32 vcc, 31, v7
	v_cndmask_b32_e32 v6, 0, v9, vcc
	v_cndmask_b32_e32 v5, 0, v11, vcc
	v_add_co_u32_e32 v4, vcc, v6, v4
	v_addc_co_u32_e32 v5, vcc, v5, v1, vcc
; %bb.2:
	s_or_b64 exec, exec, s[4:5]
	v_or_b32_e32 v6, 63, v0
	v_lshrrev_b32_e32 v1, 6, v0
	v_cmp_eq_u32_e32 vcc, v6, v0
	s_and_saveexec_b64 s[0:1], vcc
	s_cbranch_execz .LBB35_4
; %bb.3:
	v_lshlrev_b32_e32 v6, 3, v1
	ds_write_b64 v6, v[4:5]
.LBB35_4:
	s_or_b64 exec, exec, s[0:1]
	v_cmp_gt_u32_e32 vcc, 4, v0
	s_waitcnt lgkmcnt(0)
	s_barrier
	s_and_saveexec_b64 s[0:1], vcc
	s_cbranch_execz .LBB35_6
; %bb.5:
	v_lshlrev_b32_e32 v10, 3, v0
	ds_read_b64 v[8:9], v10
	v_and_b32_e32 v6, 3, v7
	s_waitcnt lgkmcnt(0)
	v_mov_b32_dpp v7, v8 row_shr:1 row_mask:0xf bank_mask:0xf
	v_add_co_u32_e32 v7, vcc, v8, v7
	v_addc_co_u32_e32 v12, vcc, 0, v9, vcc
	v_mov_b32_dpp v11, v9 row_shr:1 row_mask:0xf bank_mask:0xf
	v_add_co_u32_e32 v13, vcc, 0, v7
	v_addc_co_u32_e32 v11, vcc, v11, v12, vcc
	v_cmp_eq_u32_e32 vcc, 0, v6
	v_cndmask_b32_e32 v7, v7, v8, vcc
	v_cndmask_b32_e32 v9, v11, v9, vcc
	;; [unrolled: 1-line block ×3, first 2 shown]
	v_mov_b32_dpp v7, v7 row_shr:2 row_mask:0xf bank_mask:0xf
	v_cmp_lt_u32_e32 vcc, 1, v6
	v_mov_b32_dpp v8, v9 row_shr:2 row_mask:0xf bank_mask:0xf
	v_cndmask_b32_e32 v6, 0, v7, vcc
	v_cndmask_b32_e32 v7, 0, v8, vcc
	v_add_co_u32_e32 v6, vcc, v6, v11
	v_addc_co_u32_e32 v7, vcc, v7, v9, vcc
	ds_write_b64 v10, v[6:7]
.LBB35_6:
	s_or_b64 exec, exec, s[0:1]
	v_cmp_lt_u32_e32 vcc, 63, v0
	s_waitcnt lgkmcnt(0)
	s_barrier
	s_and_saveexec_b64 s[0:1], vcc
	s_cbranch_execz .LBB35_8
; %bb.7:
	v_lshl_add_u32 v1, v1, 3, -8
	ds_read_b64 v[6:7], v1
	s_waitcnt lgkmcnt(0)
	v_add_co_u32_e32 v4, vcc, v6, v4
	v_addc_co_u32_e32 v5, vcc, v7, v5, vcc
.LBB35_8:
	s_or_b64 exec, exec, s[0:1]
	s_mov_b32 s7, 0
	v_cmp_eq_u32_e32 vcc, 0, v0
	global_store_dwordx2 v[2:3], v[4:5], off
	s_and_saveexec_b64 s[0:1], vcc
	s_cbranch_execz .LBB35_10
; %bb.9:
	v_mov_b32_e32 v2, 0
	ds_read_b64 v[0:1], v2 offset:24
	s_lshl_b64 s[0:1], s[6:7], 3
	s_add_u32 s0, s2, s0
	s_addc_u32 s1, s3, s1
	s_waitcnt lgkmcnt(0)
	global_store_dwordx2 v2, v[0:1], s[0:1]
.LBB35_10:
	s_endpgm
	.section	.rodata,"a",@progbits
	.p2align	6, 0x0
	.amdhsa_kernel _Z28inclusive_scan_reduce_kernelILj256ELN6hipcub18BlockScanAlgorithmE0ElEvPT1_S3_
		.amdhsa_group_segment_fixed_size 32
		.amdhsa_private_segment_fixed_size 0
		.amdhsa_kernarg_size 16
		.amdhsa_user_sgpr_count 6
		.amdhsa_user_sgpr_private_segment_buffer 1
		.amdhsa_user_sgpr_dispatch_ptr 0
		.amdhsa_user_sgpr_queue_ptr 0
		.amdhsa_user_sgpr_kernarg_segment_ptr 1
		.amdhsa_user_sgpr_dispatch_id 0
		.amdhsa_user_sgpr_flat_scratch_init 0
		.amdhsa_user_sgpr_kernarg_preload_length 0
		.amdhsa_user_sgpr_kernarg_preload_offset 0
		.amdhsa_user_sgpr_private_segment_size 0
		.amdhsa_uses_dynamic_stack 0
		.amdhsa_system_sgpr_private_segment_wavefront_offset 0
		.amdhsa_system_sgpr_workgroup_id_x 1
		.amdhsa_system_sgpr_workgroup_id_y 0
		.amdhsa_system_sgpr_workgroup_id_z 0
		.amdhsa_system_sgpr_workgroup_info 0
		.amdhsa_system_vgpr_workitem_id 0
		.amdhsa_next_free_vgpr 14
		.amdhsa_next_free_sgpr 8
		.amdhsa_accum_offset 16
		.amdhsa_reserve_vcc 1
		.amdhsa_reserve_flat_scratch 0
		.amdhsa_float_round_mode_32 0
		.amdhsa_float_round_mode_16_64 0
		.amdhsa_float_denorm_mode_32 3
		.amdhsa_float_denorm_mode_16_64 3
		.amdhsa_dx10_clamp 1
		.amdhsa_ieee_mode 1
		.amdhsa_fp16_overflow 0
		.amdhsa_tg_split 0
		.amdhsa_exception_fp_ieee_invalid_op 0
		.amdhsa_exception_fp_denorm_src 0
		.amdhsa_exception_fp_ieee_div_zero 0
		.amdhsa_exception_fp_ieee_overflow 0
		.amdhsa_exception_fp_ieee_underflow 0
		.amdhsa_exception_fp_ieee_inexact 0
		.amdhsa_exception_int_div_zero 0
	.end_amdhsa_kernel
	.section	.text._Z28inclusive_scan_reduce_kernelILj256ELN6hipcub18BlockScanAlgorithmE0ElEvPT1_S3_,"axG",@progbits,_Z28inclusive_scan_reduce_kernelILj256ELN6hipcub18BlockScanAlgorithmE0ElEvPT1_S3_,comdat
.Lfunc_end35:
	.size	_Z28inclusive_scan_reduce_kernelILj256ELN6hipcub18BlockScanAlgorithmE0ElEvPT1_S3_, .Lfunc_end35-_Z28inclusive_scan_reduce_kernelILj256ELN6hipcub18BlockScanAlgorithmE0ElEvPT1_S3_
                                        ; -- End function
	.section	.AMDGPU.csdata,"",@progbits
; Kernel info:
; codeLenInByte = 636
; NumSgprs: 12
; NumVgprs: 14
; NumAgprs: 0
; TotalNumVgprs: 14
; ScratchSize: 0
; MemoryBound: 0
; FloatMode: 240
; IeeeMode: 1
; LDSByteSize: 32 bytes/workgroup (compile time only)
; SGPRBlocks: 1
; VGPRBlocks: 1
; NumSGPRsForWavesPerEU: 12
; NumVGPRsForWavesPerEU: 14
; AccumOffset: 16
; Occupancy: 8
; WaveLimiterHint : 0
; COMPUTE_PGM_RSRC2:SCRATCH_EN: 0
; COMPUTE_PGM_RSRC2:USER_SGPR: 6
; COMPUTE_PGM_RSRC2:TRAP_HANDLER: 0
; COMPUTE_PGM_RSRC2:TGID_X_EN: 1
; COMPUTE_PGM_RSRC2:TGID_Y_EN: 0
; COMPUTE_PGM_RSRC2:TGID_Z_EN: 0
; COMPUTE_PGM_RSRC2:TIDIG_COMP_CNT: 0
; COMPUTE_PGM_RSRC3_GFX90A:ACCUM_OFFSET: 3
; COMPUTE_PGM_RSRC3_GFX90A:TG_SPLIT: 0
	.section	.text._Z28inclusive_scan_reduce_kernelILj64ELN6hipcub18BlockScanAlgorithmE0ElEvPT1_S3_,"axG",@progbits,_Z28inclusive_scan_reduce_kernelILj64ELN6hipcub18BlockScanAlgorithmE0ElEvPT1_S3_,comdat
	.protected	_Z28inclusive_scan_reduce_kernelILj64ELN6hipcub18BlockScanAlgorithmE0ElEvPT1_S3_ ; -- Begin function _Z28inclusive_scan_reduce_kernelILj64ELN6hipcub18BlockScanAlgorithmE0ElEvPT1_S3_
	.globl	_Z28inclusive_scan_reduce_kernelILj64ELN6hipcub18BlockScanAlgorithmE0ElEvPT1_S3_
	.p2align	8
	.type	_Z28inclusive_scan_reduce_kernelILj64ELN6hipcub18BlockScanAlgorithmE0ElEvPT1_S3_,@function
_Z28inclusive_scan_reduce_kernelILj64ELN6hipcub18BlockScanAlgorithmE0ElEvPT1_S3_: ; @_Z28inclusive_scan_reduce_kernelILj64ELN6hipcub18BlockScanAlgorithmE0ElEvPT1_S3_
; %bb.0:
	s_load_dwordx4 s[0:3], s[4:5], 0x0
	v_lshl_or_b32 v2, s6, 6, v0
	v_mov_b32_e32 v3, 0
	v_lshlrev_b64 v[2:3], 3, v[2:3]
	s_waitcnt lgkmcnt(0)
	v_mov_b32_e32 v1, s1
	v_add_co_u32_e32 v2, vcc, s0, v2
	v_addc_co_u32_e32 v3, vcc, v1, v3, vcc
	global_load_dwordx2 v[4:5], v[2:3], off
	v_mbcnt_lo_u32_b32 v1, -1, 0
	v_mbcnt_hi_u32_b32 v7, -1, v1
	v_and_b32_e32 v1, 15, v7
	v_and_b32_e32 v9, 16, v7
	v_cmp_ne_u32_e64 s[0:1], 0, v7
	s_waitcnt vmcnt(0)
	v_mov_b32_dpp v6, v4 row_shr:1 row_mask:0xf bank_mask:0xf
	v_add_co_u32_e32 v6, vcc, v4, v6
	v_addc_co_u32_e32 v10, vcc, 0, v5, vcc
	v_mov_b32_dpp v8, v5 row_shr:1 row_mask:0xf bank_mask:0xf
	v_add_co_u32_e32 v11, vcc, 0, v6
	v_addc_co_u32_e32 v8, vcc, v8, v10, vcc
	v_cmp_eq_u32_e32 vcc, 0, v1
	v_cndmask_b32_e32 v6, v6, v4, vcc
	v_cndmask_b32_e32 v8, v8, v5, vcc
	v_cndmask_b32_e32 v10, v11, v4, vcc
	v_mov_b32_dpp v11, v6 row_shr:2 row_mask:0xf bank_mask:0xf
	v_mov_b32_dpp v12, v8 row_shr:2 row_mask:0xf bank_mask:0xf
	v_add_co_u32_e32 v11, vcc, v11, v10
	v_addc_co_u32_e32 v12, vcc, v12, v8, vcc
	v_cmp_lt_u32_e32 vcc, 1, v1
	v_cndmask_b32_e32 v6, v6, v11, vcc
	v_cndmask_b32_e32 v8, v8, v12, vcc
	v_cndmask_b32_e32 v10, v10, v11, vcc
	v_mov_b32_dpp v11, v6 row_shr:4 row_mask:0xf bank_mask:0xf
	v_mov_b32_dpp v12, v8 row_shr:4 row_mask:0xf bank_mask:0xf
	v_add_co_u32_e32 v11, vcc, v11, v10
	v_addc_co_u32_e32 v12, vcc, v12, v8, vcc
	v_cmp_lt_u32_e32 vcc, 3, v1
	;; [unrolled: 8-line block ×3, first 2 shown]
	v_cndmask_b32_e32 v13, v6, v11, vcc
	v_cndmask_b32_e32 v1, v8, v12, vcc
	;; [unrolled: 1-line block ×3, first 2 shown]
	v_mov_b32_dpp v8, v13 row_bcast:15 row_mask:0xf bank_mask:0xf
	v_mov_b32_dpp v10, v1 row_bcast:15 row_mask:0xf bank_mask:0xf
	v_add_co_u32_e32 v8, vcc, v8, v6
	v_addc_co_u32_e32 v10, vcc, v10, v1, vcc
	v_cmp_eq_u32_e32 vcc, 0, v9
	v_cndmask_b32_e32 v11, v10, v1, vcc
	v_cndmask_b32_e32 v9, v8, v13, vcc
	s_nop 0
	v_mov_b32_dpp v11, v11 row_bcast:31 row_mask:0xf bank_mask:0xf
	v_mov_b32_dpp v9, v9 row_bcast:31 row_mask:0xf bank_mask:0xf
	s_and_saveexec_b64 s[4:5], s[0:1]
; %bb.1:
	v_cndmask_b32_e32 v1, v10, v1, vcc
	v_cndmask_b32_e32 v4, v8, v6, vcc
	v_cmp_lt_u32_e32 vcc, 31, v7
	v_cndmask_b32_e32 v6, 0, v9, vcc
	v_cndmask_b32_e32 v5, 0, v11, vcc
	v_add_co_u32_e32 v4, vcc, v6, v4
	v_addc_co_u32_e32 v5, vcc, v5, v1, vcc
; %bb.2:
	s_or_b64 exec, exec, s[4:5]
	v_cmp_eq_u32_e32 vcc, 63, v0
	s_and_saveexec_b64 s[0:1], vcc
	s_cbranch_execz .LBB36_4
; %bb.3:
	v_mov_b32_e32 v1, 0
	ds_write_b64 v1, v[4:5]
.LBB36_4:
	s_or_b64 exec, exec, s[0:1]
	s_mov_b32 s7, 0
	v_cmp_eq_u32_e32 vcc, 0, v0
	s_waitcnt lgkmcnt(0)
	; wave barrier
	s_waitcnt lgkmcnt(0)
	global_store_dwordx2 v[2:3], v[4:5], off
	s_and_saveexec_b64 s[0:1], vcc
	s_cbranch_execz .LBB36_6
; %bb.5:
	v_mov_b32_e32 v2, 0
	ds_read_b64 v[0:1], v2
	s_lshl_b64 s[0:1], s[6:7], 3
	s_add_u32 s0, s2, s0
	s_addc_u32 s1, s3, s1
	s_waitcnt lgkmcnt(0)
	global_store_dwordx2 v2, v[0:1], s[0:1]
.LBB36_6:
	s_endpgm
	.section	.rodata,"a",@progbits
	.p2align	6, 0x0
	.amdhsa_kernel _Z28inclusive_scan_reduce_kernelILj64ELN6hipcub18BlockScanAlgorithmE0ElEvPT1_S3_
		.amdhsa_group_segment_fixed_size 8
		.amdhsa_private_segment_fixed_size 0
		.amdhsa_kernarg_size 16
		.amdhsa_user_sgpr_count 6
		.amdhsa_user_sgpr_private_segment_buffer 1
		.amdhsa_user_sgpr_dispatch_ptr 0
		.amdhsa_user_sgpr_queue_ptr 0
		.amdhsa_user_sgpr_kernarg_segment_ptr 1
		.amdhsa_user_sgpr_dispatch_id 0
		.amdhsa_user_sgpr_flat_scratch_init 0
		.amdhsa_user_sgpr_kernarg_preload_length 0
		.amdhsa_user_sgpr_kernarg_preload_offset 0
		.amdhsa_user_sgpr_private_segment_size 0
		.amdhsa_uses_dynamic_stack 0
		.amdhsa_system_sgpr_private_segment_wavefront_offset 0
		.amdhsa_system_sgpr_workgroup_id_x 1
		.amdhsa_system_sgpr_workgroup_id_y 0
		.amdhsa_system_sgpr_workgroup_id_z 0
		.amdhsa_system_sgpr_workgroup_info 0
		.amdhsa_system_vgpr_workitem_id 0
		.amdhsa_next_free_vgpr 14
		.amdhsa_next_free_sgpr 8
		.amdhsa_accum_offset 16
		.amdhsa_reserve_vcc 1
		.amdhsa_reserve_flat_scratch 0
		.amdhsa_float_round_mode_32 0
		.amdhsa_float_round_mode_16_64 0
		.amdhsa_float_denorm_mode_32 3
		.amdhsa_float_denorm_mode_16_64 3
		.amdhsa_dx10_clamp 1
		.amdhsa_ieee_mode 1
		.amdhsa_fp16_overflow 0
		.amdhsa_tg_split 0
		.amdhsa_exception_fp_ieee_invalid_op 0
		.amdhsa_exception_fp_denorm_src 0
		.amdhsa_exception_fp_ieee_div_zero 0
		.amdhsa_exception_fp_ieee_overflow 0
		.amdhsa_exception_fp_ieee_underflow 0
		.amdhsa_exception_fp_ieee_inexact 0
		.amdhsa_exception_int_div_zero 0
	.end_amdhsa_kernel
	.section	.text._Z28inclusive_scan_reduce_kernelILj64ELN6hipcub18BlockScanAlgorithmE0ElEvPT1_S3_,"axG",@progbits,_Z28inclusive_scan_reduce_kernelILj64ELN6hipcub18BlockScanAlgorithmE0ElEvPT1_S3_,comdat
.Lfunc_end36:
	.size	_Z28inclusive_scan_reduce_kernelILj64ELN6hipcub18BlockScanAlgorithmE0ElEvPT1_S3_, .Lfunc_end36-_Z28inclusive_scan_reduce_kernelILj64ELN6hipcub18BlockScanAlgorithmE0ElEvPT1_S3_
                                        ; -- End function
	.section	.AMDGPU.csdata,"",@progbits
; Kernel info:
; codeLenInByte = 448
; NumSgprs: 12
; NumVgprs: 14
; NumAgprs: 0
; TotalNumVgprs: 14
; ScratchSize: 0
; MemoryBound: 0
; FloatMode: 240
; IeeeMode: 1
; LDSByteSize: 8 bytes/workgroup (compile time only)
; SGPRBlocks: 1
; VGPRBlocks: 1
; NumSGPRsForWavesPerEU: 12
; NumVGPRsForWavesPerEU: 14
; AccumOffset: 16
; Occupancy: 8
; WaveLimiterHint : 0
; COMPUTE_PGM_RSRC2:SCRATCH_EN: 0
; COMPUTE_PGM_RSRC2:USER_SGPR: 6
; COMPUTE_PGM_RSRC2:TRAP_HANDLER: 0
; COMPUTE_PGM_RSRC2:TGID_X_EN: 1
; COMPUTE_PGM_RSRC2:TGID_Y_EN: 0
; COMPUTE_PGM_RSRC2:TGID_Z_EN: 0
; COMPUTE_PGM_RSRC2:TIDIG_COMP_CNT: 0
; COMPUTE_PGM_RSRC3_GFX90A:ACCUM_OFFSET: 3
; COMPUTE_PGM_RSRC3_GFX90A:TG_SPLIT: 0
	.section	.text._Z28inclusive_scan_reduce_kernelILj377ELN6hipcub18BlockScanAlgorithmE0EjEvPT1_S3_,"axG",@progbits,_Z28inclusive_scan_reduce_kernelILj377ELN6hipcub18BlockScanAlgorithmE0EjEvPT1_S3_,comdat
	.protected	_Z28inclusive_scan_reduce_kernelILj377ELN6hipcub18BlockScanAlgorithmE0EjEvPT1_S3_ ; -- Begin function _Z28inclusive_scan_reduce_kernelILj377ELN6hipcub18BlockScanAlgorithmE0EjEvPT1_S3_
	.globl	_Z28inclusive_scan_reduce_kernelILj377ELN6hipcub18BlockScanAlgorithmE0EjEvPT1_S3_
	.p2align	8
	.type	_Z28inclusive_scan_reduce_kernelILj377ELN6hipcub18BlockScanAlgorithmE0EjEvPT1_S3_,@function
_Z28inclusive_scan_reduce_kernelILj377ELN6hipcub18BlockScanAlgorithmE0EjEvPT1_S3_: ; @_Z28inclusive_scan_reduce_kernelILj377ELN6hipcub18BlockScanAlgorithmE0EjEvPT1_S3_
; %bb.0:
	s_load_dwordx4 s[0:3], s[4:5], 0x0
	s_mul_i32 s4, s6, 0x179
	v_add_u32_e32 v2, s4, v0
	v_mov_b32_e32 v3, 0
	v_lshlrev_b64 v[2:3], 2, v[2:3]
	s_waitcnt lgkmcnt(0)
	v_mov_b32_e32 v1, s1
	v_add_co_u32_e32 v2, vcc, s0, v2
	v_addc_co_u32_e32 v3, vcc, v1, v3, vcc
	global_load_dword v5, v[2:3], off
	v_mbcnt_lo_u32_b32 v1, -1, 0
	v_mbcnt_hi_u32_b32 v4, -1, v1
	v_and_b32_e32 v7, 15, v4
	v_cmp_ne_u32_e32 vcc, 0, v7
	v_bfe_i32 v8, v4, 4, 1
	v_and_b32_e32 v6, 0x1c0, v0
	v_min_u32_e32 v6, 0x139, v6
	v_add_u32_e32 v6, 63, v6
	v_lshrrev_b32_e32 v1, 6, v0
	s_waitcnt vmcnt(0)
	v_mov_b32_dpp v9, v5 row_shr:1 row_mask:0xf bank_mask:0xf
	v_cndmask_b32_e32 v9, 0, v9, vcc
	v_add_u32_e32 v5, v9, v5
	v_cmp_lt_u32_e32 vcc, 1, v7
	s_nop 0
	v_mov_b32_dpp v9, v5 row_shr:2 row_mask:0xf bank_mask:0xf
	v_cndmask_b32_e32 v9, 0, v9, vcc
	v_add_u32_e32 v5, v5, v9
	v_cmp_lt_u32_e32 vcc, 3, v7
	s_nop 0
	;; [unrolled: 5-line block ×4, first 2 shown]
	v_mov_b32_dpp v7, v5 row_bcast:15 row_mask:0xf bank_mask:0xf
	v_and_b32_e32 v7, v8, v7
	v_add_u32_e32 v5, v5, v7
	s_nop 1
	v_mov_b32_dpp v7, v5 row_bcast:31 row_mask:0xf bank_mask:0xf
	v_cndmask_b32_e32 v7, 0, v7, vcc
	v_add_u32_e32 v5, v5, v7
	v_cmp_eq_u32_e32 vcc, v6, v0
	s_and_saveexec_b64 s[0:1], vcc
	s_cbranch_execz .LBB37_2
; %bb.1:
	v_lshlrev_b32_e32 v6, 2, v1
	ds_write_b32 v6, v5
.LBB37_2:
	s_or_b64 exec, exec, s[0:1]
	v_cmp_gt_u32_e32 vcc, 6, v0
	s_waitcnt lgkmcnt(0)
	s_barrier
	s_and_saveexec_b64 s[0:1], vcc
	s_cbranch_execz .LBB37_4
; %bb.3:
	v_lshlrev_b32_e32 v6, 2, v0
	ds_read_b32 v7, v6
	v_and_b32_e32 v4, 7, v4
	v_cmp_ne_u32_e32 vcc, 0, v4
	s_waitcnt lgkmcnt(0)
	v_mov_b32_dpp v8, v7 row_shr:1 row_mask:0xf bank_mask:0xf
	v_cndmask_b32_e32 v8, 0, v8, vcc
	v_add_u32_e32 v7, v8, v7
	v_cmp_lt_u32_e32 vcc, 1, v4
	s_nop 0
	v_mov_b32_dpp v8, v7 row_shr:2 row_mask:0xf bank_mask:0xf
	v_cndmask_b32_e32 v8, 0, v8, vcc
	v_add_u32_e32 v7, v7, v8
	v_cmp_lt_u32_e32 vcc, 3, v4
	s_nop 0
	v_mov_b32_dpp v8, v7 row_shr:4 row_mask:0xf bank_mask:0xf
	v_cndmask_b32_e32 v4, 0, v8, vcc
	v_add_u32_e32 v4, v7, v4
	ds_write_b32 v6, v4
.LBB37_4:
	s_or_b64 exec, exec, s[0:1]
	v_cmp_lt_u32_e32 vcc, 63, v0
	s_waitcnt lgkmcnt(0)
	s_barrier
	s_and_saveexec_b64 s[0:1], vcc
	s_cbranch_execz .LBB37_6
; %bb.5:
	v_lshl_add_u32 v1, v1, 2, -4
	ds_read_b32 v1, v1
	s_waitcnt lgkmcnt(0)
	v_add_u32_e32 v5, v1, v5
.LBB37_6:
	s_or_b64 exec, exec, s[0:1]
	s_mov_b32 s7, 0
	v_cmp_eq_u32_e32 vcc, 0, v0
	global_store_dword v[2:3], v5, off
	s_and_saveexec_b64 s[0:1], vcc
	s_cbranch_execz .LBB37_8
; %bb.7:
	v_mov_b32_e32 v0, 0
	ds_read_b32 v1, v0 offset:20
	s_lshl_b64 s[0:1], s[6:7], 2
	s_add_u32 s0, s2, s0
	s_addc_u32 s1, s3, s1
	s_waitcnt lgkmcnt(0)
	global_store_dword v0, v1, s[0:1]
.LBB37_8:
	s_endpgm
	.section	.rodata,"a",@progbits
	.p2align	6, 0x0
	.amdhsa_kernel _Z28inclusive_scan_reduce_kernelILj377ELN6hipcub18BlockScanAlgorithmE0EjEvPT1_S3_
		.amdhsa_group_segment_fixed_size 24
		.amdhsa_private_segment_fixed_size 0
		.amdhsa_kernarg_size 16
		.amdhsa_user_sgpr_count 6
		.amdhsa_user_sgpr_private_segment_buffer 1
		.amdhsa_user_sgpr_dispatch_ptr 0
		.amdhsa_user_sgpr_queue_ptr 0
		.amdhsa_user_sgpr_kernarg_segment_ptr 1
		.amdhsa_user_sgpr_dispatch_id 0
		.amdhsa_user_sgpr_flat_scratch_init 0
		.amdhsa_user_sgpr_kernarg_preload_length 0
		.amdhsa_user_sgpr_kernarg_preload_offset 0
		.amdhsa_user_sgpr_private_segment_size 0
		.amdhsa_uses_dynamic_stack 0
		.amdhsa_system_sgpr_private_segment_wavefront_offset 0
		.amdhsa_system_sgpr_workgroup_id_x 1
		.amdhsa_system_sgpr_workgroup_id_y 0
		.amdhsa_system_sgpr_workgroup_id_z 0
		.amdhsa_system_sgpr_workgroup_info 0
		.amdhsa_system_vgpr_workitem_id 0
		.amdhsa_next_free_vgpr 10
		.amdhsa_next_free_sgpr 8
		.amdhsa_accum_offset 12
		.amdhsa_reserve_vcc 1
		.amdhsa_reserve_flat_scratch 0
		.amdhsa_float_round_mode_32 0
		.amdhsa_float_round_mode_16_64 0
		.amdhsa_float_denorm_mode_32 3
		.amdhsa_float_denorm_mode_16_64 3
		.amdhsa_dx10_clamp 1
		.amdhsa_ieee_mode 1
		.amdhsa_fp16_overflow 0
		.amdhsa_tg_split 0
		.amdhsa_exception_fp_ieee_invalid_op 0
		.amdhsa_exception_fp_denorm_src 0
		.amdhsa_exception_fp_ieee_div_zero 0
		.amdhsa_exception_fp_ieee_overflow 0
		.amdhsa_exception_fp_ieee_underflow 0
		.amdhsa_exception_fp_ieee_inexact 0
		.amdhsa_exception_int_div_zero 0
	.end_amdhsa_kernel
	.section	.text._Z28inclusive_scan_reduce_kernelILj377ELN6hipcub18BlockScanAlgorithmE0EjEvPT1_S3_,"axG",@progbits,_Z28inclusive_scan_reduce_kernelILj377ELN6hipcub18BlockScanAlgorithmE0EjEvPT1_S3_,comdat
.Lfunc_end37:
	.size	_Z28inclusive_scan_reduce_kernelILj377ELN6hipcub18BlockScanAlgorithmE0EjEvPT1_S3_, .Lfunc_end37-_Z28inclusive_scan_reduce_kernelILj377ELN6hipcub18BlockScanAlgorithmE0EjEvPT1_S3_
                                        ; -- End function
	.section	.AMDGPU.csdata,"",@progbits
; Kernel info:
; codeLenInByte = 508
; NumSgprs: 12
; NumVgprs: 10
; NumAgprs: 0
; TotalNumVgprs: 10
; ScratchSize: 0
; MemoryBound: 0
; FloatMode: 240
; IeeeMode: 1
; LDSByteSize: 24 bytes/workgroup (compile time only)
; SGPRBlocks: 1
; VGPRBlocks: 1
; NumSGPRsForWavesPerEU: 12
; NumVGPRsForWavesPerEU: 10
; AccumOffset: 12
; Occupancy: 8
; WaveLimiterHint : 0
; COMPUTE_PGM_RSRC2:SCRATCH_EN: 0
; COMPUTE_PGM_RSRC2:USER_SGPR: 6
; COMPUTE_PGM_RSRC2:TRAP_HANDLER: 0
; COMPUTE_PGM_RSRC2:TGID_X_EN: 1
; COMPUTE_PGM_RSRC2:TGID_Y_EN: 0
; COMPUTE_PGM_RSRC2:TGID_Z_EN: 0
; COMPUTE_PGM_RSRC2:TIDIG_COMP_CNT: 0
; COMPUTE_PGM_RSRC3_GFX90A:ACCUM_OFFSET: 2
; COMPUTE_PGM_RSRC3_GFX90A:TG_SPLIT: 0
	.section	.text._Z28inclusive_scan_reduce_kernelILj256ELN6hipcub18BlockScanAlgorithmE0EjEvPT1_S3_,"axG",@progbits,_Z28inclusive_scan_reduce_kernelILj256ELN6hipcub18BlockScanAlgorithmE0EjEvPT1_S3_,comdat
	.protected	_Z28inclusive_scan_reduce_kernelILj256ELN6hipcub18BlockScanAlgorithmE0EjEvPT1_S3_ ; -- Begin function _Z28inclusive_scan_reduce_kernelILj256ELN6hipcub18BlockScanAlgorithmE0EjEvPT1_S3_
	.globl	_Z28inclusive_scan_reduce_kernelILj256ELN6hipcub18BlockScanAlgorithmE0EjEvPT1_S3_
	.p2align	8
	.type	_Z28inclusive_scan_reduce_kernelILj256ELN6hipcub18BlockScanAlgorithmE0EjEvPT1_S3_,@function
_Z28inclusive_scan_reduce_kernelILj256ELN6hipcub18BlockScanAlgorithmE0EjEvPT1_S3_: ; @_Z28inclusive_scan_reduce_kernelILj256ELN6hipcub18BlockScanAlgorithmE0EjEvPT1_S3_
; %bb.0:
	s_load_dwordx4 s[0:3], s[4:5], 0x0
	v_lshl_or_b32 v2, s6, 8, v0
	v_mov_b32_e32 v3, 0
	v_lshlrev_b64 v[2:3], 2, v[2:3]
	v_or_b32_e32 v6, 63, v0
	s_waitcnt lgkmcnt(0)
	v_mov_b32_e32 v1, s1
	v_add_co_u32_e32 v2, vcc, s0, v2
	v_addc_co_u32_e32 v3, vcc, v1, v3, vcc
	global_load_dword v5, v[2:3], off
	v_mbcnt_lo_u32_b32 v1, -1, 0
	v_mbcnt_hi_u32_b32 v1, -1, v1
	v_and_b32_e32 v7, 15, v1
	v_cmp_ne_u32_e32 vcc, 0, v7
	v_bfe_i32 v8, v1, 4, 1
	v_lshrrev_b32_e32 v4, 6, v0
	s_waitcnt vmcnt(0)
	v_mov_b32_dpp v9, v5 row_shr:1 row_mask:0xf bank_mask:0xf
	v_cndmask_b32_e32 v9, 0, v9, vcc
	v_add_u32_e32 v5, v9, v5
	v_cmp_lt_u32_e32 vcc, 1, v7
	s_nop 0
	v_mov_b32_dpp v9, v5 row_shr:2 row_mask:0xf bank_mask:0xf
	v_cndmask_b32_e32 v9, 0, v9, vcc
	v_add_u32_e32 v5, v5, v9
	v_cmp_lt_u32_e32 vcc, 3, v7
	s_nop 0
	v_mov_b32_dpp v9, v5 row_shr:4 row_mask:0xf bank_mask:0xf
	v_cndmask_b32_e32 v9, 0, v9, vcc
	v_add_u32_e32 v5, v5, v9
	v_cmp_lt_u32_e32 vcc, 7, v7
	s_nop 0
	v_mov_b32_dpp v9, v5 row_shr:8 row_mask:0xf bank_mask:0xf
	v_cndmask_b32_e32 v7, 0, v9, vcc
	v_add_u32_e32 v5, v5, v7
	v_cmp_lt_u32_e32 vcc, 31, v1
	s_nop 0
	v_mov_b32_dpp v7, v5 row_bcast:15 row_mask:0xf bank_mask:0xf
	v_and_b32_e32 v7, v8, v7
	v_add_u32_e32 v5, v5, v7
	s_nop 1
	v_mov_b32_dpp v7, v5 row_bcast:31 row_mask:0xf bank_mask:0xf
	v_cndmask_b32_e32 v7, 0, v7, vcc
	v_add_u32_e32 v5, v5, v7
	v_cmp_eq_u32_e32 vcc, v6, v0
	s_and_saveexec_b64 s[0:1], vcc
	s_cbranch_execz .LBB38_2
; %bb.1:
	v_lshlrev_b32_e32 v6, 2, v4
	ds_write_b32 v6, v5
.LBB38_2:
	s_or_b64 exec, exec, s[0:1]
	v_cmp_gt_u32_e32 vcc, 4, v0
	s_waitcnt lgkmcnt(0)
	s_barrier
	s_and_saveexec_b64 s[0:1], vcc
	s_cbranch_execz .LBB38_4
; %bb.3:
	v_lshlrev_b32_e32 v6, 2, v0
	ds_read_b32 v7, v6
	v_and_b32_e32 v1, 3, v1
	v_cmp_ne_u32_e32 vcc, 0, v1
	s_waitcnt lgkmcnt(0)
	v_mov_b32_dpp v8, v7 row_shr:1 row_mask:0xf bank_mask:0xf
	v_cndmask_b32_e32 v8, 0, v8, vcc
	v_add_u32_e32 v7, v8, v7
	v_cmp_lt_u32_e32 vcc, 1, v1
	s_nop 0
	v_mov_b32_dpp v8, v7 row_shr:2 row_mask:0xf bank_mask:0xf
	v_cndmask_b32_e32 v1, 0, v8, vcc
	v_add_u32_e32 v1, v7, v1
	ds_write_b32 v6, v1
.LBB38_4:
	s_or_b64 exec, exec, s[0:1]
	v_cmp_lt_u32_e32 vcc, 63, v0
	s_waitcnt lgkmcnt(0)
	s_barrier
	s_and_saveexec_b64 s[0:1], vcc
	s_cbranch_execz .LBB38_6
; %bb.5:
	v_lshl_add_u32 v1, v4, 2, -4
	ds_read_b32 v1, v1
	s_waitcnt lgkmcnt(0)
	v_add_u32_e32 v5, v1, v5
.LBB38_6:
	s_or_b64 exec, exec, s[0:1]
	s_mov_b32 s7, 0
	v_cmp_eq_u32_e32 vcc, 0, v0
	global_store_dword v[2:3], v5, off
	s_and_saveexec_b64 s[0:1], vcc
	s_cbranch_execz .LBB38_8
; %bb.7:
	v_mov_b32_e32 v0, 0
	ds_read_b32 v1, v0 offset:12
	s_lshl_b64 s[0:1], s[6:7], 2
	s_add_u32 s0, s2, s0
	s_addc_u32 s1, s3, s1
	s_waitcnt lgkmcnt(0)
	global_store_dword v0, v1, s[0:1]
.LBB38_8:
	s_endpgm
	.section	.rodata,"a",@progbits
	.p2align	6, 0x0
	.amdhsa_kernel _Z28inclusive_scan_reduce_kernelILj256ELN6hipcub18BlockScanAlgorithmE0EjEvPT1_S3_
		.amdhsa_group_segment_fixed_size 16
		.amdhsa_private_segment_fixed_size 0
		.amdhsa_kernarg_size 16
		.amdhsa_user_sgpr_count 6
		.amdhsa_user_sgpr_private_segment_buffer 1
		.amdhsa_user_sgpr_dispatch_ptr 0
		.amdhsa_user_sgpr_queue_ptr 0
		.amdhsa_user_sgpr_kernarg_segment_ptr 1
		.amdhsa_user_sgpr_dispatch_id 0
		.amdhsa_user_sgpr_flat_scratch_init 0
		.amdhsa_user_sgpr_kernarg_preload_length 0
		.amdhsa_user_sgpr_kernarg_preload_offset 0
		.amdhsa_user_sgpr_private_segment_size 0
		.amdhsa_uses_dynamic_stack 0
		.amdhsa_system_sgpr_private_segment_wavefront_offset 0
		.amdhsa_system_sgpr_workgroup_id_x 1
		.amdhsa_system_sgpr_workgroup_id_y 0
		.amdhsa_system_sgpr_workgroup_id_z 0
		.amdhsa_system_sgpr_workgroup_info 0
		.amdhsa_system_vgpr_workitem_id 0
		.amdhsa_next_free_vgpr 10
		.amdhsa_next_free_sgpr 8
		.amdhsa_accum_offset 12
		.amdhsa_reserve_vcc 1
		.amdhsa_reserve_flat_scratch 0
		.amdhsa_float_round_mode_32 0
		.amdhsa_float_round_mode_16_64 0
		.amdhsa_float_denorm_mode_32 3
		.amdhsa_float_denorm_mode_16_64 3
		.amdhsa_dx10_clamp 1
		.amdhsa_ieee_mode 1
		.amdhsa_fp16_overflow 0
		.amdhsa_tg_split 0
		.amdhsa_exception_fp_ieee_invalid_op 0
		.amdhsa_exception_fp_denorm_src 0
		.amdhsa_exception_fp_ieee_div_zero 0
		.amdhsa_exception_fp_ieee_overflow 0
		.amdhsa_exception_fp_ieee_underflow 0
		.amdhsa_exception_fp_ieee_inexact 0
		.amdhsa_exception_int_div_zero 0
	.end_amdhsa_kernel
	.section	.text._Z28inclusive_scan_reduce_kernelILj256ELN6hipcub18BlockScanAlgorithmE0EjEvPT1_S3_,"axG",@progbits,_Z28inclusive_scan_reduce_kernelILj256ELN6hipcub18BlockScanAlgorithmE0EjEvPT1_S3_,comdat
.Lfunc_end38:
	.size	_Z28inclusive_scan_reduce_kernelILj256ELN6hipcub18BlockScanAlgorithmE0EjEvPT1_S3_, .Lfunc_end38-_Z28inclusive_scan_reduce_kernelILj256ELN6hipcub18BlockScanAlgorithmE0EjEvPT1_S3_
                                        ; -- End function
	.section	.AMDGPU.csdata,"",@progbits
; Kernel info:
; codeLenInByte = 464
; NumSgprs: 12
; NumVgprs: 10
; NumAgprs: 0
; TotalNumVgprs: 10
; ScratchSize: 0
; MemoryBound: 0
; FloatMode: 240
; IeeeMode: 1
; LDSByteSize: 16 bytes/workgroup (compile time only)
; SGPRBlocks: 1
; VGPRBlocks: 1
; NumSGPRsForWavesPerEU: 12
; NumVGPRsForWavesPerEU: 10
; AccumOffset: 12
; Occupancy: 8
; WaveLimiterHint : 0
; COMPUTE_PGM_RSRC2:SCRATCH_EN: 0
; COMPUTE_PGM_RSRC2:USER_SGPR: 6
; COMPUTE_PGM_RSRC2:TRAP_HANDLER: 0
; COMPUTE_PGM_RSRC2:TGID_X_EN: 1
; COMPUTE_PGM_RSRC2:TGID_Y_EN: 0
; COMPUTE_PGM_RSRC2:TGID_Z_EN: 0
; COMPUTE_PGM_RSRC2:TIDIG_COMP_CNT: 0
; COMPUTE_PGM_RSRC3_GFX90A:ACCUM_OFFSET: 2
; COMPUTE_PGM_RSRC3_GFX90A:TG_SPLIT: 0
	.section	.text._Z28inclusive_scan_reduce_kernelILj64ELN6hipcub18BlockScanAlgorithmE0EjEvPT1_S3_,"axG",@progbits,_Z28inclusive_scan_reduce_kernelILj64ELN6hipcub18BlockScanAlgorithmE0EjEvPT1_S3_,comdat
	.protected	_Z28inclusive_scan_reduce_kernelILj64ELN6hipcub18BlockScanAlgorithmE0EjEvPT1_S3_ ; -- Begin function _Z28inclusive_scan_reduce_kernelILj64ELN6hipcub18BlockScanAlgorithmE0EjEvPT1_S3_
	.globl	_Z28inclusive_scan_reduce_kernelILj64ELN6hipcub18BlockScanAlgorithmE0EjEvPT1_S3_
	.p2align	8
	.type	_Z28inclusive_scan_reduce_kernelILj64ELN6hipcub18BlockScanAlgorithmE0EjEvPT1_S3_,@function
_Z28inclusive_scan_reduce_kernelILj64ELN6hipcub18BlockScanAlgorithmE0EjEvPT1_S3_: ; @_Z28inclusive_scan_reduce_kernelILj64ELN6hipcub18BlockScanAlgorithmE0EjEvPT1_S3_
; %bb.0:
	s_load_dwordx4 s[0:3], s[4:5], 0x0
	v_lshl_or_b32 v2, s6, 6, v0
	v_mov_b32_e32 v3, 0
	v_lshlrev_b64 v[4:5], 2, v[2:3]
	v_mbcnt_lo_u32_b32 v2, -1, 0
	s_waitcnt lgkmcnt(0)
	v_mov_b32_e32 v1, s1
	v_add_co_u32_e32 v4, vcc, s0, v4
	v_addc_co_u32_e32 v5, vcc, v1, v5, vcc
	global_load_dword v1, v[4:5], off
	v_mbcnt_hi_u32_b32 v2, -1, v2
	v_and_b32_e32 v6, 15, v2
	v_cmp_ne_u32_e32 vcc, 0, v6
	v_bfe_i32 v7, v2, 4, 1
	s_waitcnt vmcnt(0)
	v_mov_b32_dpp v8, v1 row_shr:1 row_mask:0xf bank_mask:0xf
	v_cndmask_b32_e32 v8, 0, v8, vcc
	v_add_u32_e32 v1, v8, v1
	v_cmp_lt_u32_e32 vcc, 1, v6
	s_nop 0
	v_mov_b32_dpp v8, v1 row_shr:2 row_mask:0xf bank_mask:0xf
	v_cndmask_b32_e32 v8, 0, v8, vcc
	v_add_u32_e32 v1, v1, v8
	v_cmp_lt_u32_e32 vcc, 3, v6
	s_nop 0
	;; [unrolled: 5-line block ×4, first 2 shown]
	v_mov_b32_dpp v6, v1 row_bcast:15 row_mask:0xf bank_mask:0xf
	v_and_b32_e32 v6, v7, v6
	v_add_u32_e32 v1, v1, v6
	s_nop 1
	v_mov_b32_dpp v6, v1 row_bcast:31 row_mask:0xf bank_mask:0xf
	v_cndmask_b32_e32 v2, 0, v6, vcc
	v_add_u32_e32 v1, v1, v2
	v_cmp_eq_u32_e32 vcc, 63, v0
	s_and_saveexec_b64 s[0:1], vcc
	s_cbranch_execz .LBB39_2
; %bb.1:
	ds_write_b32 v3, v1
.LBB39_2:
	s_or_b64 exec, exec, s[0:1]
	v_cmp_eq_u32_e32 vcc, 0, v0
	s_waitcnt lgkmcnt(0)
	; wave barrier
	s_waitcnt lgkmcnt(0)
	global_store_dword v[4:5], v1, off
	s_and_saveexec_b64 s[0:1], vcc
	s_cbranch_execz .LBB39_4
; %bb.3:
	v_mov_b32_e32 v0, 0
	ds_read_b32 v1, v0
	s_mov_b32 s7, 0
	s_lshl_b64 s[0:1], s[6:7], 2
	s_add_u32 s0, s2, s0
	s_addc_u32 s1, s3, s1
	s_waitcnt lgkmcnt(0)
	global_store_dword v0, v1, s[0:1]
.LBB39_4:
	s_endpgm
	.section	.rodata,"a",@progbits
	.p2align	6, 0x0
	.amdhsa_kernel _Z28inclusive_scan_reduce_kernelILj64ELN6hipcub18BlockScanAlgorithmE0EjEvPT1_S3_
		.amdhsa_group_segment_fixed_size 4
		.amdhsa_private_segment_fixed_size 0
		.amdhsa_kernarg_size 16
		.amdhsa_user_sgpr_count 6
		.amdhsa_user_sgpr_private_segment_buffer 1
		.amdhsa_user_sgpr_dispatch_ptr 0
		.amdhsa_user_sgpr_queue_ptr 0
		.amdhsa_user_sgpr_kernarg_segment_ptr 1
		.amdhsa_user_sgpr_dispatch_id 0
		.amdhsa_user_sgpr_flat_scratch_init 0
		.amdhsa_user_sgpr_kernarg_preload_length 0
		.amdhsa_user_sgpr_kernarg_preload_offset 0
		.amdhsa_user_sgpr_private_segment_size 0
		.amdhsa_uses_dynamic_stack 0
		.amdhsa_system_sgpr_private_segment_wavefront_offset 0
		.amdhsa_system_sgpr_workgroup_id_x 1
		.amdhsa_system_sgpr_workgroup_id_y 0
		.amdhsa_system_sgpr_workgroup_id_z 0
		.amdhsa_system_sgpr_workgroup_info 0
		.amdhsa_system_vgpr_workitem_id 0
		.amdhsa_next_free_vgpr 9
		.amdhsa_next_free_sgpr 8
		.amdhsa_accum_offset 12
		.amdhsa_reserve_vcc 1
		.amdhsa_reserve_flat_scratch 0
		.amdhsa_float_round_mode_32 0
		.amdhsa_float_round_mode_16_64 0
		.amdhsa_float_denorm_mode_32 3
		.amdhsa_float_denorm_mode_16_64 3
		.amdhsa_dx10_clamp 1
		.amdhsa_ieee_mode 1
		.amdhsa_fp16_overflow 0
		.amdhsa_tg_split 0
		.amdhsa_exception_fp_ieee_invalid_op 0
		.amdhsa_exception_fp_denorm_src 0
		.amdhsa_exception_fp_ieee_div_zero 0
		.amdhsa_exception_fp_ieee_overflow 0
		.amdhsa_exception_fp_ieee_underflow 0
		.amdhsa_exception_fp_ieee_inexact 0
		.amdhsa_exception_int_div_zero 0
	.end_amdhsa_kernel
	.section	.text._Z28inclusive_scan_reduce_kernelILj64ELN6hipcub18BlockScanAlgorithmE0EjEvPT1_S3_,"axG",@progbits,_Z28inclusive_scan_reduce_kernelILj64ELN6hipcub18BlockScanAlgorithmE0EjEvPT1_S3_,comdat
.Lfunc_end39:
	.size	_Z28inclusive_scan_reduce_kernelILj64ELN6hipcub18BlockScanAlgorithmE0EjEvPT1_S3_, .Lfunc_end39-_Z28inclusive_scan_reduce_kernelILj64ELN6hipcub18BlockScanAlgorithmE0EjEvPT1_S3_
                                        ; -- End function
	.section	.AMDGPU.csdata,"",@progbits
; Kernel info:
; codeLenInByte = 316
; NumSgprs: 12
; NumVgprs: 9
; NumAgprs: 0
; TotalNumVgprs: 9
; ScratchSize: 0
; MemoryBound: 0
; FloatMode: 240
; IeeeMode: 1
; LDSByteSize: 4 bytes/workgroup (compile time only)
; SGPRBlocks: 1
; VGPRBlocks: 1
; NumSGPRsForWavesPerEU: 12
; NumVGPRsForWavesPerEU: 9
; AccumOffset: 12
; Occupancy: 8
; WaveLimiterHint : 0
; COMPUTE_PGM_RSRC2:SCRATCH_EN: 0
; COMPUTE_PGM_RSRC2:USER_SGPR: 6
; COMPUTE_PGM_RSRC2:TRAP_HANDLER: 0
; COMPUTE_PGM_RSRC2:TGID_X_EN: 1
; COMPUTE_PGM_RSRC2:TGID_Y_EN: 0
; COMPUTE_PGM_RSRC2:TGID_Z_EN: 0
; COMPUTE_PGM_RSRC2:TIDIG_COMP_CNT: 0
; COMPUTE_PGM_RSRC3_GFX90A:ACCUM_OFFSET: 2
; COMPUTE_PGM_RSRC3_GFX90A:TG_SPLIT: 0
	.section	.text._Z28inclusive_scan_reduce_kernelILj255ELN6hipcub18BlockScanAlgorithmE0EiEvPT1_S3_,"axG",@progbits,_Z28inclusive_scan_reduce_kernelILj255ELN6hipcub18BlockScanAlgorithmE0EiEvPT1_S3_,comdat
	.protected	_Z28inclusive_scan_reduce_kernelILj255ELN6hipcub18BlockScanAlgorithmE0EiEvPT1_S3_ ; -- Begin function _Z28inclusive_scan_reduce_kernelILj255ELN6hipcub18BlockScanAlgorithmE0EiEvPT1_S3_
	.globl	_Z28inclusive_scan_reduce_kernelILj255ELN6hipcub18BlockScanAlgorithmE0EiEvPT1_S3_
	.p2align	8
	.type	_Z28inclusive_scan_reduce_kernelILj255ELN6hipcub18BlockScanAlgorithmE0EiEvPT1_S3_,@function
_Z28inclusive_scan_reduce_kernelILj255ELN6hipcub18BlockScanAlgorithmE0EiEvPT1_S3_: ; @_Z28inclusive_scan_reduce_kernelILj255ELN6hipcub18BlockScanAlgorithmE0EiEvPT1_S3_
; %bb.0:
	s_load_dwordx4 s[0:3], s[4:5], 0x0
	s_mul_i32 s4, s6, 0xff
	v_add_u32_e32 v2, s4, v0
	v_mov_b32_e32 v3, 0
	v_lshlrev_b64 v[2:3], 2, v[2:3]
	s_waitcnt lgkmcnt(0)
	v_mov_b32_e32 v1, s1
	v_add_co_u32_e32 v2, vcc, s0, v2
	v_addc_co_u32_e32 v3, vcc, v1, v3, vcc
	global_load_dword v5, v[2:3], off
	v_mbcnt_lo_u32_b32 v1, -1, 0
	v_mbcnt_hi_u32_b32 v1, -1, v1
	v_and_b32_e32 v7, 15, v1
	v_cmp_ne_u32_e32 vcc, 0, v7
	v_bfe_i32 v8, v1, 4, 1
	v_and_b32_e32 v6, 0xc0, v0
	v_min_u32_e32 v6, 0xbf, v6
	v_add_u32_e32 v6, 63, v6
	v_lshrrev_b32_e32 v4, 6, v0
	s_waitcnt vmcnt(0)
	v_mov_b32_dpp v9, v5 row_shr:1 row_mask:0xf bank_mask:0xf
	v_cndmask_b32_e32 v9, 0, v9, vcc
	v_add_u32_e32 v5, v9, v5
	v_cmp_lt_u32_e32 vcc, 1, v7
	s_nop 0
	v_mov_b32_dpp v9, v5 row_shr:2 row_mask:0xf bank_mask:0xf
	v_cndmask_b32_e32 v9, 0, v9, vcc
	v_add_u32_e32 v5, v5, v9
	v_cmp_lt_u32_e32 vcc, 3, v7
	s_nop 0
	;; [unrolled: 5-line block ×4, first 2 shown]
	v_mov_b32_dpp v7, v5 row_bcast:15 row_mask:0xf bank_mask:0xf
	v_and_b32_e32 v7, v8, v7
	v_add_u32_e32 v5, v5, v7
	s_nop 1
	v_mov_b32_dpp v7, v5 row_bcast:31 row_mask:0xf bank_mask:0xf
	v_cndmask_b32_e32 v7, 0, v7, vcc
	v_add_u32_e32 v5, v5, v7
	v_cmp_eq_u32_e32 vcc, v6, v0
	s_and_saveexec_b64 s[0:1], vcc
	s_cbranch_execz .LBB40_2
; %bb.1:
	v_lshlrev_b32_e32 v6, 2, v4
	ds_write_b32 v6, v5
.LBB40_2:
	s_or_b64 exec, exec, s[0:1]
	v_cmp_gt_u32_e32 vcc, 4, v0
	s_waitcnt lgkmcnt(0)
	s_barrier
	s_and_saveexec_b64 s[0:1], vcc
	s_cbranch_execz .LBB40_4
; %bb.3:
	v_lshlrev_b32_e32 v6, 2, v0
	ds_read_b32 v7, v6
	v_and_b32_e32 v1, 3, v1
	v_cmp_ne_u32_e32 vcc, 0, v1
	s_waitcnt lgkmcnt(0)
	v_mov_b32_dpp v8, v7 row_shr:1 row_mask:0xf bank_mask:0xf
	v_cndmask_b32_e32 v8, 0, v8, vcc
	v_add_u32_e32 v7, v8, v7
	v_cmp_lt_u32_e32 vcc, 1, v1
	s_nop 0
	v_mov_b32_dpp v8, v7 row_shr:2 row_mask:0xf bank_mask:0xf
	v_cndmask_b32_e32 v1, 0, v8, vcc
	v_add_u32_e32 v1, v7, v1
	ds_write_b32 v6, v1
.LBB40_4:
	s_or_b64 exec, exec, s[0:1]
	v_cmp_lt_u32_e32 vcc, 63, v0
	s_waitcnt lgkmcnt(0)
	s_barrier
	s_and_saveexec_b64 s[0:1], vcc
	s_cbranch_execz .LBB40_6
; %bb.5:
	v_lshl_add_u32 v1, v4, 2, -4
	ds_read_b32 v1, v1
	s_waitcnt lgkmcnt(0)
	v_add_u32_e32 v5, v1, v5
.LBB40_6:
	s_or_b64 exec, exec, s[0:1]
	s_mov_b32 s7, 0
	v_cmp_eq_u32_e32 vcc, 0, v0
	global_store_dword v[2:3], v5, off
	s_and_saveexec_b64 s[0:1], vcc
	s_cbranch_execz .LBB40_8
; %bb.7:
	v_mov_b32_e32 v0, 0
	ds_read_b32 v1, v0 offset:12
	s_lshl_b64 s[0:1], s[6:7], 2
	s_add_u32 s0, s2, s0
	s_addc_u32 s1, s3, s1
	s_waitcnt lgkmcnt(0)
	global_store_dword v0, v1, s[0:1]
.LBB40_8:
	s_endpgm
	.section	.rodata,"a",@progbits
	.p2align	6, 0x0
	.amdhsa_kernel _Z28inclusive_scan_reduce_kernelILj255ELN6hipcub18BlockScanAlgorithmE0EiEvPT1_S3_
		.amdhsa_group_segment_fixed_size 16
		.amdhsa_private_segment_fixed_size 0
		.amdhsa_kernarg_size 16
		.amdhsa_user_sgpr_count 6
		.amdhsa_user_sgpr_private_segment_buffer 1
		.amdhsa_user_sgpr_dispatch_ptr 0
		.amdhsa_user_sgpr_queue_ptr 0
		.amdhsa_user_sgpr_kernarg_segment_ptr 1
		.amdhsa_user_sgpr_dispatch_id 0
		.amdhsa_user_sgpr_flat_scratch_init 0
		.amdhsa_user_sgpr_kernarg_preload_length 0
		.amdhsa_user_sgpr_kernarg_preload_offset 0
		.amdhsa_user_sgpr_private_segment_size 0
		.amdhsa_uses_dynamic_stack 0
		.amdhsa_system_sgpr_private_segment_wavefront_offset 0
		.amdhsa_system_sgpr_workgroup_id_x 1
		.amdhsa_system_sgpr_workgroup_id_y 0
		.amdhsa_system_sgpr_workgroup_id_z 0
		.amdhsa_system_sgpr_workgroup_info 0
		.amdhsa_system_vgpr_workitem_id 0
		.amdhsa_next_free_vgpr 10
		.amdhsa_next_free_sgpr 8
		.amdhsa_accum_offset 12
		.amdhsa_reserve_vcc 1
		.amdhsa_reserve_flat_scratch 0
		.amdhsa_float_round_mode_32 0
		.amdhsa_float_round_mode_16_64 0
		.amdhsa_float_denorm_mode_32 3
		.amdhsa_float_denorm_mode_16_64 3
		.amdhsa_dx10_clamp 1
		.amdhsa_ieee_mode 1
		.amdhsa_fp16_overflow 0
		.amdhsa_tg_split 0
		.amdhsa_exception_fp_ieee_invalid_op 0
		.amdhsa_exception_fp_denorm_src 0
		.amdhsa_exception_fp_ieee_div_zero 0
		.amdhsa_exception_fp_ieee_overflow 0
		.amdhsa_exception_fp_ieee_underflow 0
		.amdhsa_exception_fp_ieee_inexact 0
		.amdhsa_exception_int_div_zero 0
	.end_amdhsa_kernel
	.section	.text._Z28inclusive_scan_reduce_kernelILj255ELN6hipcub18BlockScanAlgorithmE0EiEvPT1_S3_,"axG",@progbits,_Z28inclusive_scan_reduce_kernelILj255ELN6hipcub18BlockScanAlgorithmE0EiEvPT1_S3_,comdat
.Lfunc_end40:
	.size	_Z28inclusive_scan_reduce_kernelILj255ELN6hipcub18BlockScanAlgorithmE0EiEvPT1_S3_, .Lfunc_end40-_Z28inclusive_scan_reduce_kernelILj255ELN6hipcub18BlockScanAlgorithmE0EiEvPT1_S3_
                                        ; -- End function
	.section	.AMDGPU.csdata,"",@progbits
; Kernel info:
; codeLenInByte = 484
; NumSgprs: 12
; NumVgprs: 10
; NumAgprs: 0
; TotalNumVgprs: 10
; ScratchSize: 0
; MemoryBound: 0
; FloatMode: 240
; IeeeMode: 1
; LDSByteSize: 16 bytes/workgroup (compile time only)
; SGPRBlocks: 1
; VGPRBlocks: 1
; NumSGPRsForWavesPerEU: 12
; NumVGPRsForWavesPerEU: 10
; AccumOffset: 12
; Occupancy: 8
; WaveLimiterHint : 0
; COMPUTE_PGM_RSRC2:SCRATCH_EN: 0
; COMPUTE_PGM_RSRC2:USER_SGPR: 6
; COMPUTE_PGM_RSRC2:TRAP_HANDLER: 0
; COMPUTE_PGM_RSRC2:TGID_X_EN: 1
; COMPUTE_PGM_RSRC2:TGID_Y_EN: 0
; COMPUTE_PGM_RSRC2:TGID_Z_EN: 0
; COMPUTE_PGM_RSRC2:TIDIG_COMP_CNT: 0
; COMPUTE_PGM_RSRC3_GFX90A:ACCUM_OFFSET: 2
; COMPUTE_PGM_RSRC3_GFX90A:TG_SPLIT: 0
	.section	.text._Z28inclusive_scan_reduce_kernelILj162ELN6hipcub18BlockScanAlgorithmE0EiEvPT1_S3_,"axG",@progbits,_Z28inclusive_scan_reduce_kernelILj162ELN6hipcub18BlockScanAlgorithmE0EiEvPT1_S3_,comdat
	.protected	_Z28inclusive_scan_reduce_kernelILj162ELN6hipcub18BlockScanAlgorithmE0EiEvPT1_S3_ ; -- Begin function _Z28inclusive_scan_reduce_kernelILj162ELN6hipcub18BlockScanAlgorithmE0EiEvPT1_S3_
	.globl	_Z28inclusive_scan_reduce_kernelILj162ELN6hipcub18BlockScanAlgorithmE0EiEvPT1_S3_
	.p2align	8
	.type	_Z28inclusive_scan_reduce_kernelILj162ELN6hipcub18BlockScanAlgorithmE0EiEvPT1_S3_,@function
_Z28inclusive_scan_reduce_kernelILj162ELN6hipcub18BlockScanAlgorithmE0EiEvPT1_S3_: ; @_Z28inclusive_scan_reduce_kernelILj162ELN6hipcub18BlockScanAlgorithmE0EiEvPT1_S3_
; %bb.0:
	s_load_dwordx4 s[0:3], s[4:5], 0x0
	s_mul_i32 s4, s6, 0xa2
	v_add_u32_e32 v2, s4, v0
	v_mov_b32_e32 v3, 0
	v_lshlrev_b64 v[2:3], 2, v[2:3]
	s_waitcnt lgkmcnt(0)
	v_mov_b32_e32 v1, s1
	v_add_co_u32_e32 v2, vcc, s0, v2
	v_addc_co_u32_e32 v3, vcc, v1, v3, vcc
	global_load_dword v5, v[2:3], off
	v_mbcnt_lo_u32_b32 v1, -1, 0
	v_mbcnt_hi_u32_b32 v1, -1, v1
	v_and_b32_e32 v7, 15, v1
	v_cmp_ne_u32_e32 vcc, 0, v7
	v_bfe_i32 v8, v1, 4, 1
	v_and_b32_e32 v6, 0xc0, v0
	v_min_u32_e32 v6, 0x62, v6
	v_add_u32_e32 v6, 63, v6
	v_lshrrev_b32_e32 v4, 6, v0
	s_waitcnt vmcnt(0)
	v_mov_b32_dpp v9, v5 row_shr:1 row_mask:0xf bank_mask:0xf
	v_cndmask_b32_e32 v9, 0, v9, vcc
	v_add_u32_e32 v5, v9, v5
	v_cmp_lt_u32_e32 vcc, 1, v7
	s_nop 0
	v_mov_b32_dpp v9, v5 row_shr:2 row_mask:0xf bank_mask:0xf
	v_cndmask_b32_e32 v9, 0, v9, vcc
	v_add_u32_e32 v5, v5, v9
	v_cmp_lt_u32_e32 vcc, 3, v7
	s_nop 0
	;; [unrolled: 5-line block ×4, first 2 shown]
	v_mov_b32_dpp v7, v5 row_bcast:15 row_mask:0xf bank_mask:0xf
	v_and_b32_e32 v7, v8, v7
	v_add_u32_e32 v5, v5, v7
	s_nop 1
	v_mov_b32_dpp v7, v5 row_bcast:31 row_mask:0xf bank_mask:0xf
	v_cndmask_b32_e32 v7, 0, v7, vcc
	v_add_u32_e32 v5, v5, v7
	v_cmp_eq_u32_e32 vcc, v6, v0
	s_and_saveexec_b64 s[0:1], vcc
	s_cbranch_execz .LBB41_2
; %bb.1:
	v_lshlrev_b32_e32 v6, 2, v4
	ds_write_b32 v6, v5
.LBB41_2:
	s_or_b64 exec, exec, s[0:1]
	v_cmp_gt_u32_e32 vcc, 3, v0
	s_waitcnt lgkmcnt(0)
	s_barrier
	s_and_saveexec_b64 s[0:1], vcc
	s_cbranch_execz .LBB41_4
; %bb.3:
	v_lshlrev_b32_e32 v6, 2, v0
	ds_read_b32 v7, v6
	v_and_b32_e32 v1, 3, v1
	v_cmp_ne_u32_e32 vcc, 0, v1
	s_waitcnt lgkmcnt(0)
	v_mov_b32_dpp v8, v7 row_shr:1 row_mask:0xf bank_mask:0xf
	v_cndmask_b32_e32 v8, 0, v8, vcc
	v_add_u32_e32 v7, v8, v7
	v_cmp_lt_u32_e32 vcc, 1, v1
	s_nop 0
	v_mov_b32_dpp v8, v7 row_shr:2 row_mask:0xf bank_mask:0xf
	v_cndmask_b32_e32 v1, 0, v8, vcc
	v_add_u32_e32 v1, v7, v1
	ds_write_b32 v6, v1
.LBB41_4:
	s_or_b64 exec, exec, s[0:1]
	v_cmp_lt_u32_e32 vcc, 63, v0
	s_waitcnt lgkmcnt(0)
	s_barrier
	s_and_saveexec_b64 s[0:1], vcc
	s_cbranch_execz .LBB41_6
; %bb.5:
	v_lshl_add_u32 v1, v4, 2, -4
	ds_read_b32 v1, v1
	s_waitcnt lgkmcnt(0)
	v_add_u32_e32 v5, v1, v5
.LBB41_6:
	s_or_b64 exec, exec, s[0:1]
	s_mov_b32 s7, 0
	v_cmp_eq_u32_e32 vcc, 0, v0
	global_store_dword v[2:3], v5, off
	s_and_saveexec_b64 s[0:1], vcc
	s_cbranch_execz .LBB41_8
; %bb.7:
	v_mov_b32_e32 v0, 0
	ds_read_b32 v1, v0 offset:8
	s_lshl_b64 s[0:1], s[6:7], 2
	s_add_u32 s0, s2, s0
	s_addc_u32 s1, s3, s1
	s_waitcnt lgkmcnt(0)
	global_store_dword v0, v1, s[0:1]
.LBB41_8:
	s_endpgm
	.section	.rodata,"a",@progbits
	.p2align	6, 0x0
	.amdhsa_kernel _Z28inclusive_scan_reduce_kernelILj162ELN6hipcub18BlockScanAlgorithmE0EiEvPT1_S3_
		.amdhsa_group_segment_fixed_size 12
		.amdhsa_private_segment_fixed_size 0
		.amdhsa_kernarg_size 16
		.amdhsa_user_sgpr_count 6
		.amdhsa_user_sgpr_private_segment_buffer 1
		.amdhsa_user_sgpr_dispatch_ptr 0
		.amdhsa_user_sgpr_queue_ptr 0
		.amdhsa_user_sgpr_kernarg_segment_ptr 1
		.amdhsa_user_sgpr_dispatch_id 0
		.amdhsa_user_sgpr_flat_scratch_init 0
		.amdhsa_user_sgpr_kernarg_preload_length 0
		.amdhsa_user_sgpr_kernarg_preload_offset 0
		.amdhsa_user_sgpr_private_segment_size 0
		.amdhsa_uses_dynamic_stack 0
		.amdhsa_system_sgpr_private_segment_wavefront_offset 0
		.amdhsa_system_sgpr_workgroup_id_x 1
		.amdhsa_system_sgpr_workgroup_id_y 0
		.amdhsa_system_sgpr_workgroup_id_z 0
		.amdhsa_system_sgpr_workgroup_info 0
		.amdhsa_system_vgpr_workitem_id 0
		.amdhsa_next_free_vgpr 10
		.amdhsa_next_free_sgpr 8
		.amdhsa_accum_offset 12
		.amdhsa_reserve_vcc 1
		.amdhsa_reserve_flat_scratch 0
		.amdhsa_float_round_mode_32 0
		.amdhsa_float_round_mode_16_64 0
		.amdhsa_float_denorm_mode_32 3
		.amdhsa_float_denorm_mode_16_64 3
		.amdhsa_dx10_clamp 1
		.amdhsa_ieee_mode 1
		.amdhsa_fp16_overflow 0
		.amdhsa_tg_split 0
		.amdhsa_exception_fp_ieee_invalid_op 0
		.amdhsa_exception_fp_denorm_src 0
		.amdhsa_exception_fp_ieee_div_zero 0
		.amdhsa_exception_fp_ieee_overflow 0
		.amdhsa_exception_fp_ieee_underflow 0
		.amdhsa_exception_fp_ieee_inexact 0
		.amdhsa_exception_int_div_zero 0
	.end_amdhsa_kernel
	.section	.text._Z28inclusive_scan_reduce_kernelILj162ELN6hipcub18BlockScanAlgorithmE0EiEvPT1_S3_,"axG",@progbits,_Z28inclusive_scan_reduce_kernelILj162ELN6hipcub18BlockScanAlgorithmE0EiEvPT1_S3_,comdat
.Lfunc_end41:
	.size	_Z28inclusive_scan_reduce_kernelILj162ELN6hipcub18BlockScanAlgorithmE0EiEvPT1_S3_, .Lfunc_end41-_Z28inclusive_scan_reduce_kernelILj162ELN6hipcub18BlockScanAlgorithmE0EiEvPT1_S3_
                                        ; -- End function
	.section	.AMDGPU.csdata,"",@progbits
; Kernel info:
; codeLenInByte = 484
; NumSgprs: 12
; NumVgprs: 10
; NumAgprs: 0
; TotalNumVgprs: 10
; ScratchSize: 0
; MemoryBound: 0
; FloatMode: 240
; IeeeMode: 1
; LDSByteSize: 12 bytes/workgroup (compile time only)
; SGPRBlocks: 1
; VGPRBlocks: 1
; NumSGPRsForWavesPerEU: 12
; NumVGPRsForWavesPerEU: 10
; AccumOffset: 12
; Occupancy: 8
; WaveLimiterHint : 0
; COMPUTE_PGM_RSRC2:SCRATCH_EN: 0
; COMPUTE_PGM_RSRC2:USER_SGPR: 6
; COMPUTE_PGM_RSRC2:TRAP_HANDLER: 0
; COMPUTE_PGM_RSRC2:TGID_X_EN: 1
; COMPUTE_PGM_RSRC2:TGID_Y_EN: 0
; COMPUTE_PGM_RSRC2:TGID_Z_EN: 0
; COMPUTE_PGM_RSRC2:TIDIG_COMP_CNT: 0
; COMPUTE_PGM_RSRC3_GFX90A:ACCUM_OFFSET: 2
; COMPUTE_PGM_RSRC3_GFX90A:TG_SPLIT: 0
	.section	.text._Z28inclusive_scan_reduce_kernelILj37ELN6hipcub18BlockScanAlgorithmE0EiEvPT1_S3_,"axG",@progbits,_Z28inclusive_scan_reduce_kernelILj37ELN6hipcub18BlockScanAlgorithmE0EiEvPT1_S3_,comdat
	.protected	_Z28inclusive_scan_reduce_kernelILj37ELN6hipcub18BlockScanAlgorithmE0EiEvPT1_S3_ ; -- Begin function _Z28inclusive_scan_reduce_kernelILj37ELN6hipcub18BlockScanAlgorithmE0EiEvPT1_S3_
	.globl	_Z28inclusive_scan_reduce_kernelILj37ELN6hipcub18BlockScanAlgorithmE0EiEvPT1_S3_
	.p2align	8
	.type	_Z28inclusive_scan_reduce_kernelILj37ELN6hipcub18BlockScanAlgorithmE0EiEvPT1_S3_,@function
_Z28inclusive_scan_reduce_kernelILj37ELN6hipcub18BlockScanAlgorithmE0EiEvPT1_S3_: ; @_Z28inclusive_scan_reduce_kernelILj37ELN6hipcub18BlockScanAlgorithmE0EiEvPT1_S3_
; %bb.0:
	s_load_dwordx4 s[0:3], s[4:5], 0x0
	v_mad_u64_u32 v[2:3], s[4:5], s6, 37, v[0:1]
	v_mov_b32_e32 v3, 0
	v_lshlrev_b64 v[4:5], 2, v[2:3]
	s_waitcnt lgkmcnt(0)
	v_mov_b32_e32 v1, s1
	v_add_co_u32_e32 v4, vcc, s0, v4
	v_addc_co_u32_e32 v5, vcc, v1, v5, vcc
	global_load_dword v1, v[4:5], off
	v_mbcnt_lo_u32_b32 v2, -1, 0
	v_mbcnt_hi_u32_b32 v2, -1, v2
	v_and_b32_e32 v6, 15, v2
	v_cmp_ne_u32_e32 vcc, 0, v6
	v_bfe_i32 v7, v2, 4, 1
	s_waitcnt vmcnt(0)
	v_mov_b32_dpp v8, v1 row_shr:1 row_mask:0xf bank_mask:0xf
	v_cndmask_b32_e32 v8, 0, v8, vcc
	v_add_u32_e32 v1, v8, v1
	v_cmp_lt_u32_e32 vcc, 1, v6
	s_nop 0
	v_mov_b32_dpp v8, v1 row_shr:2 row_mask:0xf bank_mask:0xf
	v_cndmask_b32_e32 v8, 0, v8, vcc
	v_add_u32_e32 v1, v1, v8
	v_cmp_lt_u32_e32 vcc, 3, v6
	s_nop 0
	;; [unrolled: 5-line block ×4, first 2 shown]
	v_mov_b32_dpp v6, v1 row_bcast:15 row_mask:0xf bank_mask:0xf
	v_and_b32_e32 v6, v7, v6
	v_add_u32_e32 v1, v1, v6
	s_nop 1
	v_mov_b32_dpp v6, v1 row_bcast:31 row_mask:0xf bank_mask:0xf
	v_cndmask_b32_e32 v2, 0, v6, vcc
	v_add_u32_e32 v1, v1, v2
	v_cmp_eq_u32_e32 vcc, 36, v0
	s_and_saveexec_b64 s[0:1], vcc
	s_cbranch_execz .LBB42_2
; %bb.1:
	ds_write_b32 v3, v1
.LBB42_2:
	s_or_b64 exec, exec, s[0:1]
	v_cmp_eq_u32_e32 vcc, 0, v0
	s_waitcnt lgkmcnt(0)
	; wave barrier
	s_waitcnt lgkmcnt(0)
	global_store_dword v[4:5], v1, off
	s_and_saveexec_b64 s[0:1], vcc
	s_cbranch_execz .LBB42_4
; %bb.3:
	v_mov_b32_e32 v0, 0
	ds_read_b32 v1, v0
	s_mov_b32 s7, 0
	s_lshl_b64 s[0:1], s[6:7], 2
	s_add_u32 s0, s2, s0
	s_addc_u32 s1, s3, s1
	s_waitcnt lgkmcnt(0)
	global_store_dword v0, v1, s[0:1]
.LBB42_4:
	s_endpgm
	.section	.rodata,"a",@progbits
	.p2align	6, 0x0
	.amdhsa_kernel _Z28inclusive_scan_reduce_kernelILj37ELN6hipcub18BlockScanAlgorithmE0EiEvPT1_S3_
		.amdhsa_group_segment_fixed_size 4
		.amdhsa_private_segment_fixed_size 0
		.amdhsa_kernarg_size 16
		.amdhsa_user_sgpr_count 6
		.amdhsa_user_sgpr_private_segment_buffer 1
		.amdhsa_user_sgpr_dispatch_ptr 0
		.amdhsa_user_sgpr_queue_ptr 0
		.amdhsa_user_sgpr_kernarg_segment_ptr 1
		.amdhsa_user_sgpr_dispatch_id 0
		.amdhsa_user_sgpr_flat_scratch_init 0
		.amdhsa_user_sgpr_kernarg_preload_length 0
		.amdhsa_user_sgpr_kernarg_preload_offset 0
		.amdhsa_user_sgpr_private_segment_size 0
		.amdhsa_uses_dynamic_stack 0
		.amdhsa_system_sgpr_private_segment_wavefront_offset 0
		.amdhsa_system_sgpr_workgroup_id_x 1
		.amdhsa_system_sgpr_workgroup_id_y 0
		.amdhsa_system_sgpr_workgroup_id_z 0
		.amdhsa_system_sgpr_workgroup_info 0
		.amdhsa_system_vgpr_workitem_id 0
		.amdhsa_next_free_vgpr 9
		.amdhsa_next_free_sgpr 8
		.amdhsa_accum_offset 12
		.amdhsa_reserve_vcc 1
		.amdhsa_reserve_flat_scratch 0
		.amdhsa_float_round_mode_32 0
		.amdhsa_float_round_mode_16_64 0
		.amdhsa_float_denorm_mode_32 3
		.amdhsa_float_denorm_mode_16_64 3
		.amdhsa_dx10_clamp 1
		.amdhsa_ieee_mode 1
		.amdhsa_fp16_overflow 0
		.amdhsa_tg_split 0
		.amdhsa_exception_fp_ieee_invalid_op 0
		.amdhsa_exception_fp_denorm_src 0
		.amdhsa_exception_fp_ieee_div_zero 0
		.amdhsa_exception_fp_ieee_overflow 0
		.amdhsa_exception_fp_ieee_underflow 0
		.amdhsa_exception_fp_ieee_inexact 0
		.amdhsa_exception_int_div_zero 0
	.end_amdhsa_kernel
	.section	.text._Z28inclusive_scan_reduce_kernelILj37ELN6hipcub18BlockScanAlgorithmE0EiEvPT1_S3_,"axG",@progbits,_Z28inclusive_scan_reduce_kernelILj37ELN6hipcub18BlockScanAlgorithmE0EiEvPT1_S3_,comdat
.Lfunc_end42:
	.size	_Z28inclusive_scan_reduce_kernelILj37ELN6hipcub18BlockScanAlgorithmE0EiEvPT1_S3_, .Lfunc_end42-_Z28inclusive_scan_reduce_kernelILj37ELN6hipcub18BlockScanAlgorithmE0EiEvPT1_S3_
                                        ; -- End function
	.section	.AMDGPU.csdata,"",@progbits
; Kernel info:
; codeLenInByte = 316
; NumSgprs: 12
; NumVgprs: 9
; NumAgprs: 0
; TotalNumVgprs: 9
; ScratchSize: 0
; MemoryBound: 0
; FloatMode: 240
; IeeeMode: 1
; LDSByteSize: 4 bytes/workgroup (compile time only)
; SGPRBlocks: 1
; VGPRBlocks: 1
; NumSGPRsForWavesPerEU: 12
; NumVGPRsForWavesPerEU: 9
; AccumOffset: 12
; Occupancy: 8
; WaveLimiterHint : 0
; COMPUTE_PGM_RSRC2:SCRATCH_EN: 0
; COMPUTE_PGM_RSRC2:USER_SGPR: 6
; COMPUTE_PGM_RSRC2:TRAP_HANDLER: 0
; COMPUTE_PGM_RSRC2:TGID_X_EN: 1
; COMPUTE_PGM_RSRC2:TGID_Y_EN: 0
; COMPUTE_PGM_RSRC2:TGID_Z_EN: 0
; COMPUTE_PGM_RSRC2:TIDIG_COMP_CNT: 0
; COMPUTE_PGM_RSRC3_GFX90A:ACCUM_OFFSET: 2
; COMPUTE_PGM_RSRC3_GFX90A:TG_SPLIT: 0
	.section	.text._Z28inclusive_scan_reduce_kernelILj65ELN6hipcub18BlockScanAlgorithmE0EiEvPT1_S3_,"axG",@progbits,_Z28inclusive_scan_reduce_kernelILj65ELN6hipcub18BlockScanAlgorithmE0EiEvPT1_S3_,comdat
	.protected	_Z28inclusive_scan_reduce_kernelILj65ELN6hipcub18BlockScanAlgorithmE0EiEvPT1_S3_ ; -- Begin function _Z28inclusive_scan_reduce_kernelILj65ELN6hipcub18BlockScanAlgorithmE0EiEvPT1_S3_
	.globl	_Z28inclusive_scan_reduce_kernelILj65ELN6hipcub18BlockScanAlgorithmE0EiEvPT1_S3_
	.p2align	8
	.type	_Z28inclusive_scan_reduce_kernelILj65ELN6hipcub18BlockScanAlgorithmE0EiEvPT1_S3_,@function
_Z28inclusive_scan_reduce_kernelILj65ELN6hipcub18BlockScanAlgorithmE0EiEvPT1_S3_: ; @_Z28inclusive_scan_reduce_kernelILj65ELN6hipcub18BlockScanAlgorithmE0EiEvPT1_S3_
; %bb.0:
	s_load_dwordx4 s[0:3], s[4:5], 0x0
	s_mul_i32 s4, s6, 0x41
	v_add_u32_e32 v2, s4, v0
	v_mov_b32_e32 v3, 0
	v_lshlrev_b64 v[2:3], 2, v[2:3]
	s_waitcnt lgkmcnt(0)
	v_mov_b32_e32 v1, s1
	v_add_co_u32_e32 v2, vcc, s0, v2
	v_addc_co_u32_e32 v3, vcc, v1, v3, vcc
	global_load_dword v5, v[2:3], off
	v_mbcnt_lo_u32_b32 v1, -1, 0
	v_mbcnt_hi_u32_b32 v1, -1, v1
	v_cmp_gt_u32_e64 s[0:1], 64, v0
	v_and_b32_e32 v7, 15, v1
	v_cndmask_b32_e64 v6, 64, 63, s[0:1]
	v_cmp_ne_u32_e64 s[0:1], 0, v7
	v_bfe_i32 v8, v1, 4, 1
	v_lshrrev_b32_e32 v4, 6, v0
	v_cmp_lt_u32_e32 vcc, 63, v0
	s_waitcnt vmcnt(0)
	v_mov_b32_dpp v9, v5 row_shr:1 row_mask:0xf bank_mask:0xf
	v_cndmask_b32_e64 v9, 0, v9, s[0:1]
	v_add_u32_e32 v5, v9, v5
	v_cmp_lt_u32_e64 s[0:1], 1, v7
	s_nop 0
	v_mov_b32_dpp v9, v5 row_shr:2 row_mask:0xf bank_mask:0xf
	v_cndmask_b32_e64 v9, 0, v9, s[0:1]
	v_add_u32_e32 v5, v5, v9
	v_cmp_lt_u32_e64 s[0:1], 3, v7
	s_nop 0
	;; [unrolled: 5-line block ×4, first 2 shown]
	v_mov_b32_dpp v7, v5 row_bcast:15 row_mask:0xf bank_mask:0xf
	v_and_b32_e32 v7, v8, v7
	v_add_u32_e32 v5, v5, v7
	s_nop 1
	v_mov_b32_dpp v7, v5 row_bcast:31 row_mask:0xf bank_mask:0xf
	v_cndmask_b32_e64 v7, 0, v7, s[0:1]
	v_add_u32_e32 v5, v5, v7
	v_cmp_eq_u32_e64 s[0:1], v6, v0
	s_and_saveexec_b64 s[4:5], s[0:1]
	s_cbranch_execz .LBB43_2
; %bb.1:
	v_lshlrev_b32_e32 v6, 2, v4
	ds_write_b32 v6, v5
.LBB43_2:
	s_or_b64 exec, exec, s[4:5]
	v_cmp_gt_u32_e64 s[0:1], 2, v0
	s_waitcnt lgkmcnt(0)
	s_barrier
	s_and_saveexec_b64 s[4:5], s[0:1]
	s_cbranch_execz .LBB43_4
; %bb.3:
	v_lshlrev_b32_e32 v6, 2, v0
	ds_read_b32 v7, v6
	v_bfe_i32 v1, v1, 0, 1
	s_waitcnt lgkmcnt(0)
	v_mov_b32_dpp v8, v7 row_shr:1 row_mask:0xf bank_mask:0xf
	v_and_b32_e32 v1, v1, v8
	v_add_u32_e32 v1, v1, v7
	ds_write_b32 v6, v1
.LBB43_4:
	s_or_b64 exec, exec, s[4:5]
	s_waitcnt lgkmcnt(0)
	s_barrier
	s_and_saveexec_b64 s[0:1], vcc
	s_cbranch_execz .LBB43_6
; %bb.5:
	v_lshl_add_u32 v1, v4, 2, -4
	ds_read_b32 v1, v1
	s_waitcnt lgkmcnt(0)
	v_add_u32_e32 v5, v1, v5
.LBB43_6:
	s_or_b64 exec, exec, s[0:1]
	s_mov_b32 s7, 0
	v_cmp_eq_u32_e32 vcc, 0, v0
	global_store_dword v[2:3], v5, off
	s_and_saveexec_b64 s[0:1], vcc
	s_cbranch_execz .LBB43_8
; %bb.7:
	v_mov_b32_e32 v0, 0
	ds_read_b32 v1, v0 offset:4
	s_lshl_b64 s[0:1], s[6:7], 2
	s_add_u32 s0, s2, s0
	s_addc_u32 s1, s3, s1
	s_waitcnt lgkmcnt(0)
	global_store_dword v0, v1, s[0:1]
.LBB43_8:
	s_endpgm
	.section	.rodata,"a",@progbits
	.p2align	6, 0x0
	.amdhsa_kernel _Z28inclusive_scan_reduce_kernelILj65ELN6hipcub18BlockScanAlgorithmE0EiEvPT1_S3_
		.amdhsa_group_segment_fixed_size 8
		.amdhsa_private_segment_fixed_size 0
		.amdhsa_kernarg_size 16
		.amdhsa_user_sgpr_count 6
		.amdhsa_user_sgpr_private_segment_buffer 1
		.amdhsa_user_sgpr_dispatch_ptr 0
		.amdhsa_user_sgpr_queue_ptr 0
		.amdhsa_user_sgpr_kernarg_segment_ptr 1
		.amdhsa_user_sgpr_dispatch_id 0
		.amdhsa_user_sgpr_flat_scratch_init 0
		.amdhsa_user_sgpr_kernarg_preload_length 0
		.amdhsa_user_sgpr_kernarg_preload_offset 0
		.amdhsa_user_sgpr_private_segment_size 0
		.amdhsa_uses_dynamic_stack 0
		.amdhsa_system_sgpr_private_segment_wavefront_offset 0
		.amdhsa_system_sgpr_workgroup_id_x 1
		.amdhsa_system_sgpr_workgroup_id_y 0
		.amdhsa_system_sgpr_workgroup_id_z 0
		.amdhsa_system_sgpr_workgroup_info 0
		.amdhsa_system_vgpr_workitem_id 0
		.amdhsa_next_free_vgpr 10
		.amdhsa_next_free_sgpr 8
		.amdhsa_accum_offset 12
		.amdhsa_reserve_vcc 1
		.amdhsa_reserve_flat_scratch 0
		.amdhsa_float_round_mode_32 0
		.amdhsa_float_round_mode_16_64 0
		.amdhsa_float_denorm_mode_32 3
		.amdhsa_float_denorm_mode_16_64 3
		.amdhsa_dx10_clamp 1
		.amdhsa_ieee_mode 1
		.amdhsa_fp16_overflow 0
		.amdhsa_tg_split 0
		.amdhsa_exception_fp_ieee_invalid_op 0
		.amdhsa_exception_fp_denorm_src 0
		.amdhsa_exception_fp_ieee_div_zero 0
		.amdhsa_exception_fp_ieee_overflow 0
		.amdhsa_exception_fp_ieee_underflow 0
		.amdhsa_exception_fp_ieee_inexact 0
		.amdhsa_exception_int_div_zero 0
	.end_amdhsa_kernel
	.section	.text._Z28inclusive_scan_reduce_kernelILj65ELN6hipcub18BlockScanAlgorithmE0EiEvPT1_S3_,"axG",@progbits,_Z28inclusive_scan_reduce_kernelILj65ELN6hipcub18BlockScanAlgorithmE0EiEvPT1_S3_,comdat
.Lfunc_end43:
	.size	_Z28inclusive_scan_reduce_kernelILj65ELN6hipcub18BlockScanAlgorithmE0EiEvPT1_S3_, .Lfunc_end43-_Z28inclusive_scan_reduce_kernelILj65ELN6hipcub18BlockScanAlgorithmE0EiEvPT1_S3_
                                        ; -- End function
	.section	.AMDGPU.csdata,"",@progbits
; Kernel info:
; codeLenInByte = 504
; NumSgprs: 12
; NumVgprs: 10
; NumAgprs: 0
; TotalNumVgprs: 10
; ScratchSize: 0
; MemoryBound: 0
; FloatMode: 240
; IeeeMode: 1
; LDSByteSize: 8 bytes/workgroup (compile time only)
; SGPRBlocks: 1
; VGPRBlocks: 1
; NumSGPRsForWavesPerEU: 12
; NumVGPRsForWavesPerEU: 10
; AccumOffset: 12
; Occupancy: 8
; WaveLimiterHint : 0
; COMPUTE_PGM_RSRC2:SCRATCH_EN: 0
; COMPUTE_PGM_RSRC2:USER_SGPR: 6
; COMPUTE_PGM_RSRC2:TRAP_HANDLER: 0
; COMPUTE_PGM_RSRC2:TGID_X_EN: 1
; COMPUTE_PGM_RSRC2:TGID_Y_EN: 0
; COMPUTE_PGM_RSRC2:TGID_Z_EN: 0
; COMPUTE_PGM_RSRC2:TIDIG_COMP_CNT: 0
; COMPUTE_PGM_RSRC3_GFX90A:ACCUM_OFFSET: 2
; COMPUTE_PGM_RSRC3_GFX90A:TG_SPLIT: 0
	.section	.text._Z28inclusive_scan_reduce_kernelILj512ELN6hipcub18BlockScanAlgorithmE0EiEvPT1_S3_,"axG",@progbits,_Z28inclusive_scan_reduce_kernelILj512ELN6hipcub18BlockScanAlgorithmE0EiEvPT1_S3_,comdat
	.protected	_Z28inclusive_scan_reduce_kernelILj512ELN6hipcub18BlockScanAlgorithmE0EiEvPT1_S3_ ; -- Begin function _Z28inclusive_scan_reduce_kernelILj512ELN6hipcub18BlockScanAlgorithmE0EiEvPT1_S3_
	.globl	_Z28inclusive_scan_reduce_kernelILj512ELN6hipcub18BlockScanAlgorithmE0EiEvPT1_S3_
	.p2align	8
	.type	_Z28inclusive_scan_reduce_kernelILj512ELN6hipcub18BlockScanAlgorithmE0EiEvPT1_S3_,@function
_Z28inclusive_scan_reduce_kernelILj512ELN6hipcub18BlockScanAlgorithmE0EiEvPT1_S3_: ; @_Z28inclusive_scan_reduce_kernelILj512ELN6hipcub18BlockScanAlgorithmE0EiEvPT1_S3_
; %bb.0:
	s_load_dwordx4 s[0:3], s[4:5], 0x0
	v_lshl_or_b32 v2, s6, 9, v0
	v_mov_b32_e32 v3, 0
	v_lshlrev_b64 v[2:3], 2, v[2:3]
	v_or_b32_e32 v6, 63, v0
	s_waitcnt lgkmcnt(0)
	v_mov_b32_e32 v1, s1
	v_add_co_u32_e32 v2, vcc, s0, v2
	v_addc_co_u32_e32 v3, vcc, v1, v3, vcc
	global_load_dword v5, v[2:3], off
	v_mbcnt_lo_u32_b32 v1, -1, 0
	v_mbcnt_hi_u32_b32 v4, -1, v1
	v_and_b32_e32 v7, 15, v4
	v_cmp_ne_u32_e32 vcc, 0, v7
	v_bfe_i32 v8, v4, 4, 1
	v_lshrrev_b32_e32 v1, 6, v0
	s_waitcnt vmcnt(0)
	v_mov_b32_dpp v9, v5 row_shr:1 row_mask:0xf bank_mask:0xf
	v_cndmask_b32_e32 v9, 0, v9, vcc
	v_add_u32_e32 v5, v9, v5
	v_cmp_lt_u32_e32 vcc, 1, v7
	s_nop 0
	v_mov_b32_dpp v9, v5 row_shr:2 row_mask:0xf bank_mask:0xf
	v_cndmask_b32_e32 v9, 0, v9, vcc
	v_add_u32_e32 v5, v5, v9
	v_cmp_lt_u32_e32 vcc, 3, v7
	s_nop 0
	v_mov_b32_dpp v9, v5 row_shr:4 row_mask:0xf bank_mask:0xf
	v_cndmask_b32_e32 v9, 0, v9, vcc
	v_add_u32_e32 v5, v5, v9
	v_cmp_lt_u32_e32 vcc, 7, v7
	s_nop 0
	v_mov_b32_dpp v9, v5 row_shr:8 row_mask:0xf bank_mask:0xf
	v_cndmask_b32_e32 v7, 0, v9, vcc
	v_add_u32_e32 v5, v5, v7
	v_cmp_lt_u32_e32 vcc, 31, v4
	s_nop 0
	v_mov_b32_dpp v7, v5 row_bcast:15 row_mask:0xf bank_mask:0xf
	v_and_b32_e32 v7, v8, v7
	v_add_u32_e32 v5, v5, v7
	s_nop 1
	v_mov_b32_dpp v7, v5 row_bcast:31 row_mask:0xf bank_mask:0xf
	v_cndmask_b32_e32 v7, 0, v7, vcc
	v_add_u32_e32 v5, v5, v7
	v_cmp_eq_u32_e32 vcc, v6, v0
	s_and_saveexec_b64 s[0:1], vcc
	s_cbranch_execz .LBB44_2
; %bb.1:
	v_lshlrev_b32_e32 v6, 2, v1
	ds_write_b32 v6, v5
.LBB44_2:
	s_or_b64 exec, exec, s[0:1]
	v_cmp_gt_u32_e32 vcc, 8, v0
	s_waitcnt lgkmcnt(0)
	s_barrier
	s_and_saveexec_b64 s[0:1], vcc
	s_cbranch_execz .LBB44_4
; %bb.3:
	v_lshlrev_b32_e32 v6, 2, v0
	ds_read_b32 v7, v6
	v_and_b32_e32 v4, 7, v4
	v_cmp_ne_u32_e32 vcc, 0, v4
	s_waitcnt lgkmcnt(0)
	v_mov_b32_dpp v8, v7 row_shr:1 row_mask:0xf bank_mask:0xf
	v_cndmask_b32_e32 v8, 0, v8, vcc
	v_add_u32_e32 v7, v8, v7
	v_cmp_lt_u32_e32 vcc, 1, v4
	s_nop 0
	v_mov_b32_dpp v8, v7 row_shr:2 row_mask:0xf bank_mask:0xf
	v_cndmask_b32_e32 v8, 0, v8, vcc
	v_add_u32_e32 v7, v7, v8
	v_cmp_lt_u32_e32 vcc, 3, v4
	s_nop 0
	v_mov_b32_dpp v8, v7 row_shr:4 row_mask:0xf bank_mask:0xf
	v_cndmask_b32_e32 v4, 0, v8, vcc
	v_add_u32_e32 v4, v7, v4
	ds_write_b32 v6, v4
.LBB44_4:
	s_or_b64 exec, exec, s[0:1]
	v_cmp_lt_u32_e32 vcc, 63, v0
	s_waitcnt lgkmcnt(0)
	s_barrier
	s_and_saveexec_b64 s[0:1], vcc
	s_cbranch_execz .LBB44_6
; %bb.5:
	v_lshl_add_u32 v1, v1, 2, -4
	ds_read_b32 v1, v1
	s_waitcnt lgkmcnt(0)
	v_add_u32_e32 v5, v1, v5
.LBB44_6:
	s_or_b64 exec, exec, s[0:1]
	s_mov_b32 s7, 0
	v_cmp_eq_u32_e32 vcc, 0, v0
	global_store_dword v[2:3], v5, off
	s_and_saveexec_b64 s[0:1], vcc
	s_cbranch_execz .LBB44_8
; %bb.7:
	v_mov_b32_e32 v0, 0
	ds_read_b32 v1, v0 offset:28
	s_lshl_b64 s[0:1], s[6:7], 2
	s_add_u32 s0, s2, s0
	s_addc_u32 s1, s3, s1
	s_waitcnt lgkmcnt(0)
	global_store_dword v0, v1, s[0:1]
.LBB44_8:
	s_endpgm
	.section	.rodata,"a",@progbits
	.p2align	6, 0x0
	.amdhsa_kernel _Z28inclusive_scan_reduce_kernelILj512ELN6hipcub18BlockScanAlgorithmE0EiEvPT1_S3_
		.amdhsa_group_segment_fixed_size 32
		.amdhsa_private_segment_fixed_size 0
		.amdhsa_kernarg_size 16
		.amdhsa_user_sgpr_count 6
		.amdhsa_user_sgpr_private_segment_buffer 1
		.amdhsa_user_sgpr_dispatch_ptr 0
		.amdhsa_user_sgpr_queue_ptr 0
		.amdhsa_user_sgpr_kernarg_segment_ptr 1
		.amdhsa_user_sgpr_dispatch_id 0
		.amdhsa_user_sgpr_flat_scratch_init 0
		.amdhsa_user_sgpr_kernarg_preload_length 0
		.amdhsa_user_sgpr_kernarg_preload_offset 0
		.amdhsa_user_sgpr_private_segment_size 0
		.amdhsa_uses_dynamic_stack 0
		.amdhsa_system_sgpr_private_segment_wavefront_offset 0
		.amdhsa_system_sgpr_workgroup_id_x 1
		.amdhsa_system_sgpr_workgroup_id_y 0
		.amdhsa_system_sgpr_workgroup_id_z 0
		.amdhsa_system_sgpr_workgroup_info 0
		.amdhsa_system_vgpr_workitem_id 0
		.amdhsa_next_free_vgpr 10
		.amdhsa_next_free_sgpr 8
		.amdhsa_accum_offset 12
		.amdhsa_reserve_vcc 1
		.amdhsa_reserve_flat_scratch 0
		.amdhsa_float_round_mode_32 0
		.amdhsa_float_round_mode_16_64 0
		.amdhsa_float_denorm_mode_32 3
		.amdhsa_float_denorm_mode_16_64 3
		.amdhsa_dx10_clamp 1
		.amdhsa_ieee_mode 1
		.amdhsa_fp16_overflow 0
		.amdhsa_tg_split 0
		.amdhsa_exception_fp_ieee_invalid_op 0
		.amdhsa_exception_fp_denorm_src 0
		.amdhsa_exception_fp_ieee_div_zero 0
		.amdhsa_exception_fp_ieee_overflow 0
		.amdhsa_exception_fp_ieee_underflow 0
		.amdhsa_exception_fp_ieee_inexact 0
		.amdhsa_exception_int_div_zero 0
	.end_amdhsa_kernel
	.section	.text._Z28inclusive_scan_reduce_kernelILj512ELN6hipcub18BlockScanAlgorithmE0EiEvPT1_S3_,"axG",@progbits,_Z28inclusive_scan_reduce_kernelILj512ELN6hipcub18BlockScanAlgorithmE0EiEvPT1_S3_,comdat
.Lfunc_end44:
	.size	_Z28inclusive_scan_reduce_kernelILj512ELN6hipcub18BlockScanAlgorithmE0EiEvPT1_S3_, .Lfunc_end44-_Z28inclusive_scan_reduce_kernelILj512ELN6hipcub18BlockScanAlgorithmE0EiEvPT1_S3_
                                        ; -- End function
	.section	.AMDGPU.csdata,"",@progbits
; Kernel info:
; codeLenInByte = 488
; NumSgprs: 12
; NumVgprs: 10
; NumAgprs: 0
; TotalNumVgprs: 10
; ScratchSize: 0
; MemoryBound: 0
; FloatMode: 240
; IeeeMode: 1
; LDSByteSize: 32 bytes/workgroup (compile time only)
; SGPRBlocks: 1
; VGPRBlocks: 1
; NumSGPRsForWavesPerEU: 12
; NumVGPRsForWavesPerEU: 10
; AccumOffset: 12
; Occupancy: 8
; WaveLimiterHint : 0
; COMPUTE_PGM_RSRC2:SCRATCH_EN: 0
; COMPUTE_PGM_RSRC2:USER_SGPR: 6
; COMPUTE_PGM_RSRC2:TRAP_HANDLER: 0
; COMPUTE_PGM_RSRC2:TGID_X_EN: 1
; COMPUTE_PGM_RSRC2:TGID_Y_EN: 0
; COMPUTE_PGM_RSRC2:TGID_Z_EN: 0
; COMPUTE_PGM_RSRC2:TIDIG_COMP_CNT: 0
; COMPUTE_PGM_RSRC3_GFX90A:ACCUM_OFFSET: 2
; COMPUTE_PGM_RSRC3_GFX90A:TG_SPLIT: 0
	.section	.text._Z28inclusive_scan_reduce_kernelILj256ELN6hipcub18BlockScanAlgorithmE0EiEvPT1_S3_,"axG",@progbits,_Z28inclusive_scan_reduce_kernelILj256ELN6hipcub18BlockScanAlgorithmE0EiEvPT1_S3_,comdat
	.protected	_Z28inclusive_scan_reduce_kernelILj256ELN6hipcub18BlockScanAlgorithmE0EiEvPT1_S3_ ; -- Begin function _Z28inclusive_scan_reduce_kernelILj256ELN6hipcub18BlockScanAlgorithmE0EiEvPT1_S3_
	.globl	_Z28inclusive_scan_reduce_kernelILj256ELN6hipcub18BlockScanAlgorithmE0EiEvPT1_S3_
	.p2align	8
	.type	_Z28inclusive_scan_reduce_kernelILj256ELN6hipcub18BlockScanAlgorithmE0EiEvPT1_S3_,@function
_Z28inclusive_scan_reduce_kernelILj256ELN6hipcub18BlockScanAlgorithmE0EiEvPT1_S3_: ; @_Z28inclusive_scan_reduce_kernelILj256ELN6hipcub18BlockScanAlgorithmE0EiEvPT1_S3_
; %bb.0:
	s_load_dwordx4 s[0:3], s[4:5], 0x0
	v_lshl_or_b32 v2, s6, 8, v0
	v_mov_b32_e32 v3, 0
	v_lshlrev_b64 v[2:3], 2, v[2:3]
	v_or_b32_e32 v6, 63, v0
	s_waitcnt lgkmcnt(0)
	v_mov_b32_e32 v1, s1
	v_add_co_u32_e32 v2, vcc, s0, v2
	v_addc_co_u32_e32 v3, vcc, v1, v3, vcc
	global_load_dword v5, v[2:3], off
	v_mbcnt_lo_u32_b32 v1, -1, 0
	v_mbcnt_hi_u32_b32 v1, -1, v1
	v_and_b32_e32 v7, 15, v1
	v_cmp_ne_u32_e32 vcc, 0, v7
	v_bfe_i32 v8, v1, 4, 1
	v_lshrrev_b32_e32 v4, 6, v0
	s_waitcnt vmcnt(0)
	v_mov_b32_dpp v9, v5 row_shr:1 row_mask:0xf bank_mask:0xf
	v_cndmask_b32_e32 v9, 0, v9, vcc
	v_add_u32_e32 v5, v9, v5
	v_cmp_lt_u32_e32 vcc, 1, v7
	s_nop 0
	v_mov_b32_dpp v9, v5 row_shr:2 row_mask:0xf bank_mask:0xf
	v_cndmask_b32_e32 v9, 0, v9, vcc
	v_add_u32_e32 v5, v5, v9
	v_cmp_lt_u32_e32 vcc, 3, v7
	s_nop 0
	v_mov_b32_dpp v9, v5 row_shr:4 row_mask:0xf bank_mask:0xf
	v_cndmask_b32_e32 v9, 0, v9, vcc
	v_add_u32_e32 v5, v5, v9
	v_cmp_lt_u32_e32 vcc, 7, v7
	s_nop 0
	v_mov_b32_dpp v9, v5 row_shr:8 row_mask:0xf bank_mask:0xf
	v_cndmask_b32_e32 v7, 0, v9, vcc
	v_add_u32_e32 v5, v5, v7
	v_cmp_lt_u32_e32 vcc, 31, v1
	s_nop 0
	v_mov_b32_dpp v7, v5 row_bcast:15 row_mask:0xf bank_mask:0xf
	v_and_b32_e32 v7, v8, v7
	v_add_u32_e32 v5, v5, v7
	s_nop 1
	v_mov_b32_dpp v7, v5 row_bcast:31 row_mask:0xf bank_mask:0xf
	v_cndmask_b32_e32 v7, 0, v7, vcc
	v_add_u32_e32 v5, v5, v7
	v_cmp_eq_u32_e32 vcc, v6, v0
	s_and_saveexec_b64 s[0:1], vcc
	s_cbranch_execz .LBB45_2
; %bb.1:
	v_lshlrev_b32_e32 v6, 2, v4
	ds_write_b32 v6, v5
.LBB45_2:
	s_or_b64 exec, exec, s[0:1]
	v_cmp_gt_u32_e32 vcc, 4, v0
	s_waitcnt lgkmcnt(0)
	s_barrier
	s_and_saveexec_b64 s[0:1], vcc
	s_cbranch_execz .LBB45_4
; %bb.3:
	v_lshlrev_b32_e32 v6, 2, v0
	ds_read_b32 v7, v6
	v_and_b32_e32 v1, 3, v1
	v_cmp_ne_u32_e32 vcc, 0, v1
	s_waitcnt lgkmcnt(0)
	v_mov_b32_dpp v8, v7 row_shr:1 row_mask:0xf bank_mask:0xf
	v_cndmask_b32_e32 v8, 0, v8, vcc
	v_add_u32_e32 v7, v8, v7
	v_cmp_lt_u32_e32 vcc, 1, v1
	s_nop 0
	v_mov_b32_dpp v8, v7 row_shr:2 row_mask:0xf bank_mask:0xf
	v_cndmask_b32_e32 v1, 0, v8, vcc
	v_add_u32_e32 v1, v7, v1
	ds_write_b32 v6, v1
.LBB45_4:
	s_or_b64 exec, exec, s[0:1]
	v_cmp_lt_u32_e32 vcc, 63, v0
	s_waitcnt lgkmcnt(0)
	s_barrier
	s_and_saveexec_b64 s[0:1], vcc
	s_cbranch_execz .LBB45_6
; %bb.5:
	v_lshl_add_u32 v1, v4, 2, -4
	ds_read_b32 v1, v1
	s_waitcnt lgkmcnt(0)
	v_add_u32_e32 v5, v1, v5
.LBB45_6:
	s_or_b64 exec, exec, s[0:1]
	s_mov_b32 s7, 0
	v_cmp_eq_u32_e32 vcc, 0, v0
	global_store_dword v[2:3], v5, off
	s_and_saveexec_b64 s[0:1], vcc
	s_cbranch_execz .LBB45_8
; %bb.7:
	v_mov_b32_e32 v0, 0
	ds_read_b32 v1, v0 offset:12
	s_lshl_b64 s[0:1], s[6:7], 2
	s_add_u32 s0, s2, s0
	s_addc_u32 s1, s3, s1
	s_waitcnt lgkmcnt(0)
	global_store_dword v0, v1, s[0:1]
.LBB45_8:
	s_endpgm
	.section	.rodata,"a",@progbits
	.p2align	6, 0x0
	.amdhsa_kernel _Z28inclusive_scan_reduce_kernelILj256ELN6hipcub18BlockScanAlgorithmE0EiEvPT1_S3_
		.amdhsa_group_segment_fixed_size 16
		.amdhsa_private_segment_fixed_size 0
		.amdhsa_kernarg_size 16
		.amdhsa_user_sgpr_count 6
		.amdhsa_user_sgpr_private_segment_buffer 1
		.amdhsa_user_sgpr_dispatch_ptr 0
		.amdhsa_user_sgpr_queue_ptr 0
		.amdhsa_user_sgpr_kernarg_segment_ptr 1
		.amdhsa_user_sgpr_dispatch_id 0
		.amdhsa_user_sgpr_flat_scratch_init 0
		.amdhsa_user_sgpr_kernarg_preload_length 0
		.amdhsa_user_sgpr_kernarg_preload_offset 0
		.amdhsa_user_sgpr_private_segment_size 0
		.amdhsa_uses_dynamic_stack 0
		.amdhsa_system_sgpr_private_segment_wavefront_offset 0
		.amdhsa_system_sgpr_workgroup_id_x 1
		.amdhsa_system_sgpr_workgroup_id_y 0
		.amdhsa_system_sgpr_workgroup_id_z 0
		.amdhsa_system_sgpr_workgroup_info 0
		.amdhsa_system_vgpr_workitem_id 0
		.amdhsa_next_free_vgpr 10
		.amdhsa_next_free_sgpr 8
		.amdhsa_accum_offset 12
		.amdhsa_reserve_vcc 1
		.amdhsa_reserve_flat_scratch 0
		.amdhsa_float_round_mode_32 0
		.amdhsa_float_round_mode_16_64 0
		.amdhsa_float_denorm_mode_32 3
		.amdhsa_float_denorm_mode_16_64 3
		.amdhsa_dx10_clamp 1
		.amdhsa_ieee_mode 1
		.amdhsa_fp16_overflow 0
		.amdhsa_tg_split 0
		.amdhsa_exception_fp_ieee_invalid_op 0
		.amdhsa_exception_fp_denorm_src 0
		.amdhsa_exception_fp_ieee_div_zero 0
		.amdhsa_exception_fp_ieee_overflow 0
		.amdhsa_exception_fp_ieee_underflow 0
		.amdhsa_exception_fp_ieee_inexact 0
		.amdhsa_exception_int_div_zero 0
	.end_amdhsa_kernel
	.section	.text._Z28inclusive_scan_reduce_kernelILj256ELN6hipcub18BlockScanAlgorithmE0EiEvPT1_S3_,"axG",@progbits,_Z28inclusive_scan_reduce_kernelILj256ELN6hipcub18BlockScanAlgorithmE0EiEvPT1_S3_,comdat
.Lfunc_end45:
	.size	_Z28inclusive_scan_reduce_kernelILj256ELN6hipcub18BlockScanAlgorithmE0EiEvPT1_S3_, .Lfunc_end45-_Z28inclusive_scan_reduce_kernelILj256ELN6hipcub18BlockScanAlgorithmE0EiEvPT1_S3_
                                        ; -- End function
	.section	.AMDGPU.csdata,"",@progbits
; Kernel info:
; codeLenInByte = 464
; NumSgprs: 12
; NumVgprs: 10
; NumAgprs: 0
; TotalNumVgprs: 10
; ScratchSize: 0
; MemoryBound: 0
; FloatMode: 240
; IeeeMode: 1
; LDSByteSize: 16 bytes/workgroup (compile time only)
; SGPRBlocks: 1
; VGPRBlocks: 1
; NumSGPRsForWavesPerEU: 12
; NumVGPRsForWavesPerEU: 10
; AccumOffset: 12
; Occupancy: 8
; WaveLimiterHint : 0
; COMPUTE_PGM_RSRC2:SCRATCH_EN: 0
; COMPUTE_PGM_RSRC2:USER_SGPR: 6
; COMPUTE_PGM_RSRC2:TRAP_HANDLER: 0
; COMPUTE_PGM_RSRC2:TGID_X_EN: 1
; COMPUTE_PGM_RSRC2:TGID_Y_EN: 0
; COMPUTE_PGM_RSRC2:TGID_Z_EN: 0
; COMPUTE_PGM_RSRC2:TIDIG_COMP_CNT: 0
; COMPUTE_PGM_RSRC3_GFX90A:ACCUM_OFFSET: 2
; COMPUTE_PGM_RSRC3_GFX90A:TG_SPLIT: 0
	.section	.text._Z28inclusive_scan_reduce_kernelILj128ELN6hipcub18BlockScanAlgorithmE0EiEvPT1_S3_,"axG",@progbits,_Z28inclusive_scan_reduce_kernelILj128ELN6hipcub18BlockScanAlgorithmE0EiEvPT1_S3_,comdat
	.protected	_Z28inclusive_scan_reduce_kernelILj128ELN6hipcub18BlockScanAlgorithmE0EiEvPT1_S3_ ; -- Begin function _Z28inclusive_scan_reduce_kernelILj128ELN6hipcub18BlockScanAlgorithmE0EiEvPT1_S3_
	.globl	_Z28inclusive_scan_reduce_kernelILj128ELN6hipcub18BlockScanAlgorithmE0EiEvPT1_S3_
	.p2align	8
	.type	_Z28inclusive_scan_reduce_kernelILj128ELN6hipcub18BlockScanAlgorithmE0EiEvPT1_S3_,@function
_Z28inclusive_scan_reduce_kernelILj128ELN6hipcub18BlockScanAlgorithmE0EiEvPT1_S3_: ; @_Z28inclusive_scan_reduce_kernelILj128ELN6hipcub18BlockScanAlgorithmE0EiEvPT1_S3_
; %bb.0:
	s_load_dwordx4 s[0:3], s[4:5], 0x0
	v_lshl_or_b32 v2, s6, 7, v0
	v_mov_b32_e32 v3, 0
	v_lshlrev_b64 v[2:3], 2, v[2:3]
	v_or_b32_e32 v6, 63, v0
	s_waitcnt lgkmcnt(0)
	v_mov_b32_e32 v1, s1
	v_add_co_u32_e32 v2, vcc, s0, v2
	v_addc_co_u32_e32 v3, vcc, v1, v3, vcc
	global_load_dword v5, v[2:3], off
	v_mbcnt_lo_u32_b32 v1, -1, 0
	v_mbcnt_hi_u32_b32 v1, -1, v1
	v_and_b32_e32 v7, 15, v1
	v_cmp_ne_u32_e32 vcc, 0, v7
	v_bfe_i32 v8, v1, 4, 1
	v_lshrrev_b32_e32 v4, 6, v0
	s_waitcnt vmcnt(0)
	v_mov_b32_dpp v9, v5 row_shr:1 row_mask:0xf bank_mask:0xf
	v_cndmask_b32_e32 v9, 0, v9, vcc
	v_add_u32_e32 v5, v9, v5
	v_cmp_lt_u32_e32 vcc, 1, v7
	s_nop 0
	v_mov_b32_dpp v9, v5 row_shr:2 row_mask:0xf bank_mask:0xf
	v_cndmask_b32_e32 v9, 0, v9, vcc
	v_add_u32_e32 v5, v5, v9
	v_cmp_lt_u32_e32 vcc, 3, v7
	s_nop 0
	;; [unrolled: 5-line block ×4, first 2 shown]
	v_mov_b32_dpp v7, v5 row_bcast:15 row_mask:0xf bank_mask:0xf
	v_and_b32_e32 v7, v8, v7
	v_add_u32_e32 v5, v5, v7
	s_nop 1
	v_mov_b32_dpp v7, v5 row_bcast:31 row_mask:0xf bank_mask:0xf
	v_cndmask_b32_e32 v7, 0, v7, vcc
	v_add_u32_e32 v5, v5, v7
	v_cmp_eq_u32_e32 vcc, v6, v0
	s_and_saveexec_b64 s[0:1], vcc
	s_cbranch_execz .LBB46_2
; %bb.1:
	v_lshlrev_b32_e32 v6, 2, v4
	ds_write_b32 v6, v5
.LBB46_2:
	s_or_b64 exec, exec, s[0:1]
	v_cmp_gt_u32_e32 vcc, 2, v0
	s_waitcnt lgkmcnt(0)
	s_barrier
	s_and_saveexec_b64 s[0:1], vcc
	s_cbranch_execz .LBB46_4
; %bb.3:
	v_lshlrev_b32_e32 v6, 2, v0
	ds_read_b32 v7, v6
	v_bfe_i32 v1, v1, 0, 1
	s_waitcnt lgkmcnt(0)
	v_mov_b32_dpp v8, v7 row_shr:1 row_mask:0xf bank_mask:0xf
	v_and_b32_e32 v1, v1, v8
	v_add_u32_e32 v1, v1, v7
	ds_write_b32 v6, v1
.LBB46_4:
	s_or_b64 exec, exec, s[0:1]
	v_cmp_lt_u32_e32 vcc, 63, v0
	s_waitcnt lgkmcnt(0)
	s_barrier
	s_and_saveexec_b64 s[0:1], vcc
	s_cbranch_execz .LBB46_6
; %bb.5:
	v_lshl_add_u32 v1, v4, 2, -4
	ds_read_b32 v1, v1
	s_waitcnt lgkmcnt(0)
	v_add_u32_e32 v5, v1, v5
.LBB46_6:
	s_or_b64 exec, exec, s[0:1]
	s_mov_b32 s7, 0
	v_cmp_eq_u32_e32 vcc, 0, v0
	global_store_dword v[2:3], v5, off
	s_and_saveexec_b64 s[0:1], vcc
	s_cbranch_execz .LBB46_8
; %bb.7:
	v_mov_b32_e32 v0, 0
	ds_read_b32 v1, v0 offset:4
	s_lshl_b64 s[0:1], s[6:7], 2
	s_add_u32 s0, s2, s0
	s_addc_u32 s1, s3, s1
	s_waitcnt lgkmcnt(0)
	global_store_dword v0, v1, s[0:1]
.LBB46_8:
	s_endpgm
	.section	.rodata,"a",@progbits
	.p2align	6, 0x0
	.amdhsa_kernel _Z28inclusive_scan_reduce_kernelILj128ELN6hipcub18BlockScanAlgorithmE0EiEvPT1_S3_
		.amdhsa_group_segment_fixed_size 8
		.amdhsa_private_segment_fixed_size 0
		.amdhsa_kernarg_size 16
		.amdhsa_user_sgpr_count 6
		.amdhsa_user_sgpr_private_segment_buffer 1
		.amdhsa_user_sgpr_dispatch_ptr 0
		.amdhsa_user_sgpr_queue_ptr 0
		.amdhsa_user_sgpr_kernarg_segment_ptr 1
		.amdhsa_user_sgpr_dispatch_id 0
		.amdhsa_user_sgpr_flat_scratch_init 0
		.amdhsa_user_sgpr_kernarg_preload_length 0
		.amdhsa_user_sgpr_kernarg_preload_offset 0
		.amdhsa_user_sgpr_private_segment_size 0
		.amdhsa_uses_dynamic_stack 0
		.amdhsa_system_sgpr_private_segment_wavefront_offset 0
		.amdhsa_system_sgpr_workgroup_id_x 1
		.amdhsa_system_sgpr_workgroup_id_y 0
		.amdhsa_system_sgpr_workgroup_id_z 0
		.amdhsa_system_sgpr_workgroup_info 0
		.amdhsa_system_vgpr_workitem_id 0
		.amdhsa_next_free_vgpr 10
		.amdhsa_next_free_sgpr 8
		.amdhsa_accum_offset 12
		.amdhsa_reserve_vcc 1
		.amdhsa_reserve_flat_scratch 0
		.amdhsa_float_round_mode_32 0
		.amdhsa_float_round_mode_16_64 0
		.amdhsa_float_denorm_mode_32 3
		.amdhsa_float_denorm_mode_16_64 3
		.amdhsa_dx10_clamp 1
		.amdhsa_ieee_mode 1
		.amdhsa_fp16_overflow 0
		.amdhsa_tg_split 0
		.amdhsa_exception_fp_ieee_invalid_op 0
		.amdhsa_exception_fp_denorm_src 0
		.amdhsa_exception_fp_ieee_div_zero 0
		.amdhsa_exception_fp_ieee_overflow 0
		.amdhsa_exception_fp_ieee_underflow 0
		.amdhsa_exception_fp_ieee_inexact 0
		.amdhsa_exception_int_div_zero 0
	.end_amdhsa_kernel
	.section	.text._Z28inclusive_scan_reduce_kernelILj128ELN6hipcub18BlockScanAlgorithmE0EiEvPT1_S3_,"axG",@progbits,_Z28inclusive_scan_reduce_kernelILj128ELN6hipcub18BlockScanAlgorithmE0EiEvPT1_S3_,comdat
.Lfunc_end46:
	.size	_Z28inclusive_scan_reduce_kernelILj128ELN6hipcub18BlockScanAlgorithmE0EiEvPT1_S3_, .Lfunc_end46-_Z28inclusive_scan_reduce_kernelILj128ELN6hipcub18BlockScanAlgorithmE0EiEvPT1_S3_
                                        ; -- End function
	.section	.AMDGPU.csdata,"",@progbits
; Kernel info:
; codeLenInByte = 440
; NumSgprs: 12
; NumVgprs: 10
; NumAgprs: 0
; TotalNumVgprs: 10
; ScratchSize: 0
; MemoryBound: 0
; FloatMode: 240
; IeeeMode: 1
; LDSByteSize: 8 bytes/workgroup (compile time only)
; SGPRBlocks: 1
; VGPRBlocks: 1
; NumSGPRsForWavesPerEU: 12
; NumVGPRsForWavesPerEU: 10
; AccumOffset: 12
; Occupancy: 8
; WaveLimiterHint : 0
; COMPUTE_PGM_RSRC2:SCRATCH_EN: 0
; COMPUTE_PGM_RSRC2:USER_SGPR: 6
; COMPUTE_PGM_RSRC2:TRAP_HANDLER: 0
; COMPUTE_PGM_RSRC2:TGID_X_EN: 1
; COMPUTE_PGM_RSRC2:TGID_Y_EN: 0
; COMPUTE_PGM_RSRC2:TGID_Z_EN: 0
; COMPUTE_PGM_RSRC2:TIDIG_COMP_CNT: 0
; COMPUTE_PGM_RSRC3_GFX90A:ACCUM_OFFSET: 2
; COMPUTE_PGM_RSRC3_GFX90A:TG_SPLIT: 0
	.section	.text._Z28inclusive_scan_reduce_kernelILj64ELN6hipcub18BlockScanAlgorithmE0EiEvPT1_S3_,"axG",@progbits,_Z28inclusive_scan_reduce_kernelILj64ELN6hipcub18BlockScanAlgorithmE0EiEvPT1_S3_,comdat
	.protected	_Z28inclusive_scan_reduce_kernelILj64ELN6hipcub18BlockScanAlgorithmE0EiEvPT1_S3_ ; -- Begin function _Z28inclusive_scan_reduce_kernelILj64ELN6hipcub18BlockScanAlgorithmE0EiEvPT1_S3_
	.globl	_Z28inclusive_scan_reduce_kernelILj64ELN6hipcub18BlockScanAlgorithmE0EiEvPT1_S3_
	.p2align	8
	.type	_Z28inclusive_scan_reduce_kernelILj64ELN6hipcub18BlockScanAlgorithmE0EiEvPT1_S3_,@function
_Z28inclusive_scan_reduce_kernelILj64ELN6hipcub18BlockScanAlgorithmE0EiEvPT1_S3_: ; @_Z28inclusive_scan_reduce_kernelILj64ELN6hipcub18BlockScanAlgorithmE0EiEvPT1_S3_
; %bb.0:
	s_load_dwordx4 s[0:3], s[4:5], 0x0
	v_lshl_or_b32 v2, s6, 6, v0
	v_mov_b32_e32 v3, 0
	v_lshlrev_b64 v[4:5], 2, v[2:3]
	v_mbcnt_lo_u32_b32 v2, -1, 0
	s_waitcnt lgkmcnt(0)
	v_mov_b32_e32 v1, s1
	v_add_co_u32_e32 v4, vcc, s0, v4
	v_addc_co_u32_e32 v5, vcc, v1, v5, vcc
	global_load_dword v1, v[4:5], off
	v_mbcnt_hi_u32_b32 v2, -1, v2
	v_and_b32_e32 v6, 15, v2
	v_cmp_ne_u32_e32 vcc, 0, v6
	v_bfe_i32 v7, v2, 4, 1
	s_waitcnt vmcnt(0)
	v_mov_b32_dpp v8, v1 row_shr:1 row_mask:0xf bank_mask:0xf
	v_cndmask_b32_e32 v8, 0, v8, vcc
	v_add_u32_e32 v1, v8, v1
	v_cmp_lt_u32_e32 vcc, 1, v6
	s_nop 0
	v_mov_b32_dpp v8, v1 row_shr:2 row_mask:0xf bank_mask:0xf
	v_cndmask_b32_e32 v8, 0, v8, vcc
	v_add_u32_e32 v1, v1, v8
	v_cmp_lt_u32_e32 vcc, 3, v6
	s_nop 0
	;; [unrolled: 5-line block ×4, first 2 shown]
	v_mov_b32_dpp v6, v1 row_bcast:15 row_mask:0xf bank_mask:0xf
	v_and_b32_e32 v6, v7, v6
	v_add_u32_e32 v1, v1, v6
	s_nop 1
	v_mov_b32_dpp v6, v1 row_bcast:31 row_mask:0xf bank_mask:0xf
	v_cndmask_b32_e32 v2, 0, v6, vcc
	v_add_u32_e32 v1, v1, v2
	v_cmp_eq_u32_e32 vcc, 63, v0
	s_and_saveexec_b64 s[0:1], vcc
	s_cbranch_execz .LBB47_2
; %bb.1:
	ds_write_b32 v3, v1
.LBB47_2:
	s_or_b64 exec, exec, s[0:1]
	v_cmp_eq_u32_e32 vcc, 0, v0
	s_waitcnt lgkmcnt(0)
	; wave barrier
	s_waitcnt lgkmcnt(0)
	global_store_dword v[4:5], v1, off
	s_and_saveexec_b64 s[0:1], vcc
	s_cbranch_execz .LBB47_4
; %bb.3:
	v_mov_b32_e32 v0, 0
	ds_read_b32 v1, v0
	s_mov_b32 s7, 0
	s_lshl_b64 s[0:1], s[6:7], 2
	s_add_u32 s0, s2, s0
	s_addc_u32 s1, s3, s1
	s_waitcnt lgkmcnt(0)
	global_store_dword v0, v1, s[0:1]
.LBB47_4:
	s_endpgm
	.section	.rodata,"a",@progbits
	.p2align	6, 0x0
	.amdhsa_kernel _Z28inclusive_scan_reduce_kernelILj64ELN6hipcub18BlockScanAlgorithmE0EiEvPT1_S3_
		.amdhsa_group_segment_fixed_size 4
		.amdhsa_private_segment_fixed_size 0
		.amdhsa_kernarg_size 16
		.amdhsa_user_sgpr_count 6
		.amdhsa_user_sgpr_private_segment_buffer 1
		.amdhsa_user_sgpr_dispatch_ptr 0
		.amdhsa_user_sgpr_queue_ptr 0
		.amdhsa_user_sgpr_kernarg_segment_ptr 1
		.amdhsa_user_sgpr_dispatch_id 0
		.amdhsa_user_sgpr_flat_scratch_init 0
		.amdhsa_user_sgpr_kernarg_preload_length 0
		.amdhsa_user_sgpr_kernarg_preload_offset 0
		.amdhsa_user_sgpr_private_segment_size 0
		.amdhsa_uses_dynamic_stack 0
		.amdhsa_system_sgpr_private_segment_wavefront_offset 0
		.amdhsa_system_sgpr_workgroup_id_x 1
		.amdhsa_system_sgpr_workgroup_id_y 0
		.amdhsa_system_sgpr_workgroup_id_z 0
		.amdhsa_system_sgpr_workgroup_info 0
		.amdhsa_system_vgpr_workitem_id 0
		.amdhsa_next_free_vgpr 9
		.amdhsa_next_free_sgpr 8
		.amdhsa_accum_offset 12
		.amdhsa_reserve_vcc 1
		.amdhsa_reserve_flat_scratch 0
		.amdhsa_float_round_mode_32 0
		.amdhsa_float_round_mode_16_64 0
		.amdhsa_float_denorm_mode_32 3
		.amdhsa_float_denorm_mode_16_64 3
		.amdhsa_dx10_clamp 1
		.amdhsa_ieee_mode 1
		.amdhsa_fp16_overflow 0
		.amdhsa_tg_split 0
		.amdhsa_exception_fp_ieee_invalid_op 0
		.amdhsa_exception_fp_denorm_src 0
		.amdhsa_exception_fp_ieee_div_zero 0
		.amdhsa_exception_fp_ieee_overflow 0
		.amdhsa_exception_fp_ieee_underflow 0
		.amdhsa_exception_fp_ieee_inexact 0
		.amdhsa_exception_int_div_zero 0
	.end_amdhsa_kernel
	.section	.text._Z28inclusive_scan_reduce_kernelILj64ELN6hipcub18BlockScanAlgorithmE0EiEvPT1_S3_,"axG",@progbits,_Z28inclusive_scan_reduce_kernelILj64ELN6hipcub18BlockScanAlgorithmE0EiEvPT1_S3_,comdat
.Lfunc_end47:
	.size	_Z28inclusive_scan_reduce_kernelILj64ELN6hipcub18BlockScanAlgorithmE0EiEvPT1_S3_, .Lfunc_end47-_Z28inclusive_scan_reduce_kernelILj64ELN6hipcub18BlockScanAlgorithmE0EiEvPT1_S3_
                                        ; -- End function
	.section	.AMDGPU.csdata,"",@progbits
; Kernel info:
; codeLenInByte = 316
; NumSgprs: 12
; NumVgprs: 9
; NumAgprs: 0
; TotalNumVgprs: 9
; ScratchSize: 0
; MemoryBound: 0
; FloatMode: 240
; IeeeMode: 1
; LDSByteSize: 4 bytes/workgroup (compile time only)
; SGPRBlocks: 1
; VGPRBlocks: 1
; NumSGPRsForWavesPerEU: 12
; NumVGPRsForWavesPerEU: 9
; AccumOffset: 12
; Occupancy: 8
; WaveLimiterHint : 0
; COMPUTE_PGM_RSRC2:SCRATCH_EN: 0
; COMPUTE_PGM_RSRC2:USER_SGPR: 6
; COMPUTE_PGM_RSRC2:TRAP_HANDLER: 0
; COMPUTE_PGM_RSRC2:TGID_X_EN: 1
; COMPUTE_PGM_RSRC2:TGID_Y_EN: 0
; COMPUTE_PGM_RSRC2:TGID_Z_EN: 0
; COMPUTE_PGM_RSRC2:TIDIG_COMP_CNT: 0
; COMPUTE_PGM_RSRC3_GFX90A:ACCUM_OFFSET: 2
; COMPUTE_PGM_RSRC3_GFX90A:TG_SPLIT: 0
	.section	.text._Z37inclusive_scan_prefix_callback_kernelILj377ELN6hipcub18BlockScanAlgorithmE1EhEvPT1_S3_S2_,"axG",@progbits,_Z37inclusive_scan_prefix_callback_kernelILj377ELN6hipcub18BlockScanAlgorithmE1EhEvPT1_S3_S2_,comdat
	.protected	_Z37inclusive_scan_prefix_callback_kernelILj377ELN6hipcub18BlockScanAlgorithmE1EhEvPT1_S3_S2_ ; -- Begin function _Z37inclusive_scan_prefix_callback_kernelILj377ELN6hipcub18BlockScanAlgorithmE1EhEvPT1_S3_S2_
	.globl	_Z37inclusive_scan_prefix_callback_kernelILj377ELN6hipcub18BlockScanAlgorithmE1EhEvPT1_S3_S2_
	.p2align	8
	.type	_Z37inclusive_scan_prefix_callback_kernelILj377ELN6hipcub18BlockScanAlgorithmE1EhEvPT1_S3_S2_,@function
_Z37inclusive_scan_prefix_callback_kernelILj377ELN6hipcub18BlockScanAlgorithmE1EhEvPT1_S3_S2_: ; @_Z37inclusive_scan_prefix_callback_kernelILj377ELN6hipcub18BlockScanAlgorithmE1EhEvPT1_S3_S2_
; %bb.0:
	s_load_dwordx4 s[0:3], s[4:5], 0x0
	s_mul_i32 s7, s6, 0x179
	v_add_u32_e32 v2, s7, v0
	s_waitcnt lgkmcnt(0)
	global_load_ubyte v1, v2, s[0:1]
	v_mov_b32_e32 v3, s1
	v_add_co_u32_e32 v2, vcc, s0, v2
	v_addc_co_u32_e32 v3, vcc, 0, v3, vcc
	v_cmp_gt_u32_e32 vcc, 64, v0
	s_waitcnt vmcnt(0)
	ds_write_b8 v0, v1
	s_waitcnt lgkmcnt(0)
	s_barrier
	s_and_saveexec_b64 s[8:9], vcc
	s_cbranch_execz .LBB48_2
; %bb.1:
	v_mul_u32_u24_e32 v4, 6, v0
	ds_read_u8 v5, v4
	ds_read_u8 v6, v4 offset:1
	ds_read_u8 v7, v4 offset:2
	;; [unrolled: 1-line block ×5, first 2 shown]
	s_waitcnt lgkmcnt(4)
	v_add_u16_e32 v11, v6, v5
	s_waitcnt lgkmcnt(3)
	v_add_u16_e32 v11, v11, v7
	;; [unrolled: 2-line block ×4, first 2 shown]
	v_mbcnt_lo_u32_b32 v12, -1, 0
	s_waitcnt lgkmcnt(0)
	v_add_u16_e32 v11, v11, v10
	v_mbcnt_hi_u32_b32 v12, -1, v12
	v_and_b32_e32 v13, 15, v12
	v_and_b32_e32 v14, 0xff, v11
	v_cmp_ne_u32_e64 s[0:1], 0, v13
	s_nop 0
	v_mov_b32_dpp v14, v14 row_shr:1 row_mask:0xf bank_mask:0xf
	v_cndmask_b32_e64 v14, 0, v14, s[0:1]
	v_add_u16_e32 v11, v14, v11
	v_and_b32_e32 v14, 0xff, v11
	v_cmp_lt_u32_e64 s[0:1], 1, v13
	s_nop 0
	v_mov_b32_dpp v14, v14 row_shr:2 row_mask:0xf bank_mask:0xf
	v_cndmask_b32_e64 v14, 0, v14, s[0:1]
	v_add_u16_e32 v11, v11, v14
	v_and_b32_e32 v14, 0xff, v11
	v_cmp_lt_u32_e64 s[0:1], 3, v13
	;; [unrolled: 6-line block ×3, first 2 shown]
	s_nop 0
	v_mov_b32_dpp v14, v14 row_shr:8 row_mask:0xf bank_mask:0xf
	v_cndmask_b32_e64 v13, 0, v14, s[0:1]
	v_add_u16_e32 v11, v11, v13
	v_and_b32_e32 v13, 0xff, v11
	v_and_b32_e32 v14, 16, v12
	v_cmp_ne_u32_e64 s[0:1], 0, v14
	v_mov_b32_dpp v13, v13 row_bcast:15 row_mask:0xf bank_mask:0xf
	v_cndmask_b32_e64 v13, 0, v13, s[0:1]
	v_add_u16_e32 v11, v11, v13
	v_and_b32_e32 v13, 0xff, v11
	v_cmp_lt_u32_e64 s[0:1], 31, v12
	v_and_b32_e32 v14, 64, v12
	v_mov_b32_dpp v13, v13 row_bcast:31 row_mask:0xf bank_mask:0xf
	v_cndmask_b32_e64 v13, 0, v13, s[0:1]
	v_add_u16_e32 v11, v11, v13
	v_add_u32_e32 v13, -1, v12
	v_cmp_lt_i32_e64 s[0:1], v13, v14
	v_cndmask_b32_e64 v12, v13, v12, s[0:1]
	v_and_b32_e32 v11, 0xff, v11
	v_lshlrev_b32_e32 v12, 2, v12
	ds_bpermute_b32 v11, v12, v11
	v_cmp_eq_u32_e64 s[0:1], 0, v0
	s_waitcnt lgkmcnt(0)
	v_add_u16_e32 v5, v5, v11
	v_cndmask_b32_e64 v1, v5, v1, s[0:1]
	ds_write_b8 v4, v1
	v_add_u16_e32 v1, v1, v6
	ds_write_b8 v4, v1 offset:1
	v_add_u16_e32 v1, v1, v7
	ds_write_b8 v4, v1 offset:2
	;; [unrolled: 2-line block ×5, first 2 shown]
.LBB48_2:
	s_or_b64 exec, exec, s[8:9]
	s_load_dword s7, s[4:5], 0x10
	s_waitcnt lgkmcnt(0)
	s_barrier
	ds_read_u8 v1, v0
	v_mov_b32_e32 v4, s7
	s_and_saveexec_b64 s[0:1], vcc
	s_cbranch_execz .LBB48_6
; %bb.3:
	v_mov_b32_e32 v5, 0
	ds_read_u8 v4, v5 offset:376
	s_and_b32 s8, s7, 0xff
	v_cmp_eq_u32_e32 vcc, 0, v0
	s_and_saveexec_b64 s[4:5], vcc
	s_cbranch_execz .LBB48_5
; %bb.4:
	v_mov_b32_e32 v6, s7
	ds_write_b8 v5, v6
.LBB48_5:
	s_or_b64 exec, exec, s[4:5]
	s_waitcnt lgkmcnt(0)
	v_add_u32_e32 v4, s8, v4
.LBB48_6:
	s_or_b64 exec, exec, s[0:1]
	v_mov_b32_e32 v5, 0
	s_waitcnt lgkmcnt(0)
	s_barrier
	ds_read_u8 v5, v5
	v_cmp_eq_u32_e32 vcc, 0, v0
	s_waitcnt lgkmcnt(0)
	v_add_u16_e32 v1, v5, v1
	global_store_byte v[2:3], v1, off
	s_and_saveexec_b64 s[0:1], vcc
	s_cbranch_execz .LBB48_8
; %bb.7:
	v_mov_b32_e32 v0, s6
	global_store_byte v0, v4, s[2:3]
.LBB48_8:
	s_endpgm
	.section	.rodata,"a",@progbits
	.p2align	6, 0x0
	.amdhsa_kernel _Z37inclusive_scan_prefix_callback_kernelILj377ELN6hipcub18BlockScanAlgorithmE1EhEvPT1_S3_S2_
		.amdhsa_group_segment_fixed_size 384
		.amdhsa_private_segment_fixed_size 0
		.amdhsa_kernarg_size 20
		.amdhsa_user_sgpr_count 6
		.amdhsa_user_sgpr_private_segment_buffer 1
		.amdhsa_user_sgpr_dispatch_ptr 0
		.amdhsa_user_sgpr_queue_ptr 0
		.amdhsa_user_sgpr_kernarg_segment_ptr 1
		.amdhsa_user_sgpr_dispatch_id 0
		.amdhsa_user_sgpr_flat_scratch_init 0
		.amdhsa_user_sgpr_kernarg_preload_length 0
		.amdhsa_user_sgpr_kernarg_preload_offset 0
		.amdhsa_user_sgpr_private_segment_size 0
		.amdhsa_uses_dynamic_stack 0
		.amdhsa_system_sgpr_private_segment_wavefront_offset 0
		.amdhsa_system_sgpr_workgroup_id_x 1
		.amdhsa_system_sgpr_workgroup_id_y 0
		.amdhsa_system_sgpr_workgroup_id_z 0
		.amdhsa_system_sgpr_workgroup_info 0
		.amdhsa_system_vgpr_workitem_id 0
		.amdhsa_next_free_vgpr 15
		.amdhsa_next_free_sgpr 10
		.amdhsa_accum_offset 16
		.amdhsa_reserve_vcc 1
		.amdhsa_reserve_flat_scratch 0
		.amdhsa_float_round_mode_32 0
		.amdhsa_float_round_mode_16_64 0
		.amdhsa_float_denorm_mode_32 3
		.amdhsa_float_denorm_mode_16_64 3
		.amdhsa_dx10_clamp 1
		.amdhsa_ieee_mode 1
		.amdhsa_fp16_overflow 0
		.amdhsa_tg_split 0
		.amdhsa_exception_fp_ieee_invalid_op 0
		.amdhsa_exception_fp_denorm_src 0
		.amdhsa_exception_fp_ieee_div_zero 0
		.amdhsa_exception_fp_ieee_overflow 0
		.amdhsa_exception_fp_ieee_underflow 0
		.amdhsa_exception_fp_ieee_inexact 0
		.amdhsa_exception_int_div_zero 0
	.end_amdhsa_kernel
	.section	.text._Z37inclusive_scan_prefix_callback_kernelILj377ELN6hipcub18BlockScanAlgorithmE1EhEvPT1_S3_S2_,"axG",@progbits,_Z37inclusive_scan_prefix_callback_kernelILj377ELN6hipcub18BlockScanAlgorithmE1EhEvPT1_S3_S2_,comdat
.Lfunc_end48:
	.size	_Z37inclusive_scan_prefix_callback_kernelILj377ELN6hipcub18BlockScanAlgorithmE1EhEvPT1_S3_S2_, .Lfunc_end48-_Z37inclusive_scan_prefix_callback_kernelILj377ELN6hipcub18BlockScanAlgorithmE1EhEvPT1_S3_S2_
                                        ; -- End function
	.section	.AMDGPU.csdata,"",@progbits
; Kernel info:
; codeLenInByte = 724
; NumSgprs: 14
; NumVgprs: 15
; NumAgprs: 0
; TotalNumVgprs: 15
; ScratchSize: 0
; MemoryBound: 0
; FloatMode: 240
; IeeeMode: 1
; LDSByteSize: 384 bytes/workgroup (compile time only)
; SGPRBlocks: 1
; VGPRBlocks: 1
; NumSGPRsForWavesPerEU: 14
; NumVGPRsForWavesPerEU: 15
; AccumOffset: 16
; Occupancy: 8
; WaveLimiterHint : 0
; COMPUTE_PGM_RSRC2:SCRATCH_EN: 0
; COMPUTE_PGM_RSRC2:USER_SGPR: 6
; COMPUTE_PGM_RSRC2:TRAP_HANDLER: 0
; COMPUTE_PGM_RSRC2:TGID_X_EN: 1
; COMPUTE_PGM_RSRC2:TGID_Y_EN: 0
; COMPUTE_PGM_RSRC2:TGID_Z_EN: 0
; COMPUTE_PGM_RSRC2:TIDIG_COMP_CNT: 0
; COMPUTE_PGM_RSRC3_GFX90A:ACCUM_OFFSET: 3
; COMPUTE_PGM_RSRC3_GFX90A:TG_SPLIT: 0
	.section	.text._Z37inclusive_scan_prefix_callback_kernelILj377ELN6hipcub18BlockScanAlgorithmE1EiEvPT1_S3_S2_,"axG",@progbits,_Z37inclusive_scan_prefix_callback_kernelILj377ELN6hipcub18BlockScanAlgorithmE1EiEvPT1_S3_S2_,comdat
	.protected	_Z37inclusive_scan_prefix_callback_kernelILj377ELN6hipcub18BlockScanAlgorithmE1EiEvPT1_S3_S2_ ; -- Begin function _Z37inclusive_scan_prefix_callback_kernelILj377ELN6hipcub18BlockScanAlgorithmE1EiEvPT1_S3_S2_
	.globl	_Z37inclusive_scan_prefix_callback_kernelILj377ELN6hipcub18BlockScanAlgorithmE1EiEvPT1_S3_S2_
	.p2align	8
	.type	_Z37inclusive_scan_prefix_callback_kernelILj377ELN6hipcub18BlockScanAlgorithmE1EiEvPT1_S3_S2_,@function
_Z37inclusive_scan_prefix_callback_kernelILj377ELN6hipcub18BlockScanAlgorithmE1EiEvPT1_S3_S2_: ; @_Z37inclusive_scan_prefix_callback_kernelILj377ELN6hipcub18BlockScanAlgorithmE1EiEvPT1_S3_S2_
; %bb.0:
	s_load_dwordx4 s[0:3], s[4:5], 0x0
	s_mul_i32 s7, s6, 0x179
	v_add_u32_e32 v2, s7, v0
	v_mov_b32_e32 v3, 0
	v_lshlrev_b64 v[2:3], 2, v[2:3]
	s_waitcnt lgkmcnt(0)
	v_mov_b32_e32 v1, s1
	v_add_co_u32_e32 v2, vcc, s0, v2
	v_addc_co_u32_e32 v3, vcc, v1, v3, vcc
	global_load_dword v4, v[2:3], off
	v_lshlrev_b32_e32 v1, 2, v0
	v_cmp_gt_u32_e32 vcc, 64, v0
	s_waitcnt vmcnt(0)
	ds_write_b32 v1, v4
	s_waitcnt lgkmcnt(0)
	s_barrier
	s_and_saveexec_b64 s[8:9], vcc
	s_cbranch_execz .LBB49_2
; %bb.1:
	v_mul_u32_u24_e32 v5, 6, v0
	v_lshlrev_b32_e32 v5, 2, v5
	ds_read2_b32 v[6:7], v5 offset1:1
	ds_read2_b32 v[8:9], v5 offset0:2 offset1:3
	ds_read2_b32 v[10:11], v5 offset0:4 offset1:5
	v_mbcnt_lo_u32_b32 v12, -1, 0
	v_mbcnt_hi_u32_b32 v12, -1, v12
	s_waitcnt lgkmcnt(2)
	v_add_u32_e32 v13, v7, v6
	s_waitcnt lgkmcnt(1)
	v_add3_u32 v13, v13, v8, v9
	s_waitcnt lgkmcnt(0)
	v_add3_u32 v13, v13, v10, v11
	v_and_b32_e32 v14, 15, v12
	v_cmp_ne_u32_e64 s[0:1], 0, v14
	v_mov_b32_dpp v15, v13 row_shr:1 row_mask:0xf bank_mask:0xf
	v_cndmask_b32_e64 v15, 0, v15, s[0:1]
	v_add_u32_e32 v13, v15, v13
	v_cmp_lt_u32_e64 s[0:1], 1, v14
	s_nop 0
	v_mov_b32_dpp v15, v13 row_shr:2 row_mask:0xf bank_mask:0xf
	v_cndmask_b32_e64 v15, 0, v15, s[0:1]
	v_add_u32_e32 v13, v13, v15
	v_cmp_lt_u32_e64 s[0:1], 3, v14
	s_nop 0
	;; [unrolled: 5-line block ×3, first 2 shown]
	v_mov_b32_dpp v15, v13 row_shr:8 row_mask:0xf bank_mask:0xf
	v_cndmask_b32_e64 v14, 0, v15, s[0:1]
	v_add_u32_e32 v13, v13, v14
	v_bfe_i32 v15, v12, 4, 1
	v_cmp_lt_u32_e64 s[0:1], 31, v12
	v_mov_b32_dpp v14, v13 row_bcast:15 row_mask:0xf bank_mask:0xf
	v_and_b32_e32 v14, v15, v14
	v_add_u32_e32 v13, v13, v14
	v_and_b32_e32 v15, 64, v12
	s_nop 0
	v_mov_b32_dpp v14, v13 row_bcast:31 row_mask:0xf bank_mask:0xf
	v_cndmask_b32_e64 v14, 0, v14, s[0:1]
	v_add_u32_e32 v13, v13, v14
	v_add_u32_e32 v14, -1, v12
	v_cmp_lt_i32_e64 s[0:1], v14, v15
	v_cndmask_b32_e64 v12, v14, v12, s[0:1]
	v_lshlrev_b32_e32 v12, 2, v12
	ds_bpermute_b32 v12, v12, v13
	v_cmp_eq_u32_e64 s[0:1], 0, v0
	s_waitcnt lgkmcnt(0)
	v_add_u32_e32 v6, v12, v6
	v_cndmask_b32_e64 v4, v6, v4, s[0:1]
	v_add_u32_e32 v6, v4, v7
	ds_write2_b32 v5, v4, v6 offset1:1
	v_add_u32_e32 v4, v6, v8
	v_add_u32_e32 v6, v4, v9
	ds_write2_b32 v5, v4, v6 offset0:2 offset1:3
	v_add_u32_e32 v4, v6, v10
	v_add_u32_e32 v6, v4, v11
	ds_write2_b32 v5, v4, v6 offset0:4 offset1:5
.LBB49_2:
	s_or_b64 exec, exec, s[8:9]
	s_load_dword s7, s[4:5], 0x10
	s_waitcnt lgkmcnt(0)
	s_barrier
	ds_read_b32 v4, v1
	v_mov_b32_e32 v1, s7
	s_and_saveexec_b64 s[0:1], vcc
	s_cbranch_execz .LBB49_6
; %bb.3:
	v_mov_b32_e32 v5, 0
	ds_read_b32 v1, v5 offset:1504
	v_cmp_eq_u32_e32 vcc, 0, v0
	s_and_saveexec_b64 s[4:5], vcc
	s_cbranch_execz .LBB49_5
; %bb.4:
	v_mov_b32_e32 v6, s7
	ds_write_b32 v5, v6
.LBB49_5:
	s_or_b64 exec, exec, s[4:5]
	s_waitcnt lgkmcnt(0)
	v_add_u32_e32 v1, s7, v1
.LBB49_6:
	s_or_b64 exec, exec, s[0:1]
	v_mov_b32_e32 v5, 0
	s_waitcnt lgkmcnt(0)
	s_barrier
	ds_read_b32 v6, v5
	s_mov_b32 s7, 0
	v_cmp_eq_u32_e32 vcc, 0, v0
	s_waitcnt lgkmcnt(0)
	v_add_u32_e32 v4, v6, v4
	global_store_dword v[2:3], v4, off
	s_and_saveexec_b64 s[0:1], vcc
	s_cbranch_execz .LBB49_8
; %bb.7:
	s_lshl_b64 s[0:1], s[6:7], 2
	s_add_u32 s0, s2, s0
	s_addc_u32 s1, s3, s1
	global_store_dword v5, v1, s[0:1]
.LBB49_8:
	s_endpgm
	.section	.rodata,"a",@progbits
	.p2align	6, 0x0
	.amdhsa_kernel _Z37inclusive_scan_prefix_callback_kernelILj377ELN6hipcub18BlockScanAlgorithmE1EiEvPT1_S3_S2_
		.amdhsa_group_segment_fixed_size 1536
		.amdhsa_private_segment_fixed_size 0
		.amdhsa_kernarg_size 20
		.amdhsa_user_sgpr_count 6
		.amdhsa_user_sgpr_private_segment_buffer 1
		.amdhsa_user_sgpr_dispatch_ptr 0
		.amdhsa_user_sgpr_queue_ptr 0
		.amdhsa_user_sgpr_kernarg_segment_ptr 1
		.amdhsa_user_sgpr_dispatch_id 0
		.amdhsa_user_sgpr_flat_scratch_init 0
		.amdhsa_user_sgpr_kernarg_preload_length 0
		.amdhsa_user_sgpr_kernarg_preload_offset 0
		.amdhsa_user_sgpr_private_segment_size 0
		.amdhsa_uses_dynamic_stack 0
		.amdhsa_system_sgpr_private_segment_wavefront_offset 0
		.amdhsa_system_sgpr_workgroup_id_x 1
		.amdhsa_system_sgpr_workgroup_id_y 0
		.amdhsa_system_sgpr_workgroup_id_z 0
		.amdhsa_system_sgpr_workgroup_info 0
		.amdhsa_system_vgpr_workitem_id 0
		.amdhsa_next_free_vgpr 16
		.amdhsa_next_free_sgpr 10
		.amdhsa_accum_offset 16
		.amdhsa_reserve_vcc 1
		.amdhsa_reserve_flat_scratch 0
		.amdhsa_float_round_mode_32 0
		.amdhsa_float_round_mode_16_64 0
		.amdhsa_float_denorm_mode_32 3
		.amdhsa_float_denorm_mode_16_64 3
		.amdhsa_dx10_clamp 1
		.amdhsa_ieee_mode 1
		.amdhsa_fp16_overflow 0
		.amdhsa_tg_split 0
		.amdhsa_exception_fp_ieee_invalid_op 0
		.amdhsa_exception_fp_denorm_src 0
		.amdhsa_exception_fp_ieee_div_zero 0
		.amdhsa_exception_fp_ieee_overflow 0
		.amdhsa_exception_fp_ieee_underflow 0
		.amdhsa_exception_fp_ieee_inexact 0
		.amdhsa_exception_int_div_zero 0
	.end_amdhsa_kernel
	.section	.text._Z37inclusive_scan_prefix_callback_kernelILj377ELN6hipcub18BlockScanAlgorithmE1EiEvPT1_S3_S2_,"axG",@progbits,_Z37inclusive_scan_prefix_callback_kernelILj377ELN6hipcub18BlockScanAlgorithmE1EiEvPT1_S3_S2_,comdat
.Lfunc_end49:
	.size	_Z37inclusive_scan_prefix_callback_kernelILj377ELN6hipcub18BlockScanAlgorithmE1EiEvPT1_S3_S2_, .Lfunc_end49-_Z37inclusive_scan_prefix_callback_kernelILj377ELN6hipcub18BlockScanAlgorithmE1EiEvPT1_S3_S2_
                                        ; -- End function
	.section	.AMDGPU.csdata,"",@progbits
; Kernel info:
; codeLenInByte = 628
; NumSgprs: 14
; NumVgprs: 16
; NumAgprs: 0
; TotalNumVgprs: 16
; ScratchSize: 0
; MemoryBound: 0
; FloatMode: 240
; IeeeMode: 1
; LDSByteSize: 1536 bytes/workgroup (compile time only)
; SGPRBlocks: 1
; VGPRBlocks: 1
; NumSGPRsForWavesPerEU: 14
; NumVGPRsForWavesPerEU: 16
; AccumOffset: 16
; Occupancy: 8
; WaveLimiterHint : 0
; COMPUTE_PGM_RSRC2:SCRATCH_EN: 0
; COMPUTE_PGM_RSRC2:USER_SGPR: 6
; COMPUTE_PGM_RSRC2:TRAP_HANDLER: 0
; COMPUTE_PGM_RSRC2:TGID_X_EN: 1
; COMPUTE_PGM_RSRC2:TGID_Y_EN: 0
; COMPUTE_PGM_RSRC2:TGID_Z_EN: 0
; COMPUTE_PGM_RSRC2:TIDIG_COMP_CNT: 0
; COMPUTE_PGM_RSRC3_GFX90A:ACCUM_OFFSET: 3
; COMPUTE_PGM_RSRC3_GFX90A:TG_SPLIT: 0
	.section	.text._Z37inclusive_scan_prefix_callback_kernelILj255ELN6hipcub18BlockScanAlgorithmE1EjEvPT1_S3_S2_,"axG",@progbits,_Z37inclusive_scan_prefix_callback_kernelILj255ELN6hipcub18BlockScanAlgorithmE1EjEvPT1_S3_S2_,comdat
	.protected	_Z37inclusive_scan_prefix_callback_kernelILj255ELN6hipcub18BlockScanAlgorithmE1EjEvPT1_S3_S2_ ; -- Begin function _Z37inclusive_scan_prefix_callback_kernelILj255ELN6hipcub18BlockScanAlgorithmE1EjEvPT1_S3_S2_
	.globl	_Z37inclusive_scan_prefix_callback_kernelILj255ELN6hipcub18BlockScanAlgorithmE1EjEvPT1_S3_S2_
	.p2align	8
	.type	_Z37inclusive_scan_prefix_callback_kernelILj255ELN6hipcub18BlockScanAlgorithmE1EjEvPT1_S3_S2_,@function
_Z37inclusive_scan_prefix_callback_kernelILj255ELN6hipcub18BlockScanAlgorithmE1EjEvPT1_S3_S2_: ; @_Z37inclusive_scan_prefix_callback_kernelILj255ELN6hipcub18BlockScanAlgorithmE1EjEvPT1_S3_S2_
; %bb.0:
	s_load_dwordx4 s[0:3], s[4:5], 0x0
	s_mul_i32 s7, s6, 0xff
	v_add_u32_e32 v2, s7, v0
	v_mov_b32_e32 v3, 0
	v_lshlrev_b64 v[2:3], 2, v[2:3]
	s_waitcnt lgkmcnt(0)
	v_mov_b32_e32 v1, s1
	v_add_co_u32_e32 v2, vcc, s0, v2
	v_addc_co_u32_e32 v3, vcc, v1, v3, vcc
	global_load_dword v4, v[2:3], off
	v_lshrrev_b32_e32 v1, 5, v0
	v_add_lshl_u32 v1, v1, v0, 2
	v_cmp_gt_u32_e32 vcc, 64, v0
	s_waitcnt vmcnt(0)
	ds_write_b32 v1, v4
	s_waitcnt lgkmcnt(0)
	s_barrier
	s_and_saveexec_b64 s[8:9], vcc
	s_cbranch_execz .LBB50_2
; %bb.1:
	v_lshlrev_b32_e32 v5, 2, v0
	v_lshrrev_b32_e32 v6, 3, v0
	v_add_lshl_u32 v5, v6, v5, 2
	ds_read2_b32 v[6:7], v5 offset1:1
	ds_read2_b32 v[8:9], v5 offset0:2 offset1:3
	v_mbcnt_lo_u32_b32 v10, -1, 0
	v_mbcnt_hi_u32_b32 v10, -1, v10
	v_and_b32_e32 v12, 15, v10
	s_waitcnt lgkmcnt(1)
	v_add_u32_e32 v11, v7, v6
	s_waitcnt lgkmcnt(0)
	v_add3_u32 v11, v11, v8, v9
	v_cmp_ne_u32_e64 s[0:1], 0, v12
	s_nop 0
	v_mov_b32_dpp v13, v11 row_shr:1 row_mask:0xf bank_mask:0xf
	v_cndmask_b32_e64 v13, 0, v13, s[0:1]
	v_add_u32_e32 v11, v13, v11
	v_cmp_lt_u32_e64 s[0:1], 1, v12
	s_nop 0
	v_mov_b32_dpp v13, v11 row_shr:2 row_mask:0xf bank_mask:0xf
	v_cndmask_b32_e64 v13, 0, v13, s[0:1]
	v_add_u32_e32 v11, v11, v13
	v_cmp_lt_u32_e64 s[0:1], 3, v12
	;; [unrolled: 5-line block ×3, first 2 shown]
	s_nop 0
	v_mov_b32_dpp v13, v11 row_shr:8 row_mask:0xf bank_mask:0xf
	v_cndmask_b32_e64 v12, 0, v13, s[0:1]
	v_add_u32_e32 v11, v11, v12
	v_bfe_i32 v13, v10, 4, 1
	v_cmp_lt_u32_e64 s[0:1], 31, v10
	v_mov_b32_dpp v12, v11 row_bcast:15 row_mask:0xf bank_mask:0xf
	v_and_b32_e32 v12, v13, v12
	v_add_u32_e32 v11, v11, v12
	v_and_b32_e32 v13, 64, v10
	s_nop 0
	v_mov_b32_dpp v12, v11 row_bcast:31 row_mask:0xf bank_mask:0xf
	v_cndmask_b32_e64 v12, 0, v12, s[0:1]
	v_add_u32_e32 v11, v11, v12
	v_add_u32_e32 v12, -1, v10
	v_cmp_lt_i32_e64 s[0:1], v12, v13
	v_cndmask_b32_e64 v10, v12, v10, s[0:1]
	v_lshlrev_b32_e32 v10, 2, v10
	ds_bpermute_b32 v10, v10, v11
	v_cmp_eq_u32_e64 s[0:1], 0, v0
	s_waitcnt lgkmcnt(0)
	v_add_u32_e32 v6, v10, v6
	v_cndmask_b32_e64 v4, v6, v4, s[0:1]
	v_add_u32_e32 v6, v4, v7
	ds_write2_b32 v5, v4, v6 offset1:1
	v_add_u32_e32 v4, v6, v8
	v_add_u32_e32 v6, v4, v9
	ds_write2_b32 v5, v4, v6 offset0:2 offset1:3
.LBB50_2:
	s_or_b64 exec, exec, s[8:9]
	s_load_dword s7, s[4:5], 0x10
	s_waitcnt lgkmcnt(0)
	s_barrier
	ds_read_b32 v4, v1
	v_mov_b32_e32 v1, s7
	s_and_saveexec_b64 s[0:1], vcc
	s_cbranch_execz .LBB50_6
; %bb.3:
	v_mov_b32_e32 v5, 0
	ds_read_b32 v1, v5 offset:1044
	v_cmp_eq_u32_e32 vcc, 0, v0
	s_and_saveexec_b64 s[4:5], vcc
	s_cbranch_execz .LBB50_5
; %bb.4:
	v_mov_b32_e32 v6, s7
	ds_write_b32 v5, v6
.LBB50_5:
	s_or_b64 exec, exec, s[4:5]
	s_waitcnt lgkmcnt(0)
	v_add_u32_e32 v1, s7, v1
.LBB50_6:
	s_or_b64 exec, exec, s[0:1]
	v_mov_b32_e32 v5, 0
	s_waitcnt lgkmcnt(0)
	s_barrier
	ds_read_b32 v6, v5
	s_mov_b32 s7, 0
	v_cmp_eq_u32_e32 vcc, 0, v0
	s_waitcnt lgkmcnt(0)
	v_add_u32_e32 v4, v6, v4
	global_store_dword v[2:3], v4, off
	s_and_saveexec_b64 s[0:1], vcc
	s_cbranch_execz .LBB50_8
; %bb.7:
	s_lshl_b64 s[0:1], s[6:7], 2
	s_add_u32 s0, s2, s0
	s_addc_u32 s1, s3, s1
	global_store_dword v5, v1, s[0:1]
.LBB50_8:
	s_endpgm
	.section	.rodata,"a",@progbits
	.p2align	6, 0x0
	.amdhsa_kernel _Z37inclusive_scan_prefix_callback_kernelILj255ELN6hipcub18BlockScanAlgorithmE1EjEvPT1_S3_S2_
		.amdhsa_group_segment_fixed_size 1056
		.amdhsa_private_segment_fixed_size 0
		.amdhsa_kernarg_size 20
		.amdhsa_user_sgpr_count 6
		.amdhsa_user_sgpr_private_segment_buffer 1
		.amdhsa_user_sgpr_dispatch_ptr 0
		.amdhsa_user_sgpr_queue_ptr 0
		.amdhsa_user_sgpr_kernarg_segment_ptr 1
		.amdhsa_user_sgpr_dispatch_id 0
		.amdhsa_user_sgpr_flat_scratch_init 0
		.amdhsa_user_sgpr_kernarg_preload_length 0
		.amdhsa_user_sgpr_kernarg_preload_offset 0
		.amdhsa_user_sgpr_private_segment_size 0
		.amdhsa_uses_dynamic_stack 0
		.amdhsa_system_sgpr_private_segment_wavefront_offset 0
		.amdhsa_system_sgpr_workgroup_id_x 1
		.amdhsa_system_sgpr_workgroup_id_y 0
		.amdhsa_system_sgpr_workgroup_id_z 0
		.amdhsa_system_sgpr_workgroup_info 0
		.amdhsa_system_vgpr_workitem_id 0
		.amdhsa_next_free_vgpr 14
		.amdhsa_next_free_sgpr 10
		.amdhsa_accum_offset 16
		.amdhsa_reserve_vcc 1
		.amdhsa_reserve_flat_scratch 0
		.amdhsa_float_round_mode_32 0
		.amdhsa_float_round_mode_16_64 0
		.amdhsa_float_denorm_mode_32 3
		.amdhsa_float_denorm_mode_16_64 3
		.amdhsa_dx10_clamp 1
		.amdhsa_ieee_mode 1
		.amdhsa_fp16_overflow 0
		.amdhsa_tg_split 0
		.amdhsa_exception_fp_ieee_invalid_op 0
		.amdhsa_exception_fp_denorm_src 0
		.amdhsa_exception_fp_ieee_div_zero 0
		.amdhsa_exception_fp_ieee_overflow 0
		.amdhsa_exception_fp_ieee_underflow 0
		.amdhsa_exception_fp_ieee_inexact 0
		.amdhsa_exception_int_div_zero 0
	.end_amdhsa_kernel
	.section	.text._Z37inclusive_scan_prefix_callback_kernelILj255ELN6hipcub18BlockScanAlgorithmE1EjEvPT1_S3_S2_,"axG",@progbits,_Z37inclusive_scan_prefix_callback_kernelILj255ELN6hipcub18BlockScanAlgorithmE1EjEvPT1_S3_S2_,comdat
.Lfunc_end50:
	.size	_Z37inclusive_scan_prefix_callback_kernelILj255ELN6hipcub18BlockScanAlgorithmE1EjEvPT1_S3_S2_, .Lfunc_end50-_Z37inclusive_scan_prefix_callback_kernelILj255ELN6hipcub18BlockScanAlgorithmE1EjEvPT1_S3_S2_
                                        ; -- End function
	.section	.AMDGPU.csdata,"",@progbits
; Kernel info:
; codeLenInByte = 612
; NumSgprs: 14
; NumVgprs: 14
; NumAgprs: 0
; TotalNumVgprs: 14
; ScratchSize: 0
; MemoryBound: 0
; FloatMode: 240
; IeeeMode: 1
; LDSByteSize: 1056 bytes/workgroup (compile time only)
; SGPRBlocks: 1
; VGPRBlocks: 1
; NumSGPRsForWavesPerEU: 14
; NumVGPRsForWavesPerEU: 14
; AccumOffset: 16
; Occupancy: 8
; WaveLimiterHint : 0
; COMPUTE_PGM_RSRC2:SCRATCH_EN: 0
; COMPUTE_PGM_RSRC2:USER_SGPR: 6
; COMPUTE_PGM_RSRC2:TRAP_HANDLER: 0
; COMPUTE_PGM_RSRC2:TGID_X_EN: 1
; COMPUTE_PGM_RSRC2:TGID_Y_EN: 0
; COMPUTE_PGM_RSRC2:TGID_Z_EN: 0
; COMPUTE_PGM_RSRC2:TIDIG_COMP_CNT: 0
; COMPUTE_PGM_RSRC3_GFX90A:ACCUM_OFFSET: 3
; COMPUTE_PGM_RSRC3_GFX90A:TG_SPLIT: 0
	.section	.text._Z37inclusive_scan_prefix_callback_kernelILj162ELN6hipcub18BlockScanAlgorithmE1EsEvPT1_S3_S2_,"axG",@progbits,_Z37inclusive_scan_prefix_callback_kernelILj162ELN6hipcub18BlockScanAlgorithmE1EsEvPT1_S3_S2_,comdat
	.protected	_Z37inclusive_scan_prefix_callback_kernelILj162ELN6hipcub18BlockScanAlgorithmE1EsEvPT1_S3_S2_ ; -- Begin function _Z37inclusive_scan_prefix_callback_kernelILj162ELN6hipcub18BlockScanAlgorithmE1EsEvPT1_S3_S2_
	.globl	_Z37inclusive_scan_prefix_callback_kernelILj162ELN6hipcub18BlockScanAlgorithmE1EsEvPT1_S3_S2_
	.p2align	8
	.type	_Z37inclusive_scan_prefix_callback_kernelILj162ELN6hipcub18BlockScanAlgorithmE1EsEvPT1_S3_S2_,@function
_Z37inclusive_scan_prefix_callback_kernelILj162ELN6hipcub18BlockScanAlgorithmE1EsEvPT1_S3_S2_: ; @_Z37inclusive_scan_prefix_callback_kernelILj162ELN6hipcub18BlockScanAlgorithmE1EsEvPT1_S3_S2_
; %bb.0:
	s_load_dwordx4 s[0:3], s[4:5], 0x0
	s_mul_i32 s7, s6, 0xa2
	v_add_u32_e32 v2, s7, v0
	v_mov_b32_e32 v3, 0
	v_lshlrev_b64 v[2:3], 1, v[2:3]
	s_waitcnt lgkmcnt(0)
	v_mov_b32_e32 v1, s1
	v_add_co_u32_e32 v2, vcc, s0, v2
	v_addc_co_u32_e32 v3, vcc, v1, v3, vcc
	global_load_ushort v4, v[2:3], off
	v_lshlrev_b32_e32 v1, 1, v0
	v_cmp_gt_u32_e32 vcc, 64, v0
	s_waitcnt vmcnt(0)
	ds_write_b16 v1, v4
	s_waitcnt lgkmcnt(0)
	s_barrier
	s_and_saveexec_b64 s[8:9], vcc
	s_cbranch_execz .LBB51_2
; %bb.1:
	v_mul_u32_u24_e32 v5, 3, v0
	v_lshlrev_b32_e32 v5, 1, v5
	ds_read_u16 v6, v5
	ds_read_u16 v7, v5 offset:2
	ds_read_u16 v8, v5 offset:4
	v_mbcnt_lo_u32_b32 v9, -1, 0
	v_mbcnt_hi_u32_b32 v9, -1, v9
	v_and_b32_e32 v11, 15, v9
	s_waitcnt lgkmcnt(1)
	v_add_u16_e32 v10, v7, v6
	s_waitcnt lgkmcnt(0)
	v_add_u16_e32 v10, v10, v8
	v_cmp_ne_u32_e64 s[0:1], 0, v11
	s_nop 0
	v_mov_b32_dpp v12, v10 row_shr:1 row_mask:0xf bank_mask:0xf
	v_cndmask_b32_e64 v12, 0, v12, s[0:1]
	v_add_u16_e32 v10, v12, v10
	v_cmp_lt_u32_e64 s[0:1], 1, v11
	s_nop 0
	v_mov_b32_dpp v12, v10 row_shr:2 row_mask:0xf bank_mask:0xf
	v_cndmask_b32_e64 v12, 0, v12, s[0:1]
	v_add_u16_e32 v10, v10, v12
	v_cmp_lt_u32_e64 s[0:1], 3, v11
	;; [unrolled: 5-line block ×3, first 2 shown]
	s_nop 0
	v_mov_b32_dpp v12, v10 row_shr:8 row_mask:0xf bank_mask:0xf
	v_cndmask_b32_e64 v11, 0, v12, s[0:1]
	v_add_u16_e32 v10, v10, v11
	v_and_b32_e32 v12, 16, v9
	v_cmp_ne_u32_e64 s[0:1], 0, v12
	v_mov_b32_dpp v11, v10 row_bcast:15 row_mask:0xf bank_mask:0xf
	v_cndmask_b32_e64 v11, 0, v11, s[0:1]
	v_add_u16_e32 v10, v10, v11
	v_cmp_lt_u32_e64 s[0:1], 31, v9
	v_and_b32_e32 v12, 64, v9
	v_mov_b32_dpp v11, v10 row_bcast:31 row_mask:0xf bank_mask:0xf
	v_cndmask_b32_e64 v11, 0, v11, s[0:1]
	v_add_u16_e32 v10, v10, v11
	v_add_u32_e32 v11, -1, v9
	v_cmp_lt_i32_e64 s[0:1], v11, v12
	v_cndmask_b32_e64 v9, v11, v9, s[0:1]
	v_lshlrev_b32_e32 v9, 2, v9
	ds_bpermute_b32 v9, v9, v10
	v_cmp_eq_u32_e64 s[0:1], 0, v0
	s_waitcnt lgkmcnt(0)
	v_add_u16_e32 v6, v6, v9
	v_cndmask_b32_e64 v4, v6, v4, s[0:1]
	ds_write_b16 v5, v4
	v_add_u16_e32 v4, v4, v7
	ds_write_b16 v5, v4 offset:2
	v_add_u16_e32 v4, v4, v8
	ds_write_b16 v5, v4 offset:4
.LBB51_2:
	s_or_b64 exec, exec, s[8:9]
	s_load_dword s7, s[4:5], 0x10
	s_waitcnt lgkmcnt(0)
	s_barrier
	ds_read_u16 v4, v1
	v_mov_b32_e32 v1, s7
	s_and_saveexec_b64 s[0:1], vcc
	s_cbranch_execz .LBB51_6
; %bb.3:
	v_mov_b32_e32 v5, 0
	ds_read_u16 v1, v5 offset:322
	v_cmp_eq_u32_e32 vcc, 0, v0
	s_and_saveexec_b64 s[4:5], vcc
	s_cbranch_execz .LBB51_5
; %bb.4:
	v_mov_b32_e32 v6, s7
	ds_write_b16 v5, v6
.LBB51_5:
	s_or_b64 exec, exec, s[4:5]
	s_waitcnt lgkmcnt(0)
	v_add_u32_e32 v1, s7, v1
.LBB51_6:
	s_or_b64 exec, exec, s[0:1]
	v_mov_b32_e32 v5, 0
	s_waitcnt lgkmcnt(0)
	s_barrier
	ds_read_u16 v6, v5
	s_mov_b32 s7, 0
	v_cmp_eq_u32_e32 vcc, 0, v0
	s_waitcnt lgkmcnt(0)
	v_add_u16_e32 v4, v6, v4
	global_store_short v[2:3], v4, off
	s_and_saveexec_b64 s[0:1], vcc
	s_cbranch_execz .LBB51_8
; %bb.7:
	s_lshl_b64 s[0:1], s[6:7], 1
	s_add_u32 s0, s2, s0
	s_addc_u32 s1, s3, s1
	global_store_short v5, v1, s[0:1]
.LBB51_8:
	s_endpgm
	.section	.rodata,"a",@progbits
	.p2align	6, 0x0
	.amdhsa_kernel _Z37inclusive_scan_prefix_callback_kernelILj162ELN6hipcub18BlockScanAlgorithmE1EsEvPT1_S3_S2_
		.amdhsa_group_segment_fixed_size 384
		.amdhsa_private_segment_fixed_size 0
		.amdhsa_kernarg_size 20
		.amdhsa_user_sgpr_count 6
		.amdhsa_user_sgpr_private_segment_buffer 1
		.amdhsa_user_sgpr_dispatch_ptr 0
		.amdhsa_user_sgpr_queue_ptr 0
		.amdhsa_user_sgpr_kernarg_segment_ptr 1
		.amdhsa_user_sgpr_dispatch_id 0
		.amdhsa_user_sgpr_flat_scratch_init 0
		.amdhsa_user_sgpr_kernarg_preload_length 0
		.amdhsa_user_sgpr_kernarg_preload_offset 0
		.amdhsa_user_sgpr_private_segment_size 0
		.amdhsa_uses_dynamic_stack 0
		.amdhsa_system_sgpr_private_segment_wavefront_offset 0
		.amdhsa_system_sgpr_workgroup_id_x 1
		.amdhsa_system_sgpr_workgroup_id_y 0
		.amdhsa_system_sgpr_workgroup_id_z 0
		.amdhsa_system_sgpr_workgroup_info 0
		.amdhsa_system_vgpr_workitem_id 0
		.amdhsa_next_free_vgpr 13
		.amdhsa_next_free_sgpr 10
		.amdhsa_accum_offset 16
		.amdhsa_reserve_vcc 1
		.amdhsa_reserve_flat_scratch 0
		.amdhsa_float_round_mode_32 0
		.amdhsa_float_round_mode_16_64 0
		.amdhsa_float_denorm_mode_32 3
		.amdhsa_float_denorm_mode_16_64 3
		.amdhsa_dx10_clamp 1
		.amdhsa_ieee_mode 1
		.amdhsa_fp16_overflow 0
		.amdhsa_tg_split 0
		.amdhsa_exception_fp_ieee_invalid_op 0
		.amdhsa_exception_fp_denorm_src 0
		.amdhsa_exception_fp_ieee_div_zero 0
		.amdhsa_exception_fp_ieee_overflow 0
		.amdhsa_exception_fp_ieee_underflow 0
		.amdhsa_exception_fp_ieee_inexact 0
		.amdhsa_exception_int_div_zero 0
	.end_amdhsa_kernel
	.section	.text._Z37inclusive_scan_prefix_callback_kernelILj162ELN6hipcub18BlockScanAlgorithmE1EsEvPT1_S3_S2_,"axG",@progbits,_Z37inclusive_scan_prefix_callback_kernelILj162ELN6hipcub18BlockScanAlgorithmE1EsEvPT1_S3_S2_,comdat
.Lfunc_end51:
	.size	_Z37inclusive_scan_prefix_callback_kernelILj162ELN6hipcub18BlockScanAlgorithmE1EsEvPT1_S3_S2_, .Lfunc_end51-_Z37inclusive_scan_prefix_callback_kernelILj162ELN6hipcub18BlockScanAlgorithmE1EsEvPT1_S3_S2_
                                        ; -- End function
	.section	.AMDGPU.csdata,"",@progbits
; Kernel info:
; codeLenInByte = 608
; NumSgprs: 14
; NumVgprs: 13
; NumAgprs: 0
; TotalNumVgprs: 13
; ScratchSize: 0
; MemoryBound: 0
; FloatMode: 240
; IeeeMode: 1
; LDSByteSize: 384 bytes/workgroup (compile time only)
; SGPRBlocks: 1
; VGPRBlocks: 1
; NumSGPRsForWavesPerEU: 14
; NumVGPRsForWavesPerEU: 13
; AccumOffset: 16
; Occupancy: 8
; WaveLimiterHint : 0
; COMPUTE_PGM_RSRC2:SCRATCH_EN: 0
; COMPUTE_PGM_RSRC2:USER_SGPR: 6
; COMPUTE_PGM_RSRC2:TRAP_HANDLER: 0
; COMPUTE_PGM_RSRC2:TGID_X_EN: 1
; COMPUTE_PGM_RSRC2:TGID_Y_EN: 0
; COMPUTE_PGM_RSRC2:TGID_Z_EN: 0
; COMPUTE_PGM_RSRC2:TIDIG_COMP_CNT: 0
; COMPUTE_PGM_RSRC3_GFX90A:ACCUM_OFFSET: 3
; COMPUTE_PGM_RSRC3_GFX90A:TG_SPLIT: 0
	.section	.text._Z37inclusive_scan_prefix_callback_kernelILj37ELN6hipcub18BlockScanAlgorithmE1ElEvPT1_S3_S2_,"axG",@progbits,_Z37inclusive_scan_prefix_callback_kernelILj37ELN6hipcub18BlockScanAlgorithmE1ElEvPT1_S3_S2_,comdat
	.protected	_Z37inclusive_scan_prefix_callback_kernelILj37ELN6hipcub18BlockScanAlgorithmE1ElEvPT1_S3_S2_ ; -- Begin function _Z37inclusive_scan_prefix_callback_kernelILj37ELN6hipcub18BlockScanAlgorithmE1ElEvPT1_S3_S2_
	.globl	_Z37inclusive_scan_prefix_callback_kernelILj37ELN6hipcub18BlockScanAlgorithmE1ElEvPT1_S3_S2_
	.p2align	8
	.type	_Z37inclusive_scan_prefix_callback_kernelILj37ELN6hipcub18BlockScanAlgorithmE1ElEvPT1_S3_S2_,@function
_Z37inclusive_scan_prefix_callback_kernelILj37ELN6hipcub18BlockScanAlgorithmE1ElEvPT1_S3_S2_: ; @_Z37inclusive_scan_prefix_callback_kernelILj37ELN6hipcub18BlockScanAlgorithmE1ElEvPT1_S3_S2_
; %bb.0:
	s_load_dwordx4 s[0:3], s[4:5], 0x0
	s_load_dwordx2 s[8:9], s[4:5], 0x10
	v_mad_u64_u32 v[2:3], s[4:5], s6, 37, v[0:1]
	v_mov_b32_e32 v3, 0
	v_lshlrev_b64 v[2:3], 3, v[2:3]
	s_waitcnt lgkmcnt(0)
	v_mov_b32_e32 v1, s1
	v_add_co_u32_e32 v2, vcc, s0, v2
	v_addc_co_u32_e32 v3, vcc, v1, v3, vcc
	global_load_dwordx2 v[4:5], v[2:3], off
	v_mbcnt_lo_u32_b32 v1, -1, 0
	v_mbcnt_hi_u32_b32 v7, -1, v1
	v_and_b32_e32 v1, 15, v7
	v_and_b32_e32 v9, 16, v7
	v_cmp_ne_u32_e64 s[0:1], 0, v7
	s_waitcnt vmcnt(0)
	v_mov_b32_dpp v6, v4 row_shr:1 row_mask:0xf bank_mask:0xf
	v_add_co_u32_e32 v6, vcc, v4, v6
	v_addc_co_u32_e32 v10, vcc, 0, v5, vcc
	v_mov_b32_dpp v8, v5 row_shr:1 row_mask:0xf bank_mask:0xf
	v_add_co_u32_e32 v11, vcc, 0, v6
	v_addc_co_u32_e32 v8, vcc, v8, v10, vcc
	v_cmp_eq_u32_e32 vcc, 0, v1
	v_cndmask_b32_e32 v6, v6, v4, vcc
	v_cndmask_b32_e32 v8, v8, v5, vcc
	v_cndmask_b32_e32 v10, v11, v4, vcc
	v_mov_b32_dpp v11, v6 row_shr:2 row_mask:0xf bank_mask:0xf
	v_mov_b32_dpp v12, v8 row_shr:2 row_mask:0xf bank_mask:0xf
	v_add_co_u32_e32 v11, vcc, v11, v10
	v_addc_co_u32_e32 v12, vcc, v12, v8, vcc
	v_cmp_lt_u32_e32 vcc, 1, v1
	v_cndmask_b32_e32 v6, v6, v11, vcc
	v_cndmask_b32_e32 v8, v8, v12, vcc
	v_cndmask_b32_e32 v10, v10, v11, vcc
	v_mov_b32_dpp v11, v6 row_shr:4 row_mask:0xf bank_mask:0xf
	v_mov_b32_dpp v12, v8 row_shr:4 row_mask:0xf bank_mask:0xf
	v_add_co_u32_e32 v11, vcc, v11, v10
	v_addc_co_u32_e32 v12, vcc, v12, v8, vcc
	v_cmp_lt_u32_e32 vcc, 3, v1
	;; [unrolled: 8-line block ×3, first 2 shown]
	v_cndmask_b32_e32 v13, v6, v11, vcc
	v_cndmask_b32_e32 v1, v8, v12, vcc
	;; [unrolled: 1-line block ×3, first 2 shown]
	v_mov_b32_dpp v8, v13 row_bcast:15 row_mask:0xf bank_mask:0xf
	v_mov_b32_dpp v10, v1 row_bcast:15 row_mask:0xf bank_mask:0xf
	v_add_co_u32_e32 v8, vcc, v8, v6
	v_addc_co_u32_e32 v10, vcc, v10, v1, vcc
	v_cmp_eq_u32_e32 vcc, 0, v9
	v_cndmask_b32_e32 v11, v10, v1, vcc
	v_cndmask_b32_e32 v9, v8, v13, vcc
	s_nop 0
	v_mov_b32_dpp v11, v11 row_bcast:31 row_mask:0xf bank_mask:0xf
	v_mov_b32_dpp v9, v9 row_bcast:31 row_mask:0xf bank_mask:0xf
	s_and_saveexec_b64 s[4:5], s[0:1]
; %bb.1:
	v_cndmask_b32_e32 v1, v10, v1, vcc
	v_cndmask_b32_e32 v4, v8, v6, vcc
	v_cmp_lt_u32_e32 vcc, 31, v7
	v_cndmask_b32_e32 v6, 0, v9, vcc
	v_cndmask_b32_e32 v5, 0, v11, vcc
	v_add_co_u32_e32 v4, vcc, v6, v4
	v_addc_co_u32_e32 v5, vcc, v5, v1, vcc
; %bb.2:
	s_or_b64 exec, exec, s[4:5]
	v_cmp_eq_u32_e32 vcc, 36, v0
	s_and_saveexec_b64 s[0:1], vcc
	s_cbranch_execz .LBB52_4
; %bb.3:
	v_mov_b32_e32 v1, 0
	ds_write_b64 v1, v[4:5]
.LBB52_4:
	s_or_b64 exec, exec, s[0:1]
	v_cmp_gt_u32_e32 vcc, 64, v0
	v_pk_mov_b32 v[6:7], s[8:9], s[8:9] op_sel:[0,1]
	s_waitcnt lgkmcnt(0)
	; wave barrier
	s_waitcnt lgkmcnt(0)
	s_and_saveexec_b64 s[0:1], vcc
	s_cbranch_execz .LBB52_8
; %bb.5:
	v_mov_b32_e32 v1, 0
	ds_read_b64 v[6:7], v1
	v_mov_b32_e32 v8, s9
	s_waitcnt lgkmcnt(0)
	v_add_co_u32_e32 v6, vcc, s8, v6
	v_addc_co_u32_e32 v7, vcc, v7, v8, vcc
	v_cmp_eq_u32_e32 vcc, 0, v0
	s_and_saveexec_b64 s[4:5], vcc
	s_cbranch_execz .LBB52_7
; %bb.6:
	v_pk_mov_b32 v[8:9], s[8:9], s[8:9] op_sel:[0,1]
	ds_write_b64 v1, v[8:9]
.LBB52_7:
	s_or_b64 exec, exec, s[4:5]
.LBB52_8:
	s_or_b64 exec, exec, s[0:1]
	v_mov_b32_e32 v1, 0
	s_waitcnt lgkmcnt(0)
	; wave barrier
	s_waitcnt lgkmcnt(0)
	ds_read_b64 v[8:9], v1
	s_mov_b32 s7, 0
	s_waitcnt lgkmcnt(0)
	v_add_co_u32_e32 v4, vcc, v8, v4
	v_addc_co_u32_e32 v5, vcc, v9, v5, vcc
	v_cmp_eq_u32_e32 vcc, 0, v0
	global_store_dwordx2 v[2:3], v[4:5], off
	s_and_saveexec_b64 s[0:1], vcc
	s_cbranch_execz .LBB52_10
; %bb.9:
	s_lshl_b64 s[0:1], s[6:7], 3
	s_add_u32 s0, s2, s0
	s_addc_u32 s1, s3, s1
	global_store_dwordx2 v1, v[6:7], s[0:1]
.LBB52_10:
	s_endpgm
	.section	.rodata,"a",@progbits
	.p2align	6, 0x0
	.amdhsa_kernel _Z37inclusive_scan_prefix_callback_kernelILj37ELN6hipcub18BlockScanAlgorithmE1ElEvPT1_S3_S2_
		.amdhsa_group_segment_fixed_size 8
		.amdhsa_private_segment_fixed_size 0
		.amdhsa_kernarg_size 24
		.amdhsa_user_sgpr_count 6
		.amdhsa_user_sgpr_private_segment_buffer 1
		.amdhsa_user_sgpr_dispatch_ptr 0
		.amdhsa_user_sgpr_queue_ptr 0
		.amdhsa_user_sgpr_kernarg_segment_ptr 1
		.amdhsa_user_sgpr_dispatch_id 0
		.amdhsa_user_sgpr_flat_scratch_init 0
		.amdhsa_user_sgpr_kernarg_preload_length 0
		.amdhsa_user_sgpr_kernarg_preload_offset 0
		.amdhsa_user_sgpr_private_segment_size 0
		.amdhsa_uses_dynamic_stack 0
		.amdhsa_system_sgpr_private_segment_wavefront_offset 0
		.amdhsa_system_sgpr_workgroup_id_x 1
		.amdhsa_system_sgpr_workgroup_id_y 0
		.amdhsa_system_sgpr_workgroup_id_z 0
		.amdhsa_system_sgpr_workgroup_info 0
		.amdhsa_system_vgpr_workitem_id 0
		.amdhsa_next_free_vgpr 14
		.amdhsa_next_free_sgpr 10
		.amdhsa_accum_offset 16
		.amdhsa_reserve_vcc 1
		.amdhsa_reserve_flat_scratch 0
		.amdhsa_float_round_mode_32 0
		.amdhsa_float_round_mode_16_64 0
		.amdhsa_float_denorm_mode_32 3
		.amdhsa_float_denorm_mode_16_64 3
		.amdhsa_dx10_clamp 1
		.amdhsa_ieee_mode 1
		.amdhsa_fp16_overflow 0
		.amdhsa_tg_split 0
		.amdhsa_exception_fp_ieee_invalid_op 0
		.amdhsa_exception_fp_denorm_src 0
		.amdhsa_exception_fp_ieee_div_zero 0
		.amdhsa_exception_fp_ieee_overflow 0
		.amdhsa_exception_fp_ieee_underflow 0
		.amdhsa_exception_fp_ieee_inexact 0
		.amdhsa_exception_int_div_zero 0
	.end_amdhsa_kernel
	.section	.text._Z37inclusive_scan_prefix_callback_kernelILj37ELN6hipcub18BlockScanAlgorithmE1ElEvPT1_S3_S2_,"axG",@progbits,_Z37inclusive_scan_prefix_callback_kernelILj37ELN6hipcub18BlockScanAlgorithmE1ElEvPT1_S3_S2_,comdat
.Lfunc_end52:
	.size	_Z37inclusive_scan_prefix_callback_kernelILj37ELN6hipcub18BlockScanAlgorithmE1ElEvPT1_S3_S2_, .Lfunc_end52-_Z37inclusive_scan_prefix_callback_kernelILj37ELN6hipcub18BlockScanAlgorithmE1ElEvPT1_S3_S2_
                                        ; -- End function
	.section	.AMDGPU.csdata,"",@progbits
; Kernel info:
; codeLenInByte = 556
; NumSgprs: 14
; NumVgprs: 14
; NumAgprs: 0
; TotalNumVgprs: 14
; ScratchSize: 0
; MemoryBound: 0
; FloatMode: 240
; IeeeMode: 1
; LDSByteSize: 8 bytes/workgroup (compile time only)
; SGPRBlocks: 1
; VGPRBlocks: 1
; NumSGPRsForWavesPerEU: 14
; NumVGPRsForWavesPerEU: 14
; AccumOffset: 16
; Occupancy: 8
; WaveLimiterHint : 0
; COMPUTE_PGM_RSRC2:SCRATCH_EN: 0
; COMPUTE_PGM_RSRC2:USER_SGPR: 6
; COMPUTE_PGM_RSRC2:TRAP_HANDLER: 0
; COMPUTE_PGM_RSRC2:TGID_X_EN: 1
; COMPUTE_PGM_RSRC2:TGID_Y_EN: 0
; COMPUTE_PGM_RSRC2:TGID_Z_EN: 0
; COMPUTE_PGM_RSRC2:TIDIG_COMP_CNT: 0
; COMPUTE_PGM_RSRC3_GFX90A:ACCUM_OFFSET: 3
; COMPUTE_PGM_RSRC3_GFX90A:TG_SPLIT: 0
	.section	.text._Z37inclusive_scan_prefix_callback_kernelILj65ELN6hipcub18BlockScanAlgorithmE1EmEvPT1_S3_S2_,"axG",@progbits,_Z37inclusive_scan_prefix_callback_kernelILj65ELN6hipcub18BlockScanAlgorithmE1EmEvPT1_S3_S2_,comdat
	.protected	_Z37inclusive_scan_prefix_callback_kernelILj65ELN6hipcub18BlockScanAlgorithmE1EmEvPT1_S3_S2_ ; -- Begin function _Z37inclusive_scan_prefix_callback_kernelILj65ELN6hipcub18BlockScanAlgorithmE1EmEvPT1_S3_S2_
	.globl	_Z37inclusive_scan_prefix_callback_kernelILj65ELN6hipcub18BlockScanAlgorithmE1EmEvPT1_S3_S2_
	.p2align	8
	.type	_Z37inclusive_scan_prefix_callback_kernelILj65ELN6hipcub18BlockScanAlgorithmE1EmEvPT1_S3_S2_,@function
_Z37inclusive_scan_prefix_callback_kernelILj65ELN6hipcub18BlockScanAlgorithmE1EmEvPT1_S3_S2_: ; @_Z37inclusive_scan_prefix_callback_kernelILj65ELN6hipcub18BlockScanAlgorithmE1EmEvPT1_S3_S2_
; %bb.0:
	s_load_dwordx4 s[8:11], s[4:5], 0x0
	s_load_dwordx2 s[12:13], s[4:5], 0x10
	s_mul_i32 s0, s6, 0x41
	v_add_u32_e32 v2, s0, v0
	v_mov_b32_e32 v3, 0
	v_lshlrev_b64 v[2:3], 3, v[2:3]
	s_waitcnt lgkmcnt(0)
	v_mov_b32_e32 v1, s9
	v_add_co_u32_e32 v2, vcc, s8, v2
	v_addc_co_u32_e32 v3, vcc, v1, v3, vcc
	global_load_dwordx2 v[4:5], v[2:3], off
	v_lshrrev_b32_e32 v1, 5, v0
	v_add_lshl_u32 v1, v1, v0, 3
	v_cmp_gt_u32_e32 vcc, 64, v0
	s_waitcnt vmcnt(0)
	ds_write_b64 v1, v[4:5]
	s_waitcnt lgkmcnt(0)
	s_barrier
	s_and_saveexec_b64 s[4:5], vcc
	s_cbranch_execz .LBB53_2
; %bb.1:
	v_lshlrev_b32_e32 v6, 1, v0
	v_lshrrev_b32_e32 v7, 4, v0
	v_add_lshl_u32 v10, v7, v6, 3
	ds_read2_b64 v[6:9], v10 offset1:1
	v_mbcnt_lo_u32_b32 v13, -1, 0
	v_mbcnt_hi_u32_b32 v13, -1, v13
	v_and_b32_e32 v14, 15, v13
	s_waitcnt lgkmcnt(0)
	v_add_co_u32_e64 v11, s[0:1], v8, v6
	v_addc_co_u32_e64 v12, s[0:1], v9, v7, s[0:1]
	s_nop 0
	v_mov_b32_dpp v15, v11 row_shr:1 row_mask:0xf bank_mask:0xf
	v_add_co_u32_e64 v15, s[0:1], v11, v15
	v_addc_co_u32_e64 v17, s[0:1], 0, v12, s[0:1]
	v_mov_b32_dpp v16, v12 row_shr:1 row_mask:0xf bank_mask:0xf
	v_add_co_u32_e64 v18, s[0:1], 0, v15
	v_addc_co_u32_e64 v16, s[0:1], v16, v17, s[0:1]
	v_cmp_eq_u32_e64 s[0:1], 0, v14
	v_cndmask_b32_e64 v15, v15, v11, s[0:1]
	v_cndmask_b32_e64 v12, v16, v12, s[0:1]
	v_cndmask_b32_e64 v11, v18, v11, s[0:1]
	v_mov_b32_dpp v16, v15 row_shr:2 row_mask:0xf bank_mask:0xf
	v_add_co_u32_e64 v16, s[0:1], v11, v16
	v_addc_co_u32_e64 v18, s[0:1], 0, v12, s[0:1]
	v_mov_b32_dpp v17, v12 row_shr:2 row_mask:0xf bank_mask:0xf
	v_add_co_u32_e64 v19, s[0:1], 0, v16
	v_addc_co_u32_e64 v17, s[0:1], v18, v17, s[0:1]
	v_cmp_lt_u32_e64 s[0:1], 1, v14
	v_cndmask_b32_e64 v15, v15, v16, s[0:1]
	v_cndmask_b32_e64 v11, v11, v19, s[0:1]
	v_cndmask_b32_e64 v12, v12, v17, s[0:1]
	v_mov_b32_dpp v16, v15 row_shr:4 row_mask:0xf bank_mask:0xf
	v_add_co_u32_e64 v16, s[0:1], v11, v16
	v_addc_co_u32_e64 v18, s[0:1], 0, v12, s[0:1]
	v_mov_b32_dpp v17, v12 row_shr:4 row_mask:0xf bank_mask:0xf
	v_add_co_u32_e64 v19, s[0:1], 0, v16
	v_addc_co_u32_e64 v17, s[0:1], v18, v17, s[0:1]
	v_cmp_lt_u32_e64 s[0:1], 3, v14
	;; [unrolled: 10-line block ×3, first 2 shown]
	v_cndmask_b32_e64 v14, v15, v16, s[0:1]
	v_cndmask_b32_e64 v11, v11, v19, s[0:1]
	;; [unrolled: 1-line block ×3, first 2 shown]
	v_mov_b32_dpp v15, v14 row_bcast:15 row_mask:0xf bank_mask:0xf
	v_add_co_u32_e64 v15, s[0:1], v11, v15
	v_addc_co_u32_e64 v18, s[0:1], 0, v12, s[0:1]
	v_mov_b32_dpp v16, v12 row_bcast:15 row_mask:0xf bank_mask:0xf
	v_add_co_u32_e64 v19, s[0:1], 0, v15
	v_and_b32_e32 v17, 16, v13
	v_addc_co_u32_e64 v16, s[0:1], v18, v16, s[0:1]
	v_cmp_eq_u32_e64 s[0:1], 0, v17
	v_cndmask_b32_e64 v14, v15, v14, s[0:1]
	v_cndmask_b32_e64 v11, v19, v11, s[0:1]
	;; [unrolled: 1-line block ×3, first 2 shown]
	v_mov_b32_dpp v15, v14 row_bcast:31 row_mask:0xf bank_mask:0xf
	v_add_co_u32_e64 v11, s[0:1], v11, v15
	v_addc_co_u32_e64 v15, s[0:1], 0, v12, s[0:1]
	v_cmp_lt_u32_e64 s[0:1], 31, v13
	v_cndmask_b32_e64 v11, v14, v11, s[0:1]
	v_add_u32_e32 v14, -1, v13
	v_and_b32_e32 v17, 64, v13
	v_cmp_lt_i32_e64 s[2:3], v14, v17
	v_cndmask_b32_e64 v13, v14, v13, s[2:3]
	v_lshlrev_b32_e32 v13, 2, v13
	v_mov_b32_dpp v16, v12 row_bcast:31 row_mask:0xf bank_mask:0xf
	ds_bpermute_b32 v11, v13, v11
	v_add_u32_e32 v14, v16, v15
	v_cndmask_b32_e64 v12, v12, v14, s[0:1]
	ds_bpermute_b32 v12, v13, v12
	s_waitcnt lgkmcnt(1)
	v_add_co_u32_e64 v6, s[0:1], v6, v11
	v_addc_co_u32_e64 v7, s[0:1], 0, v7, s[0:1]
	v_add_co_u32_e64 v6, s[0:1], 0, v6
	s_waitcnt lgkmcnt(0)
	v_addc_co_u32_e64 v7, s[0:1], v7, v12, s[0:1]
	v_cmp_eq_u32_e64 s[0:1], 0, v0
	v_cndmask_b32_e64 v4, v6, v4, s[0:1]
	v_cndmask_b32_e64 v5, v7, v5, s[0:1]
	v_add_co_u32_e64 v6, s[0:1], v4, v8
	v_addc_co_u32_e64 v7, s[0:1], v5, v9, s[0:1]
	ds_write2_b64 v10, v[4:5], v[6:7] offset1:1
.LBB53_2:
	s_or_b64 exec, exec, s[4:5]
	s_waitcnt lgkmcnt(0)
	s_barrier
	ds_read_b64 v[6:7], v1
	v_pk_mov_b32 v[4:5], s[12:13], s[12:13] op_sel:[0,1]
	s_and_saveexec_b64 s[0:1], vcc
	s_cbranch_execz .LBB53_6
; %bb.3:
	v_mov_b32_e32 v1, 0
	ds_read_b64 v[4:5], v1 offset:528
	v_mov_b32_e32 v8, s13
	s_waitcnt lgkmcnt(0)
	v_add_co_u32_e32 v4, vcc, s12, v4
	v_addc_co_u32_e32 v5, vcc, v5, v8, vcc
	v_cmp_eq_u32_e32 vcc, 0, v0
	s_and_saveexec_b64 s[2:3], vcc
	s_cbranch_execz .LBB53_5
; %bb.4:
	v_pk_mov_b32 v[8:9], s[12:13], s[12:13] op_sel:[0,1]
	ds_write_b64 v1, v[8:9]
.LBB53_5:
	s_or_b64 exec, exec, s[2:3]
.LBB53_6:
	s_or_b64 exec, exec, s[0:1]
	v_mov_b32_e32 v1, 0
	s_waitcnt lgkmcnt(0)
	s_barrier
	ds_read_b64 v[8:9], v1
	s_mov_b32 s7, 0
	s_waitcnt lgkmcnt(0)
	v_add_co_u32_e32 v6, vcc, v8, v6
	v_addc_co_u32_e32 v7, vcc, v9, v7, vcc
	v_cmp_eq_u32_e32 vcc, 0, v0
	global_store_dwordx2 v[2:3], v[6:7], off
	s_and_saveexec_b64 s[0:1], vcc
	s_cbranch_execz .LBB53_8
; %bb.7:
	s_lshl_b64 s[0:1], s[6:7], 3
	s_add_u32 s0, s10, s0
	s_addc_u32 s1, s11, s1
	global_store_dwordx2 v1, v[4:5], s[0:1]
.LBB53_8:
	s_endpgm
	.section	.rodata,"a",@progbits
	.p2align	6, 0x0
	.amdhsa_kernel _Z37inclusive_scan_prefix_callback_kernelILj65ELN6hipcub18BlockScanAlgorithmE1EmEvPT1_S3_S2_
		.amdhsa_group_segment_fixed_size 1056
		.amdhsa_private_segment_fixed_size 0
		.amdhsa_kernarg_size 24
		.amdhsa_user_sgpr_count 6
		.amdhsa_user_sgpr_private_segment_buffer 1
		.amdhsa_user_sgpr_dispatch_ptr 0
		.amdhsa_user_sgpr_queue_ptr 0
		.amdhsa_user_sgpr_kernarg_segment_ptr 1
		.amdhsa_user_sgpr_dispatch_id 0
		.amdhsa_user_sgpr_flat_scratch_init 0
		.amdhsa_user_sgpr_kernarg_preload_length 0
		.amdhsa_user_sgpr_kernarg_preload_offset 0
		.amdhsa_user_sgpr_private_segment_size 0
		.amdhsa_uses_dynamic_stack 0
		.amdhsa_system_sgpr_private_segment_wavefront_offset 0
		.amdhsa_system_sgpr_workgroup_id_x 1
		.amdhsa_system_sgpr_workgroup_id_y 0
		.amdhsa_system_sgpr_workgroup_id_z 0
		.amdhsa_system_sgpr_workgroup_info 0
		.amdhsa_system_vgpr_workitem_id 0
		.amdhsa_next_free_vgpr 20
		.amdhsa_next_free_sgpr 14
		.amdhsa_accum_offset 20
		.amdhsa_reserve_vcc 1
		.amdhsa_reserve_flat_scratch 0
		.amdhsa_float_round_mode_32 0
		.amdhsa_float_round_mode_16_64 0
		.amdhsa_float_denorm_mode_32 3
		.amdhsa_float_denorm_mode_16_64 3
		.amdhsa_dx10_clamp 1
		.amdhsa_ieee_mode 1
		.amdhsa_fp16_overflow 0
		.amdhsa_tg_split 0
		.amdhsa_exception_fp_ieee_invalid_op 0
		.amdhsa_exception_fp_denorm_src 0
		.amdhsa_exception_fp_ieee_div_zero 0
		.amdhsa_exception_fp_ieee_overflow 0
		.amdhsa_exception_fp_ieee_underflow 0
		.amdhsa_exception_fp_ieee_inexact 0
		.amdhsa_exception_int_div_zero 0
	.end_amdhsa_kernel
	.section	.text._Z37inclusive_scan_prefix_callback_kernelILj65ELN6hipcub18BlockScanAlgorithmE1EmEvPT1_S3_S2_,"axG",@progbits,_Z37inclusive_scan_prefix_callback_kernelILj65ELN6hipcub18BlockScanAlgorithmE1EmEvPT1_S3_S2_,comdat
.Lfunc_end53:
	.size	_Z37inclusive_scan_prefix_callback_kernelILj65ELN6hipcub18BlockScanAlgorithmE1EmEvPT1_S3_S2_, .Lfunc_end53-_Z37inclusive_scan_prefix_callback_kernelILj65ELN6hipcub18BlockScanAlgorithmE1EmEvPT1_S3_S2_
                                        ; -- End function
	.section	.AMDGPU.csdata,"",@progbits
; Kernel info:
; codeLenInByte = 952
; NumSgprs: 18
; NumVgprs: 20
; NumAgprs: 0
; TotalNumVgprs: 20
; ScratchSize: 0
; MemoryBound: 0
; FloatMode: 240
; IeeeMode: 1
; LDSByteSize: 1056 bytes/workgroup (compile time only)
; SGPRBlocks: 2
; VGPRBlocks: 2
; NumSGPRsForWavesPerEU: 18
; NumVGPRsForWavesPerEU: 20
; AccumOffset: 20
; Occupancy: 8
; WaveLimiterHint : 0
; COMPUTE_PGM_RSRC2:SCRATCH_EN: 0
; COMPUTE_PGM_RSRC2:USER_SGPR: 6
; COMPUTE_PGM_RSRC2:TRAP_HANDLER: 0
; COMPUTE_PGM_RSRC2:TGID_X_EN: 1
; COMPUTE_PGM_RSRC2:TGID_Y_EN: 0
; COMPUTE_PGM_RSRC2:TGID_Z_EN: 0
; COMPUTE_PGM_RSRC2:TIDIG_COMP_CNT: 0
; COMPUTE_PGM_RSRC3_GFX90A:ACCUM_OFFSET: 4
; COMPUTE_PGM_RSRC3_GFX90A:TG_SPLIT: 0
	.section	.text._Z37inclusive_scan_prefix_callback_kernelILj512ELN6hipcub18BlockScanAlgorithmE1EiEvPT1_S3_S2_,"axG",@progbits,_Z37inclusive_scan_prefix_callback_kernelILj512ELN6hipcub18BlockScanAlgorithmE1EiEvPT1_S3_S2_,comdat
	.protected	_Z37inclusive_scan_prefix_callback_kernelILj512ELN6hipcub18BlockScanAlgorithmE1EiEvPT1_S3_S2_ ; -- Begin function _Z37inclusive_scan_prefix_callback_kernelILj512ELN6hipcub18BlockScanAlgorithmE1EiEvPT1_S3_S2_
	.globl	_Z37inclusive_scan_prefix_callback_kernelILj512ELN6hipcub18BlockScanAlgorithmE1EiEvPT1_S3_S2_
	.p2align	8
	.type	_Z37inclusive_scan_prefix_callback_kernelILj512ELN6hipcub18BlockScanAlgorithmE1EiEvPT1_S3_S2_,@function
_Z37inclusive_scan_prefix_callback_kernelILj512ELN6hipcub18BlockScanAlgorithmE1EiEvPT1_S3_S2_: ; @_Z37inclusive_scan_prefix_callback_kernelILj512ELN6hipcub18BlockScanAlgorithmE1EiEvPT1_S3_S2_
; %bb.0:
	s_load_dwordx4 s[0:3], s[4:5], 0x0
	v_lshl_or_b32 v2, s6, 9, v0
	v_mov_b32_e32 v3, 0
	v_lshlrev_b64 v[2:3], 2, v[2:3]
	s_waitcnt lgkmcnt(0)
	v_mov_b32_e32 v1, s1
	v_add_co_u32_e32 v2, vcc, s0, v2
	v_addc_co_u32_e32 v3, vcc, v1, v3, vcc
	global_load_dword v4, v[2:3], off
	v_lshrrev_b32_e32 v1, 5, v0
	v_add_lshl_u32 v1, v1, v0, 2
	v_cmp_gt_u32_e32 vcc, 64, v0
	s_waitcnt vmcnt(0)
	ds_write_b32 v1, v4
	s_waitcnt lgkmcnt(0)
	s_barrier
	s_and_saveexec_b64 s[8:9], vcc
	s_cbranch_execz .LBB54_2
; %bb.1:
	v_lshlrev_b32_e32 v5, 3, v0
	v_lshrrev_b32_e32 v6, 2, v0
	v_add_lshl_u32 v5, v6, v5, 2
	ds_read2_b32 v[6:7], v5 offset1:1
	ds_read2_b32 v[8:9], v5 offset0:2 offset1:3
	ds_read2_b32 v[10:11], v5 offset0:4 offset1:5
	;; [unrolled: 1-line block ×3, first 2 shown]
	v_mbcnt_lo_u32_b32 v15, -1, 0
	s_waitcnt lgkmcnt(3)
	v_add_u32_e32 v14, v7, v6
	s_waitcnt lgkmcnt(2)
	v_add3_u32 v14, v14, v8, v9
	s_waitcnt lgkmcnt(1)
	v_add3_u32 v14, v14, v10, v11
	v_mbcnt_hi_u32_b32 v15, -1, v15
	s_waitcnt lgkmcnt(0)
	v_add3_u32 v14, v14, v12, v13
	v_and_b32_e32 v16, 15, v15
	v_cmp_ne_u32_e64 s[0:1], 0, v16
	v_mov_b32_dpp v17, v14 row_shr:1 row_mask:0xf bank_mask:0xf
	v_cndmask_b32_e64 v17, 0, v17, s[0:1]
	v_add_u32_e32 v14, v17, v14
	v_cmp_lt_u32_e64 s[0:1], 1, v16
	s_nop 0
	v_mov_b32_dpp v17, v14 row_shr:2 row_mask:0xf bank_mask:0xf
	v_cndmask_b32_e64 v17, 0, v17, s[0:1]
	v_add_u32_e32 v14, v14, v17
	v_cmp_lt_u32_e64 s[0:1], 3, v16
	s_nop 0
	;; [unrolled: 5-line block ×3, first 2 shown]
	v_mov_b32_dpp v17, v14 row_shr:8 row_mask:0xf bank_mask:0xf
	v_cndmask_b32_e64 v16, 0, v17, s[0:1]
	v_add_u32_e32 v14, v14, v16
	v_bfe_i32 v17, v15, 4, 1
	v_cmp_lt_u32_e64 s[0:1], 31, v15
	v_mov_b32_dpp v16, v14 row_bcast:15 row_mask:0xf bank_mask:0xf
	v_and_b32_e32 v16, v17, v16
	v_add_u32_e32 v14, v14, v16
	v_and_b32_e32 v17, 64, v15
	s_nop 0
	v_mov_b32_dpp v16, v14 row_bcast:31 row_mask:0xf bank_mask:0xf
	v_cndmask_b32_e64 v16, 0, v16, s[0:1]
	v_add_u32_e32 v14, v14, v16
	v_add_u32_e32 v16, -1, v15
	v_cmp_lt_i32_e64 s[0:1], v16, v17
	v_cndmask_b32_e64 v15, v16, v15, s[0:1]
	v_lshlrev_b32_e32 v15, 2, v15
	ds_bpermute_b32 v14, v15, v14
	v_cmp_eq_u32_e64 s[0:1], 0, v0
	s_waitcnt lgkmcnt(0)
	v_add_u32_e32 v6, v14, v6
	v_cndmask_b32_e64 v4, v6, v4, s[0:1]
	v_add_u32_e32 v6, v4, v7
	ds_write2_b32 v5, v4, v6 offset1:1
	v_add_u32_e32 v4, v6, v8
	v_add_u32_e32 v6, v4, v9
	ds_write2_b32 v5, v4, v6 offset0:2 offset1:3
	v_add_u32_e32 v4, v6, v10
	v_add_u32_e32 v6, v4, v11
	ds_write2_b32 v5, v4, v6 offset0:4 offset1:5
	;; [unrolled: 3-line block ×3, first 2 shown]
.LBB54_2:
	s_or_b64 exec, exec, s[8:9]
	s_load_dword s7, s[4:5], 0x10
	s_waitcnt lgkmcnt(0)
	s_barrier
	ds_read_b32 v4, v1
	v_mov_b32_e32 v1, s7
	s_and_saveexec_b64 s[0:1], vcc
	s_cbranch_execz .LBB54_6
; %bb.3:
	v_mov_b32_e32 v5, 0
	ds_read_b32 v1, v5 offset:2104
	v_cmp_eq_u32_e32 vcc, 0, v0
	s_and_saveexec_b64 s[4:5], vcc
	s_cbranch_execz .LBB54_5
; %bb.4:
	v_mov_b32_e32 v6, s7
	ds_write_b32 v5, v6
.LBB54_5:
	s_or_b64 exec, exec, s[4:5]
	s_waitcnt lgkmcnt(0)
	v_add_u32_e32 v1, s7, v1
.LBB54_6:
	s_or_b64 exec, exec, s[0:1]
	v_mov_b32_e32 v5, 0
	s_waitcnt lgkmcnt(0)
	s_barrier
	ds_read_b32 v6, v5
	s_mov_b32 s7, 0
	v_cmp_eq_u32_e32 vcc, 0, v0
	s_waitcnt lgkmcnt(0)
	v_add_u32_e32 v4, v6, v4
	global_store_dword v[2:3], v4, off
	s_and_saveexec_b64 s[0:1], vcc
	s_cbranch_execz .LBB54_8
; %bb.7:
	s_lshl_b64 s[0:1], s[6:7], 2
	s_add_u32 s0, s2, s0
	s_addc_u32 s1, s3, s1
	global_store_dword v5, v1, s[0:1]
.LBB54_8:
	s_endpgm
	.section	.rodata,"a",@progbits
	.p2align	6, 0x0
	.amdhsa_kernel _Z37inclusive_scan_prefix_callback_kernelILj512ELN6hipcub18BlockScanAlgorithmE1EiEvPT1_S3_S2_
		.amdhsa_group_segment_fixed_size 2112
		.amdhsa_private_segment_fixed_size 0
		.amdhsa_kernarg_size 20
		.amdhsa_user_sgpr_count 6
		.amdhsa_user_sgpr_private_segment_buffer 1
		.amdhsa_user_sgpr_dispatch_ptr 0
		.amdhsa_user_sgpr_queue_ptr 0
		.amdhsa_user_sgpr_kernarg_segment_ptr 1
		.amdhsa_user_sgpr_dispatch_id 0
		.amdhsa_user_sgpr_flat_scratch_init 0
		.amdhsa_user_sgpr_kernarg_preload_length 0
		.amdhsa_user_sgpr_kernarg_preload_offset 0
		.amdhsa_user_sgpr_private_segment_size 0
		.amdhsa_uses_dynamic_stack 0
		.amdhsa_system_sgpr_private_segment_wavefront_offset 0
		.amdhsa_system_sgpr_workgroup_id_x 1
		.amdhsa_system_sgpr_workgroup_id_y 0
		.amdhsa_system_sgpr_workgroup_id_z 0
		.amdhsa_system_sgpr_workgroup_info 0
		.amdhsa_system_vgpr_workitem_id 0
		.amdhsa_next_free_vgpr 18
		.amdhsa_next_free_sgpr 10
		.amdhsa_accum_offset 20
		.amdhsa_reserve_vcc 1
		.amdhsa_reserve_flat_scratch 0
		.amdhsa_float_round_mode_32 0
		.amdhsa_float_round_mode_16_64 0
		.amdhsa_float_denorm_mode_32 3
		.amdhsa_float_denorm_mode_16_64 3
		.amdhsa_dx10_clamp 1
		.amdhsa_ieee_mode 1
		.amdhsa_fp16_overflow 0
		.amdhsa_tg_split 0
		.amdhsa_exception_fp_ieee_invalid_op 0
		.amdhsa_exception_fp_denorm_src 0
		.amdhsa_exception_fp_ieee_div_zero 0
		.amdhsa_exception_fp_ieee_overflow 0
		.amdhsa_exception_fp_ieee_underflow 0
		.amdhsa_exception_fp_ieee_inexact 0
		.amdhsa_exception_int_div_zero 0
	.end_amdhsa_kernel
	.section	.text._Z37inclusive_scan_prefix_callback_kernelILj512ELN6hipcub18BlockScanAlgorithmE1EiEvPT1_S3_S2_,"axG",@progbits,_Z37inclusive_scan_prefix_callback_kernelILj512ELN6hipcub18BlockScanAlgorithmE1EiEvPT1_S3_S2_,comdat
.Lfunc_end54:
	.size	_Z37inclusive_scan_prefix_callback_kernelILj512ELN6hipcub18BlockScanAlgorithmE1EiEvPT1_S3_S2_, .Lfunc_end54-_Z37inclusive_scan_prefix_callback_kernelILj512ELN6hipcub18BlockScanAlgorithmE1EiEvPT1_S3_S2_
                                        ; -- End function
	.section	.AMDGPU.csdata,"",@progbits
; Kernel info:
; codeLenInByte = 676
; NumSgprs: 14
; NumVgprs: 18
; NumAgprs: 0
; TotalNumVgprs: 18
; ScratchSize: 0
; MemoryBound: 0
; FloatMode: 240
; IeeeMode: 1
; LDSByteSize: 2112 bytes/workgroup (compile time only)
; SGPRBlocks: 1
; VGPRBlocks: 2
; NumSGPRsForWavesPerEU: 14
; NumVGPRsForWavesPerEU: 18
; AccumOffset: 20
; Occupancy: 8
; WaveLimiterHint : 0
; COMPUTE_PGM_RSRC2:SCRATCH_EN: 0
; COMPUTE_PGM_RSRC2:USER_SGPR: 6
; COMPUTE_PGM_RSRC2:TRAP_HANDLER: 0
; COMPUTE_PGM_RSRC2:TGID_X_EN: 1
; COMPUTE_PGM_RSRC2:TGID_Y_EN: 0
; COMPUTE_PGM_RSRC2:TGID_Z_EN: 0
; COMPUTE_PGM_RSRC2:TIDIG_COMP_CNT: 0
; COMPUTE_PGM_RSRC3_GFX90A:ACCUM_OFFSET: 4
; COMPUTE_PGM_RSRC3_GFX90A:TG_SPLIT: 0
	.section	.text._Z37inclusive_scan_prefix_callback_kernelILj256ELN6hipcub18BlockScanAlgorithmE1EiEvPT1_S3_S2_,"axG",@progbits,_Z37inclusive_scan_prefix_callback_kernelILj256ELN6hipcub18BlockScanAlgorithmE1EiEvPT1_S3_S2_,comdat
	.protected	_Z37inclusive_scan_prefix_callback_kernelILj256ELN6hipcub18BlockScanAlgorithmE1EiEvPT1_S3_S2_ ; -- Begin function _Z37inclusive_scan_prefix_callback_kernelILj256ELN6hipcub18BlockScanAlgorithmE1EiEvPT1_S3_S2_
	.globl	_Z37inclusive_scan_prefix_callback_kernelILj256ELN6hipcub18BlockScanAlgorithmE1EiEvPT1_S3_S2_
	.p2align	8
	.type	_Z37inclusive_scan_prefix_callback_kernelILj256ELN6hipcub18BlockScanAlgorithmE1EiEvPT1_S3_S2_,@function
_Z37inclusive_scan_prefix_callback_kernelILj256ELN6hipcub18BlockScanAlgorithmE1EiEvPT1_S3_S2_: ; @_Z37inclusive_scan_prefix_callback_kernelILj256ELN6hipcub18BlockScanAlgorithmE1EiEvPT1_S3_S2_
; %bb.0:
	s_load_dwordx4 s[0:3], s[4:5], 0x0
	v_lshl_or_b32 v2, s6, 8, v0
	v_mov_b32_e32 v3, 0
	v_lshlrev_b64 v[2:3], 2, v[2:3]
	s_waitcnt lgkmcnt(0)
	v_mov_b32_e32 v1, s1
	v_add_co_u32_e32 v2, vcc, s0, v2
	v_addc_co_u32_e32 v3, vcc, v1, v3, vcc
	global_load_dword v4, v[2:3], off
	v_lshrrev_b32_e32 v1, 5, v0
	v_add_lshl_u32 v1, v1, v0, 2
	v_cmp_gt_u32_e32 vcc, 64, v0
	s_waitcnt vmcnt(0)
	ds_write_b32 v1, v4
	s_waitcnt lgkmcnt(0)
	s_barrier
	s_and_saveexec_b64 s[8:9], vcc
	s_cbranch_execz .LBB55_2
; %bb.1:
	v_lshlrev_b32_e32 v5, 2, v0
	v_lshrrev_b32_e32 v6, 3, v0
	v_add_lshl_u32 v5, v6, v5, 2
	ds_read2_b32 v[6:7], v5 offset1:1
	ds_read2_b32 v[8:9], v5 offset0:2 offset1:3
	v_mbcnt_lo_u32_b32 v10, -1, 0
	v_mbcnt_hi_u32_b32 v10, -1, v10
	v_and_b32_e32 v12, 15, v10
	s_waitcnt lgkmcnt(1)
	v_add_u32_e32 v11, v7, v6
	s_waitcnt lgkmcnt(0)
	v_add3_u32 v11, v11, v8, v9
	v_cmp_ne_u32_e64 s[0:1], 0, v12
	s_nop 0
	v_mov_b32_dpp v13, v11 row_shr:1 row_mask:0xf bank_mask:0xf
	v_cndmask_b32_e64 v13, 0, v13, s[0:1]
	v_add_u32_e32 v11, v13, v11
	v_cmp_lt_u32_e64 s[0:1], 1, v12
	s_nop 0
	v_mov_b32_dpp v13, v11 row_shr:2 row_mask:0xf bank_mask:0xf
	v_cndmask_b32_e64 v13, 0, v13, s[0:1]
	v_add_u32_e32 v11, v11, v13
	v_cmp_lt_u32_e64 s[0:1], 3, v12
	;; [unrolled: 5-line block ×3, first 2 shown]
	s_nop 0
	v_mov_b32_dpp v13, v11 row_shr:8 row_mask:0xf bank_mask:0xf
	v_cndmask_b32_e64 v12, 0, v13, s[0:1]
	v_add_u32_e32 v11, v11, v12
	v_bfe_i32 v13, v10, 4, 1
	v_cmp_lt_u32_e64 s[0:1], 31, v10
	v_mov_b32_dpp v12, v11 row_bcast:15 row_mask:0xf bank_mask:0xf
	v_and_b32_e32 v12, v13, v12
	v_add_u32_e32 v11, v11, v12
	v_and_b32_e32 v13, 64, v10
	s_nop 0
	v_mov_b32_dpp v12, v11 row_bcast:31 row_mask:0xf bank_mask:0xf
	v_cndmask_b32_e64 v12, 0, v12, s[0:1]
	v_add_u32_e32 v11, v11, v12
	v_add_u32_e32 v12, -1, v10
	v_cmp_lt_i32_e64 s[0:1], v12, v13
	v_cndmask_b32_e64 v10, v12, v10, s[0:1]
	v_lshlrev_b32_e32 v10, 2, v10
	ds_bpermute_b32 v10, v10, v11
	v_cmp_eq_u32_e64 s[0:1], 0, v0
	s_waitcnt lgkmcnt(0)
	v_add_u32_e32 v6, v10, v6
	v_cndmask_b32_e64 v4, v6, v4, s[0:1]
	v_add_u32_e32 v6, v4, v7
	ds_write2_b32 v5, v4, v6 offset1:1
	v_add_u32_e32 v4, v6, v8
	v_add_u32_e32 v6, v4, v9
	ds_write2_b32 v5, v4, v6 offset0:2 offset1:3
.LBB55_2:
	s_or_b64 exec, exec, s[8:9]
	s_load_dword s7, s[4:5], 0x10
	s_waitcnt lgkmcnt(0)
	s_barrier
	ds_read_b32 v4, v1
	v_mov_b32_e32 v1, s7
	s_and_saveexec_b64 s[0:1], vcc
	s_cbranch_execz .LBB55_6
; %bb.3:
	v_mov_b32_e32 v5, 0
	ds_read_b32 v1, v5 offset:1048
	v_cmp_eq_u32_e32 vcc, 0, v0
	s_and_saveexec_b64 s[4:5], vcc
	s_cbranch_execz .LBB55_5
; %bb.4:
	v_mov_b32_e32 v6, s7
	ds_write_b32 v5, v6
.LBB55_5:
	s_or_b64 exec, exec, s[4:5]
	s_waitcnt lgkmcnt(0)
	v_add_u32_e32 v1, s7, v1
.LBB55_6:
	s_or_b64 exec, exec, s[0:1]
	v_mov_b32_e32 v5, 0
	s_waitcnt lgkmcnt(0)
	s_barrier
	ds_read_b32 v6, v5
	s_mov_b32 s7, 0
	v_cmp_eq_u32_e32 vcc, 0, v0
	s_waitcnt lgkmcnt(0)
	v_add_u32_e32 v4, v6, v4
	global_store_dword v[2:3], v4, off
	s_and_saveexec_b64 s[0:1], vcc
	s_cbranch_execz .LBB55_8
; %bb.7:
	s_lshl_b64 s[0:1], s[6:7], 2
	s_add_u32 s0, s2, s0
	s_addc_u32 s1, s3, s1
	global_store_dword v5, v1, s[0:1]
.LBB55_8:
	s_endpgm
	.section	.rodata,"a",@progbits
	.p2align	6, 0x0
	.amdhsa_kernel _Z37inclusive_scan_prefix_callback_kernelILj256ELN6hipcub18BlockScanAlgorithmE1EiEvPT1_S3_S2_
		.amdhsa_group_segment_fixed_size 1056
		.amdhsa_private_segment_fixed_size 0
		.amdhsa_kernarg_size 20
		.amdhsa_user_sgpr_count 6
		.amdhsa_user_sgpr_private_segment_buffer 1
		.amdhsa_user_sgpr_dispatch_ptr 0
		.amdhsa_user_sgpr_queue_ptr 0
		.amdhsa_user_sgpr_kernarg_segment_ptr 1
		.amdhsa_user_sgpr_dispatch_id 0
		.amdhsa_user_sgpr_flat_scratch_init 0
		.amdhsa_user_sgpr_kernarg_preload_length 0
		.amdhsa_user_sgpr_kernarg_preload_offset 0
		.amdhsa_user_sgpr_private_segment_size 0
		.amdhsa_uses_dynamic_stack 0
		.amdhsa_system_sgpr_private_segment_wavefront_offset 0
		.amdhsa_system_sgpr_workgroup_id_x 1
		.amdhsa_system_sgpr_workgroup_id_y 0
		.amdhsa_system_sgpr_workgroup_id_z 0
		.amdhsa_system_sgpr_workgroup_info 0
		.amdhsa_system_vgpr_workitem_id 0
		.amdhsa_next_free_vgpr 14
		.amdhsa_next_free_sgpr 10
		.amdhsa_accum_offset 16
		.amdhsa_reserve_vcc 1
		.amdhsa_reserve_flat_scratch 0
		.amdhsa_float_round_mode_32 0
		.amdhsa_float_round_mode_16_64 0
		.amdhsa_float_denorm_mode_32 3
		.amdhsa_float_denorm_mode_16_64 3
		.amdhsa_dx10_clamp 1
		.amdhsa_ieee_mode 1
		.amdhsa_fp16_overflow 0
		.amdhsa_tg_split 0
		.amdhsa_exception_fp_ieee_invalid_op 0
		.amdhsa_exception_fp_denorm_src 0
		.amdhsa_exception_fp_ieee_div_zero 0
		.amdhsa_exception_fp_ieee_overflow 0
		.amdhsa_exception_fp_ieee_underflow 0
		.amdhsa_exception_fp_ieee_inexact 0
		.amdhsa_exception_int_div_zero 0
	.end_amdhsa_kernel
	.section	.text._Z37inclusive_scan_prefix_callback_kernelILj256ELN6hipcub18BlockScanAlgorithmE1EiEvPT1_S3_S2_,"axG",@progbits,_Z37inclusive_scan_prefix_callback_kernelILj256ELN6hipcub18BlockScanAlgorithmE1EiEvPT1_S3_S2_,comdat
.Lfunc_end55:
	.size	_Z37inclusive_scan_prefix_callback_kernelILj256ELN6hipcub18BlockScanAlgorithmE1EiEvPT1_S3_S2_, .Lfunc_end55-_Z37inclusive_scan_prefix_callback_kernelILj256ELN6hipcub18BlockScanAlgorithmE1EiEvPT1_S3_S2_
                                        ; -- End function
	.section	.AMDGPU.csdata,"",@progbits
; Kernel info:
; codeLenInByte = 608
; NumSgprs: 14
; NumVgprs: 14
; NumAgprs: 0
; TotalNumVgprs: 14
; ScratchSize: 0
; MemoryBound: 0
; FloatMode: 240
; IeeeMode: 1
; LDSByteSize: 1056 bytes/workgroup (compile time only)
; SGPRBlocks: 1
; VGPRBlocks: 1
; NumSGPRsForWavesPerEU: 14
; NumVGPRsForWavesPerEU: 14
; AccumOffset: 16
; Occupancy: 8
; WaveLimiterHint : 0
; COMPUTE_PGM_RSRC2:SCRATCH_EN: 0
; COMPUTE_PGM_RSRC2:USER_SGPR: 6
; COMPUTE_PGM_RSRC2:TRAP_HANDLER: 0
; COMPUTE_PGM_RSRC2:TGID_X_EN: 1
; COMPUTE_PGM_RSRC2:TGID_Y_EN: 0
; COMPUTE_PGM_RSRC2:TGID_Z_EN: 0
; COMPUTE_PGM_RSRC2:TIDIG_COMP_CNT: 0
; COMPUTE_PGM_RSRC3_GFX90A:ACCUM_OFFSET: 3
; COMPUTE_PGM_RSRC3_GFX90A:TG_SPLIT: 0
	.section	.text._Z37inclusive_scan_prefix_callback_kernelILj128ELN6hipcub18BlockScanAlgorithmE1EiEvPT1_S3_S2_,"axG",@progbits,_Z37inclusive_scan_prefix_callback_kernelILj128ELN6hipcub18BlockScanAlgorithmE1EiEvPT1_S3_S2_,comdat
	.protected	_Z37inclusive_scan_prefix_callback_kernelILj128ELN6hipcub18BlockScanAlgorithmE1EiEvPT1_S3_S2_ ; -- Begin function _Z37inclusive_scan_prefix_callback_kernelILj128ELN6hipcub18BlockScanAlgorithmE1EiEvPT1_S3_S2_
	.globl	_Z37inclusive_scan_prefix_callback_kernelILj128ELN6hipcub18BlockScanAlgorithmE1EiEvPT1_S3_S2_
	.p2align	8
	.type	_Z37inclusive_scan_prefix_callback_kernelILj128ELN6hipcub18BlockScanAlgorithmE1EiEvPT1_S3_S2_,@function
_Z37inclusive_scan_prefix_callback_kernelILj128ELN6hipcub18BlockScanAlgorithmE1EiEvPT1_S3_S2_: ; @_Z37inclusive_scan_prefix_callback_kernelILj128ELN6hipcub18BlockScanAlgorithmE1EiEvPT1_S3_S2_
; %bb.0:
	s_load_dwordx4 s[0:3], s[4:5], 0x0
	v_lshl_or_b32 v2, s6, 7, v0
	v_mov_b32_e32 v3, 0
	v_lshlrev_b64 v[2:3], 2, v[2:3]
	s_waitcnt lgkmcnt(0)
	v_mov_b32_e32 v1, s1
	v_add_co_u32_e32 v2, vcc, s0, v2
	v_addc_co_u32_e32 v3, vcc, v1, v3, vcc
	global_load_dword v4, v[2:3], off
	v_lshrrev_b32_e32 v1, 5, v0
	v_add_lshl_u32 v1, v1, v0, 2
	v_cmp_gt_u32_e32 vcc, 64, v0
	s_waitcnt vmcnt(0)
	ds_write_b32 v1, v4
	s_waitcnt lgkmcnt(0)
	s_barrier
	s_and_saveexec_b64 s[8:9], vcc
	s_cbranch_execz .LBB56_2
; %bb.1:
	v_lshlrev_b32_e32 v5, 1, v0
	v_lshrrev_b32_e32 v6, 4, v0
	v_add_lshl_u32 v5, v6, v5, 2
	ds_read2_b32 v[6:7], v5 offset1:1
	v_mbcnt_lo_u32_b32 v8, -1, 0
	v_mbcnt_hi_u32_b32 v8, -1, v8
	v_and_b32_e32 v9, 15, v8
	v_cmp_ne_u32_e64 s[0:1], 0, v9
	s_waitcnt lgkmcnt(0)
	v_add_u32_e32 v10, v7, v6
	s_nop 1
	v_mov_b32_dpp v11, v10 row_shr:1 row_mask:0xf bank_mask:0xf
	v_cndmask_b32_e64 v11, 0, v11, s[0:1]
	v_add_u32_e32 v10, v11, v10
	v_cmp_lt_u32_e64 s[0:1], 1, v9
	s_nop 0
	v_mov_b32_dpp v11, v10 row_shr:2 row_mask:0xf bank_mask:0xf
	v_cndmask_b32_e64 v11, 0, v11, s[0:1]
	v_add_u32_e32 v10, v10, v11
	v_cmp_lt_u32_e64 s[0:1], 3, v9
	;; [unrolled: 5-line block ×3, first 2 shown]
	s_nop 0
	v_mov_b32_dpp v11, v10 row_shr:8 row_mask:0xf bank_mask:0xf
	v_cndmask_b32_e64 v9, 0, v11, s[0:1]
	v_add_u32_e32 v9, v10, v9
	v_bfe_i32 v11, v8, 4, 1
	v_cmp_lt_u32_e64 s[0:1], 31, v8
	v_mov_b32_dpp v10, v9 row_bcast:15 row_mask:0xf bank_mask:0xf
	v_and_b32_e32 v10, v11, v10
	v_add_u32_e32 v9, v9, v10
	v_and_b32_e32 v11, 64, v8
	s_nop 0
	v_mov_b32_dpp v10, v9 row_bcast:31 row_mask:0xf bank_mask:0xf
	v_cndmask_b32_e64 v10, 0, v10, s[0:1]
	v_add_u32_e32 v9, v9, v10
	v_add_u32_e32 v10, -1, v8
	v_cmp_lt_i32_e64 s[0:1], v10, v11
	v_cndmask_b32_e64 v8, v10, v8, s[0:1]
	v_lshlrev_b32_e32 v8, 2, v8
	ds_bpermute_b32 v8, v8, v9
	v_cmp_eq_u32_e64 s[0:1], 0, v0
	s_waitcnt lgkmcnt(0)
	v_add_u32_e32 v6, v8, v6
	v_cndmask_b32_e64 v4, v6, v4, s[0:1]
	v_add_u32_e32 v6, v4, v7
	ds_write2_b32 v5, v4, v6 offset1:1
.LBB56_2:
	s_or_b64 exec, exec, s[8:9]
	s_load_dword s7, s[4:5], 0x10
	s_waitcnt lgkmcnt(0)
	s_barrier
	ds_read_b32 v4, v1
	v_mov_b32_e32 v1, s7
	s_and_saveexec_b64 s[0:1], vcc
	s_cbranch_execz .LBB56_6
; %bb.3:
	v_mov_b32_e32 v5, 0
	ds_read_b32 v1, v5 offset:520
	v_cmp_eq_u32_e32 vcc, 0, v0
	s_and_saveexec_b64 s[4:5], vcc
	s_cbranch_execz .LBB56_5
; %bb.4:
	v_mov_b32_e32 v6, s7
	ds_write_b32 v5, v6
.LBB56_5:
	s_or_b64 exec, exec, s[4:5]
	s_waitcnt lgkmcnt(0)
	v_add_u32_e32 v1, s7, v1
.LBB56_6:
	s_or_b64 exec, exec, s[0:1]
	v_mov_b32_e32 v5, 0
	s_waitcnt lgkmcnt(0)
	s_barrier
	ds_read_b32 v6, v5
	s_mov_b32 s7, 0
	v_cmp_eq_u32_e32 vcc, 0, v0
	s_waitcnt lgkmcnt(0)
	v_add_u32_e32 v4, v6, v4
	global_store_dword v[2:3], v4, off
	s_and_saveexec_b64 s[0:1], vcc
	s_cbranch_execz .LBB56_8
; %bb.7:
	s_lshl_b64 s[0:1], s[6:7], 2
	s_add_u32 s0, s2, s0
	s_addc_u32 s1, s3, s1
	global_store_dword v5, v1, s[0:1]
.LBB56_8:
	s_endpgm
	.section	.rodata,"a",@progbits
	.p2align	6, 0x0
	.amdhsa_kernel _Z37inclusive_scan_prefix_callback_kernelILj128ELN6hipcub18BlockScanAlgorithmE1EiEvPT1_S3_S2_
		.amdhsa_group_segment_fixed_size 528
		.amdhsa_private_segment_fixed_size 0
		.amdhsa_kernarg_size 20
		.amdhsa_user_sgpr_count 6
		.amdhsa_user_sgpr_private_segment_buffer 1
		.amdhsa_user_sgpr_dispatch_ptr 0
		.amdhsa_user_sgpr_queue_ptr 0
		.amdhsa_user_sgpr_kernarg_segment_ptr 1
		.amdhsa_user_sgpr_dispatch_id 0
		.amdhsa_user_sgpr_flat_scratch_init 0
		.amdhsa_user_sgpr_kernarg_preload_length 0
		.amdhsa_user_sgpr_kernarg_preload_offset 0
		.amdhsa_user_sgpr_private_segment_size 0
		.amdhsa_uses_dynamic_stack 0
		.amdhsa_system_sgpr_private_segment_wavefront_offset 0
		.amdhsa_system_sgpr_workgroup_id_x 1
		.amdhsa_system_sgpr_workgroup_id_y 0
		.amdhsa_system_sgpr_workgroup_id_z 0
		.amdhsa_system_sgpr_workgroup_info 0
		.amdhsa_system_vgpr_workitem_id 0
		.amdhsa_next_free_vgpr 12
		.amdhsa_next_free_sgpr 10
		.amdhsa_accum_offset 12
		.amdhsa_reserve_vcc 1
		.amdhsa_reserve_flat_scratch 0
		.amdhsa_float_round_mode_32 0
		.amdhsa_float_round_mode_16_64 0
		.amdhsa_float_denorm_mode_32 3
		.amdhsa_float_denorm_mode_16_64 3
		.amdhsa_dx10_clamp 1
		.amdhsa_ieee_mode 1
		.amdhsa_fp16_overflow 0
		.amdhsa_tg_split 0
		.amdhsa_exception_fp_ieee_invalid_op 0
		.amdhsa_exception_fp_denorm_src 0
		.amdhsa_exception_fp_ieee_div_zero 0
		.amdhsa_exception_fp_ieee_overflow 0
		.amdhsa_exception_fp_ieee_underflow 0
		.amdhsa_exception_fp_ieee_inexact 0
		.amdhsa_exception_int_div_zero 0
	.end_amdhsa_kernel
	.section	.text._Z37inclusive_scan_prefix_callback_kernelILj128ELN6hipcub18BlockScanAlgorithmE1EiEvPT1_S3_S2_,"axG",@progbits,_Z37inclusive_scan_prefix_callback_kernelILj128ELN6hipcub18BlockScanAlgorithmE1EiEvPT1_S3_S2_,comdat
.Lfunc_end56:
	.size	_Z37inclusive_scan_prefix_callback_kernelILj128ELN6hipcub18BlockScanAlgorithmE1EiEvPT1_S3_S2_, .Lfunc_end56-_Z37inclusive_scan_prefix_callback_kernelILj128ELN6hipcub18BlockScanAlgorithmE1EiEvPT1_S3_S2_
                                        ; -- End function
	.section	.AMDGPU.csdata,"",@progbits
; Kernel info:
; codeLenInByte = 572
; NumSgprs: 14
; NumVgprs: 12
; NumAgprs: 0
; TotalNumVgprs: 12
; ScratchSize: 0
; MemoryBound: 0
; FloatMode: 240
; IeeeMode: 1
; LDSByteSize: 528 bytes/workgroup (compile time only)
; SGPRBlocks: 1
; VGPRBlocks: 1
; NumSGPRsForWavesPerEU: 14
; NumVGPRsForWavesPerEU: 12
; AccumOffset: 12
; Occupancy: 8
; WaveLimiterHint : 0
; COMPUTE_PGM_RSRC2:SCRATCH_EN: 0
; COMPUTE_PGM_RSRC2:USER_SGPR: 6
; COMPUTE_PGM_RSRC2:TRAP_HANDLER: 0
; COMPUTE_PGM_RSRC2:TGID_X_EN: 1
; COMPUTE_PGM_RSRC2:TGID_Y_EN: 0
; COMPUTE_PGM_RSRC2:TGID_Z_EN: 0
; COMPUTE_PGM_RSRC2:TIDIG_COMP_CNT: 0
; COMPUTE_PGM_RSRC3_GFX90A:ACCUM_OFFSET: 2
; COMPUTE_PGM_RSRC3_GFX90A:TG_SPLIT: 0
	.section	.text._Z37inclusive_scan_prefix_callback_kernelILj64ELN6hipcub18BlockScanAlgorithmE1EiEvPT1_S3_S2_,"axG",@progbits,_Z37inclusive_scan_prefix_callback_kernelILj64ELN6hipcub18BlockScanAlgorithmE1EiEvPT1_S3_S2_,comdat
	.protected	_Z37inclusive_scan_prefix_callback_kernelILj64ELN6hipcub18BlockScanAlgorithmE1EiEvPT1_S3_S2_ ; -- Begin function _Z37inclusive_scan_prefix_callback_kernelILj64ELN6hipcub18BlockScanAlgorithmE1EiEvPT1_S3_S2_
	.globl	_Z37inclusive_scan_prefix_callback_kernelILj64ELN6hipcub18BlockScanAlgorithmE1EiEvPT1_S3_S2_
	.p2align	8
	.type	_Z37inclusive_scan_prefix_callback_kernelILj64ELN6hipcub18BlockScanAlgorithmE1EiEvPT1_S3_S2_,@function
_Z37inclusive_scan_prefix_callback_kernelILj64ELN6hipcub18BlockScanAlgorithmE1EiEvPT1_S3_S2_: ; @_Z37inclusive_scan_prefix_callback_kernelILj64ELN6hipcub18BlockScanAlgorithmE1EiEvPT1_S3_S2_
; %bb.0:
	s_load_dwordx4 s[0:3], s[4:5], 0x0
	v_lshl_or_b32 v4, s6, 6, v0
	v_mov_b32_e32 v5, 0
	v_lshlrev_b64 v[2:3], 2, v[4:5]
	v_mbcnt_lo_u32_b32 v4, -1, 0
	s_waitcnt lgkmcnt(0)
	v_mov_b32_e32 v1, s1
	v_add_co_u32_e32 v2, vcc, s0, v2
	v_addc_co_u32_e32 v3, vcc, v1, v3, vcc
	global_load_dword v1, v[2:3], off
	v_mbcnt_hi_u32_b32 v4, -1, v4
	v_and_b32_e32 v6, 15, v4
	v_cmp_ne_u32_e32 vcc, 0, v6
	v_bfe_i32 v7, v4, 4, 1
	s_waitcnt vmcnt(0)
	v_mov_b32_dpp v8, v1 row_shr:1 row_mask:0xf bank_mask:0xf
	v_cndmask_b32_e32 v8, 0, v8, vcc
	v_add_u32_e32 v1, v8, v1
	v_cmp_lt_u32_e32 vcc, 1, v6
	s_nop 0
	v_mov_b32_dpp v8, v1 row_shr:2 row_mask:0xf bank_mask:0xf
	v_cndmask_b32_e32 v8, 0, v8, vcc
	v_add_u32_e32 v1, v1, v8
	v_cmp_lt_u32_e32 vcc, 3, v6
	s_nop 0
	;; [unrolled: 5-line block ×4, first 2 shown]
	v_mov_b32_dpp v6, v1 row_bcast:15 row_mask:0xf bank_mask:0xf
	v_and_b32_e32 v6, v7, v6
	v_add_u32_e32 v1, v1, v6
	s_nop 1
	v_mov_b32_dpp v6, v1 row_bcast:31 row_mask:0xf bank_mask:0xf
	v_cndmask_b32_e32 v4, 0, v6, vcc
	v_add_u32_e32 v1, v1, v4
	v_cmp_eq_u32_e32 vcc, 63, v0
	s_and_saveexec_b64 s[0:1], vcc
	s_cbranch_execz .LBB57_2
; %bb.1:
	ds_write_b32 v5, v1
.LBB57_2:
	s_or_b64 exec, exec, s[0:1]
	s_load_dword s7, s[4:5], 0x10
	v_cmp_gt_u32_e32 vcc, 64, v0
	s_waitcnt lgkmcnt(0)
	; wave barrier
	s_waitcnt lgkmcnt(0)
	v_mov_b32_e32 v4, s7
	s_and_saveexec_b64 s[0:1], vcc
	s_cbranch_execz .LBB57_6
; %bb.3:
	v_mov_b32_e32 v5, 0
	ds_read_b32 v4, v5
	v_cmp_eq_u32_e32 vcc, 0, v0
	s_and_saveexec_b64 s[4:5], vcc
	s_cbranch_execz .LBB57_5
; %bb.4:
	v_mov_b32_e32 v6, s7
	ds_write_b32 v5, v6
.LBB57_5:
	s_or_b64 exec, exec, s[4:5]
	s_waitcnt lgkmcnt(0)
	v_add_u32_e32 v4, s7, v4
.LBB57_6:
	s_or_b64 exec, exec, s[0:1]
	v_mov_b32_e32 v5, 0
	s_waitcnt lgkmcnt(0)
	; wave barrier
	ds_read_b32 v6, v5
	s_mov_b32 s7, 0
	v_cmp_eq_u32_e32 vcc, 0, v0
	s_waitcnt lgkmcnt(0)
	v_add_u32_e32 v1, v6, v1
	global_store_dword v[2:3], v1, off
	s_and_saveexec_b64 s[0:1], vcc
	s_cbranch_execz .LBB57_8
; %bb.7:
	s_lshl_b64 s[0:1], s[6:7], 2
	s_add_u32 s0, s2, s0
	s_addc_u32 s1, s3, s1
	global_store_dword v5, v4, s[0:1]
.LBB57_8:
	s_endpgm
	.section	.rodata,"a",@progbits
	.p2align	6, 0x0
	.amdhsa_kernel _Z37inclusive_scan_prefix_callback_kernelILj64ELN6hipcub18BlockScanAlgorithmE1EiEvPT1_S3_S2_
		.amdhsa_group_segment_fixed_size 4
		.amdhsa_private_segment_fixed_size 0
		.amdhsa_kernarg_size 20
		.amdhsa_user_sgpr_count 6
		.amdhsa_user_sgpr_private_segment_buffer 1
		.amdhsa_user_sgpr_dispatch_ptr 0
		.amdhsa_user_sgpr_queue_ptr 0
		.amdhsa_user_sgpr_kernarg_segment_ptr 1
		.amdhsa_user_sgpr_dispatch_id 0
		.amdhsa_user_sgpr_flat_scratch_init 0
		.amdhsa_user_sgpr_kernarg_preload_length 0
		.amdhsa_user_sgpr_kernarg_preload_offset 0
		.amdhsa_user_sgpr_private_segment_size 0
		.amdhsa_uses_dynamic_stack 0
		.amdhsa_system_sgpr_private_segment_wavefront_offset 0
		.amdhsa_system_sgpr_workgroup_id_x 1
		.amdhsa_system_sgpr_workgroup_id_y 0
		.amdhsa_system_sgpr_workgroup_id_z 0
		.amdhsa_system_sgpr_workgroup_info 0
		.amdhsa_system_vgpr_workitem_id 0
		.amdhsa_next_free_vgpr 9
		.amdhsa_next_free_sgpr 8
		.amdhsa_accum_offset 12
		.amdhsa_reserve_vcc 1
		.amdhsa_reserve_flat_scratch 0
		.amdhsa_float_round_mode_32 0
		.amdhsa_float_round_mode_16_64 0
		.amdhsa_float_denorm_mode_32 3
		.amdhsa_float_denorm_mode_16_64 3
		.amdhsa_dx10_clamp 1
		.amdhsa_ieee_mode 1
		.amdhsa_fp16_overflow 0
		.amdhsa_tg_split 0
		.amdhsa_exception_fp_ieee_invalid_op 0
		.amdhsa_exception_fp_denorm_src 0
		.amdhsa_exception_fp_ieee_div_zero 0
		.amdhsa_exception_fp_ieee_overflow 0
		.amdhsa_exception_fp_ieee_underflow 0
		.amdhsa_exception_fp_ieee_inexact 0
		.amdhsa_exception_int_div_zero 0
	.end_amdhsa_kernel
	.section	.text._Z37inclusive_scan_prefix_callback_kernelILj64ELN6hipcub18BlockScanAlgorithmE1EiEvPT1_S3_S2_,"axG",@progbits,_Z37inclusive_scan_prefix_callback_kernelILj64ELN6hipcub18BlockScanAlgorithmE1EiEvPT1_S3_S2_,comdat
.Lfunc_end57:
	.size	_Z37inclusive_scan_prefix_callback_kernelILj64ELN6hipcub18BlockScanAlgorithmE1EiEvPT1_S3_S2_, .Lfunc_end57-_Z37inclusive_scan_prefix_callback_kernelILj64ELN6hipcub18BlockScanAlgorithmE1EiEvPT1_S3_S2_
                                        ; -- End function
	.section	.AMDGPU.csdata,"",@progbits
; Kernel info:
; codeLenInByte = 400
; NumSgprs: 12
; NumVgprs: 9
; NumAgprs: 0
; TotalNumVgprs: 9
; ScratchSize: 0
; MemoryBound: 0
; FloatMode: 240
; IeeeMode: 1
; LDSByteSize: 4 bytes/workgroup (compile time only)
; SGPRBlocks: 1
; VGPRBlocks: 1
; NumSGPRsForWavesPerEU: 12
; NumVGPRsForWavesPerEU: 9
; AccumOffset: 12
; Occupancy: 8
; WaveLimiterHint : 0
; COMPUTE_PGM_RSRC2:SCRATCH_EN: 0
; COMPUTE_PGM_RSRC2:USER_SGPR: 6
; COMPUTE_PGM_RSRC2:TRAP_HANDLER: 0
; COMPUTE_PGM_RSRC2:TGID_X_EN: 1
; COMPUTE_PGM_RSRC2:TGID_Y_EN: 0
; COMPUTE_PGM_RSRC2:TGID_Z_EN: 0
; COMPUTE_PGM_RSRC2:TIDIG_COMP_CNT: 0
; COMPUTE_PGM_RSRC3_GFX90A:ACCUM_OFFSET: 2
; COMPUTE_PGM_RSRC3_GFX90A:TG_SPLIT: 0
	.section	.text._Z37inclusive_scan_prefix_callback_kernelILj377ELN6hipcub18BlockScanAlgorithmE0ElEvPT1_S3_S2_,"axG",@progbits,_Z37inclusive_scan_prefix_callback_kernelILj377ELN6hipcub18BlockScanAlgorithmE0ElEvPT1_S3_S2_,comdat
	.protected	_Z37inclusive_scan_prefix_callback_kernelILj377ELN6hipcub18BlockScanAlgorithmE0ElEvPT1_S3_S2_ ; -- Begin function _Z37inclusive_scan_prefix_callback_kernelILj377ELN6hipcub18BlockScanAlgorithmE0ElEvPT1_S3_S2_
	.globl	_Z37inclusive_scan_prefix_callback_kernelILj377ELN6hipcub18BlockScanAlgorithmE0ElEvPT1_S3_S2_
	.p2align	8
	.type	_Z37inclusive_scan_prefix_callback_kernelILj377ELN6hipcub18BlockScanAlgorithmE0ElEvPT1_S3_S2_,@function
_Z37inclusive_scan_prefix_callback_kernelILj377ELN6hipcub18BlockScanAlgorithmE0ElEvPT1_S3_S2_: ; @_Z37inclusive_scan_prefix_callback_kernelILj377ELN6hipcub18BlockScanAlgorithmE0ElEvPT1_S3_S2_
; %bb.0:
	s_load_dwordx4 s[0:3], s[4:5], 0x0
	s_mul_i32 s7, s6, 0x179
	v_add_u32_e32 v2, s7, v0
	v_mov_b32_e32 v3, 0
	v_lshlrev_b64 v[2:3], 3, v[2:3]
	s_waitcnt lgkmcnt(0)
	v_mov_b32_e32 v1, s1
	v_add_co_u32_e32 v2, vcc, s0, v2
	v_addc_co_u32_e32 v3, vcc, v1, v3, vcc
	global_load_dwordx2 v[4:5], v[2:3], off
	v_mbcnt_lo_u32_b32 v1, -1, 0
	v_mbcnt_hi_u32_b32 v7, -1, v1
	v_and_b32_e32 v1, 15, v7
	v_and_b32_e32 v9, 16, v7
	v_cmp_ne_u32_e64 s[0:1], 0, v7
	s_waitcnt vmcnt(0)
	v_mov_b32_dpp v6, v4 row_shr:1 row_mask:0xf bank_mask:0xf
	v_add_co_u32_e32 v6, vcc, v4, v6
	v_addc_co_u32_e32 v10, vcc, 0, v5, vcc
	v_mov_b32_dpp v8, v5 row_shr:1 row_mask:0xf bank_mask:0xf
	v_add_co_u32_e32 v11, vcc, 0, v6
	v_addc_co_u32_e32 v8, vcc, v8, v10, vcc
	v_cmp_eq_u32_e32 vcc, 0, v1
	v_cndmask_b32_e32 v6, v6, v4, vcc
	v_cndmask_b32_e32 v8, v8, v5, vcc
	v_cndmask_b32_e32 v10, v11, v4, vcc
	v_mov_b32_dpp v11, v6 row_shr:2 row_mask:0xf bank_mask:0xf
	v_mov_b32_dpp v12, v8 row_shr:2 row_mask:0xf bank_mask:0xf
	v_add_co_u32_e32 v11, vcc, v11, v10
	v_addc_co_u32_e32 v12, vcc, v12, v8, vcc
	v_cmp_lt_u32_e32 vcc, 1, v1
	v_cndmask_b32_e32 v6, v6, v11, vcc
	v_cndmask_b32_e32 v8, v8, v12, vcc
	v_cndmask_b32_e32 v10, v10, v11, vcc
	v_mov_b32_dpp v11, v6 row_shr:4 row_mask:0xf bank_mask:0xf
	v_mov_b32_dpp v12, v8 row_shr:4 row_mask:0xf bank_mask:0xf
	v_add_co_u32_e32 v11, vcc, v11, v10
	v_addc_co_u32_e32 v12, vcc, v12, v8, vcc
	v_cmp_lt_u32_e32 vcc, 3, v1
	;; [unrolled: 8-line block ×3, first 2 shown]
	v_cndmask_b32_e32 v13, v6, v11, vcc
	v_cndmask_b32_e32 v1, v8, v12, vcc
	;; [unrolled: 1-line block ×3, first 2 shown]
	v_mov_b32_dpp v8, v13 row_bcast:15 row_mask:0xf bank_mask:0xf
	v_mov_b32_dpp v10, v1 row_bcast:15 row_mask:0xf bank_mask:0xf
	v_add_co_u32_e32 v8, vcc, v8, v6
	v_addc_co_u32_e32 v10, vcc, v10, v1, vcc
	v_cmp_eq_u32_e32 vcc, 0, v9
	v_cndmask_b32_e32 v11, v10, v1, vcc
	v_cndmask_b32_e32 v9, v8, v13, vcc
	s_nop 0
	v_mov_b32_dpp v11, v11 row_bcast:31 row_mask:0xf bank_mask:0xf
	v_mov_b32_dpp v9, v9 row_bcast:31 row_mask:0xf bank_mask:0xf
	s_and_saveexec_b64 s[8:9], s[0:1]
; %bb.1:
	v_cndmask_b32_e32 v1, v10, v1, vcc
	v_cndmask_b32_e32 v4, v8, v6, vcc
	v_cmp_lt_u32_e32 vcc, 31, v7
	v_cndmask_b32_e32 v6, 0, v9, vcc
	v_cndmask_b32_e32 v5, 0, v11, vcc
	v_add_co_u32_e32 v4, vcc, v6, v4
	v_addc_co_u32_e32 v5, vcc, v5, v1, vcc
; %bb.2:
	s_or_b64 exec, exec, s[8:9]
	s_load_dwordx2 s[4:5], s[4:5], 0x10
	v_and_b32_e32 v6, 0x1c0, v0
	v_min_u32_e32 v6, 0x139, v6
	v_add_u32_e32 v6, 63, v6
	v_lshrrev_b32_e32 v1, 6, v0
	v_cmp_eq_u32_e32 vcc, v6, v0
	s_and_saveexec_b64 s[0:1], vcc
	s_cbranch_execz .LBB58_4
; %bb.3:
	v_lshlrev_b32_e32 v6, 3, v1
	ds_write_b64 v6, v[4:5]
.LBB58_4:
	s_or_b64 exec, exec, s[0:1]
	v_cmp_gt_u32_e32 vcc, 6, v0
	s_waitcnt lgkmcnt(0)
	s_barrier
	s_and_saveexec_b64 s[0:1], vcc
	s_cbranch_execz .LBB58_6
; %bb.5:
	v_lshlrev_b32_e32 v10, 3, v0
	ds_read_b64 v[8:9], v10
	v_and_b32_e32 v6, 7, v7
	s_waitcnt lgkmcnt(0)
	v_mov_b32_dpp v7, v8 row_shr:1 row_mask:0xf bank_mask:0xf
	v_add_co_u32_e32 v7, vcc, v8, v7
	v_addc_co_u32_e32 v12, vcc, 0, v9, vcc
	v_mov_b32_dpp v11, v9 row_shr:1 row_mask:0xf bank_mask:0xf
	v_add_co_u32_e32 v13, vcc, 0, v7
	v_addc_co_u32_e32 v11, vcc, v11, v12, vcc
	v_cmp_eq_u32_e32 vcc, 0, v6
	v_cndmask_b32_e32 v7, v7, v8, vcc
	v_cndmask_b32_e32 v9, v11, v9, vcc
	;; [unrolled: 1-line block ×3, first 2 shown]
	v_mov_b32_dpp v8, v7 row_shr:2 row_mask:0xf bank_mask:0xf
	v_add_co_u32_e32 v8, vcc, v11, v8
	v_addc_co_u32_e32 v13, vcc, 0, v9, vcc
	v_mov_b32_dpp v12, v9 row_shr:2 row_mask:0xf bank_mask:0xf
	v_add_co_u32_e32 v14, vcc, 0, v8
	v_addc_co_u32_e32 v12, vcc, v13, v12, vcc
	v_cmp_lt_u32_e32 vcc, 1, v6
	v_cndmask_b32_e32 v7, v7, v8, vcc
	v_cndmask_b32_e32 v9, v9, v12, vcc
	;; [unrolled: 1-line block ×3, first 2 shown]
	v_mov_b32_dpp v7, v7 row_shr:4 row_mask:0xf bank_mask:0xf
	v_cmp_lt_u32_e32 vcc, 3, v6
	v_mov_b32_dpp v8, v9 row_shr:4 row_mask:0xf bank_mask:0xf
	v_cndmask_b32_e32 v6, 0, v7, vcc
	v_cndmask_b32_e32 v7, 0, v8, vcc
	v_add_co_u32_e32 v6, vcc, v6, v11
	v_addc_co_u32_e32 v7, vcc, v7, v9, vcc
	ds_write_b64 v10, v[6:7]
.LBB58_6:
	s_or_b64 exec, exec, s[0:1]
	v_cmp_gt_u32_e32 vcc, 64, v0
	v_cmp_lt_u32_e64 s[0:1], 63, v0
	s_waitcnt lgkmcnt(0)
	s_barrier
	s_and_saveexec_b64 s[8:9], s[0:1]
	s_cbranch_execz .LBB58_8
; %bb.7:
	v_lshl_add_u32 v1, v1, 3, -8
	ds_read_b64 v[6:7], v1
	s_waitcnt lgkmcnt(0)
	v_add_co_u32_e64 v4, s[0:1], v6, v4
	v_addc_co_u32_e64 v5, s[0:1], v7, v5, s[0:1]
.LBB58_8:
	s_or_b64 exec, exec, s[8:9]
	v_pk_mov_b32 v[6:7], s[4:5], s[4:5] op_sel:[0,1]
	s_and_saveexec_b64 s[0:1], vcc
	s_cbranch_execz .LBB58_12
; %bb.9:
	v_mov_b32_e32 v1, 0
	ds_read_b64 v[6:7], v1 offset:40
	v_mov_b32_e32 v8, s5
	s_waitcnt lgkmcnt(0)
	v_add_co_u32_e32 v6, vcc, s4, v6
	v_addc_co_u32_e32 v7, vcc, v7, v8, vcc
	v_cmp_eq_u32_e32 vcc, 0, v0
	s_and_saveexec_b64 s[8:9], vcc
	s_cbranch_execz .LBB58_11
; %bb.10:
	v_pk_mov_b32 v[8:9], s[4:5], s[4:5] op_sel:[0,1]
	ds_write_b64 v1, v[8:9] offset:40
.LBB58_11:
	s_or_b64 exec, exec, s[8:9]
.LBB58_12:
	s_or_b64 exec, exec, s[0:1]
	v_mov_b32_e32 v1, 0
	s_waitcnt lgkmcnt(0)
	s_barrier
	ds_read_b64 v[8:9], v1 offset:40
	s_mov_b32 s7, 0
	s_waitcnt lgkmcnt(0)
	v_add_co_u32_e32 v4, vcc, v8, v4
	v_addc_co_u32_e32 v5, vcc, v9, v5, vcc
	v_cmp_eq_u32_e32 vcc, 0, v0
	global_store_dwordx2 v[2:3], v[4:5], off
	s_and_saveexec_b64 s[0:1], vcc
	s_cbranch_execz .LBB58_14
; %bb.13:
	s_lshl_b64 s[0:1], s[6:7], 3
	s_add_u32 s0, s2, s0
	s_addc_u32 s1, s3, s1
	global_store_dwordx2 v1, v[6:7], s[0:1]
.LBB58_14:
	s_endpgm
	.section	.rodata,"a",@progbits
	.p2align	6, 0x0
	.amdhsa_kernel _Z37inclusive_scan_prefix_callback_kernelILj377ELN6hipcub18BlockScanAlgorithmE0ElEvPT1_S3_S2_
		.amdhsa_group_segment_fixed_size 48
		.amdhsa_private_segment_fixed_size 0
		.amdhsa_kernarg_size 24
		.amdhsa_user_sgpr_count 6
		.amdhsa_user_sgpr_private_segment_buffer 1
		.amdhsa_user_sgpr_dispatch_ptr 0
		.amdhsa_user_sgpr_queue_ptr 0
		.amdhsa_user_sgpr_kernarg_segment_ptr 1
		.amdhsa_user_sgpr_dispatch_id 0
		.amdhsa_user_sgpr_flat_scratch_init 0
		.amdhsa_user_sgpr_kernarg_preload_length 0
		.amdhsa_user_sgpr_kernarg_preload_offset 0
		.amdhsa_user_sgpr_private_segment_size 0
		.amdhsa_uses_dynamic_stack 0
		.amdhsa_system_sgpr_private_segment_wavefront_offset 0
		.amdhsa_system_sgpr_workgroup_id_x 1
		.amdhsa_system_sgpr_workgroup_id_y 0
		.amdhsa_system_sgpr_workgroup_id_z 0
		.amdhsa_system_sgpr_workgroup_info 0
		.amdhsa_system_vgpr_workitem_id 0
		.amdhsa_next_free_vgpr 15
		.amdhsa_next_free_sgpr 10
		.amdhsa_accum_offset 16
		.amdhsa_reserve_vcc 1
		.amdhsa_reserve_flat_scratch 0
		.amdhsa_float_round_mode_32 0
		.amdhsa_float_round_mode_16_64 0
		.amdhsa_float_denorm_mode_32 3
		.amdhsa_float_denorm_mode_16_64 3
		.amdhsa_dx10_clamp 1
		.amdhsa_ieee_mode 1
		.amdhsa_fp16_overflow 0
		.amdhsa_tg_split 0
		.amdhsa_exception_fp_ieee_invalid_op 0
		.amdhsa_exception_fp_denorm_src 0
		.amdhsa_exception_fp_ieee_div_zero 0
		.amdhsa_exception_fp_ieee_overflow 0
		.amdhsa_exception_fp_ieee_underflow 0
		.amdhsa_exception_fp_ieee_inexact 0
		.amdhsa_exception_int_div_zero 0
	.end_amdhsa_kernel
	.section	.text._Z37inclusive_scan_prefix_callback_kernelILj377ELN6hipcub18BlockScanAlgorithmE0ElEvPT1_S3_S2_,"axG",@progbits,_Z37inclusive_scan_prefix_callback_kernelILj377ELN6hipcub18BlockScanAlgorithmE0ElEvPT1_S3_S2_,comdat
.Lfunc_end58:
	.size	_Z37inclusive_scan_prefix_callback_kernelILj377ELN6hipcub18BlockScanAlgorithmE0ElEvPT1_S3_S2_, .Lfunc_end58-_Z37inclusive_scan_prefix_callback_kernelILj377ELN6hipcub18BlockScanAlgorithmE0ElEvPT1_S3_S2_
                                        ; -- End function
	.section	.AMDGPU.csdata,"",@progbits
; Kernel info:
; codeLenInByte = 824
; NumSgprs: 14
; NumVgprs: 15
; NumAgprs: 0
; TotalNumVgprs: 15
; ScratchSize: 0
; MemoryBound: 0
; FloatMode: 240
; IeeeMode: 1
; LDSByteSize: 48 bytes/workgroup (compile time only)
; SGPRBlocks: 1
; VGPRBlocks: 1
; NumSGPRsForWavesPerEU: 14
; NumVGPRsForWavesPerEU: 15
; AccumOffset: 16
; Occupancy: 8
; WaveLimiterHint : 0
; COMPUTE_PGM_RSRC2:SCRATCH_EN: 0
; COMPUTE_PGM_RSRC2:USER_SGPR: 6
; COMPUTE_PGM_RSRC2:TRAP_HANDLER: 0
; COMPUTE_PGM_RSRC2:TGID_X_EN: 1
; COMPUTE_PGM_RSRC2:TGID_Y_EN: 0
; COMPUTE_PGM_RSRC2:TGID_Z_EN: 0
; COMPUTE_PGM_RSRC2:TIDIG_COMP_CNT: 0
; COMPUTE_PGM_RSRC3_GFX90A:ACCUM_OFFSET: 3
; COMPUTE_PGM_RSRC3_GFX90A:TG_SPLIT: 0
	.section	.text._Z37inclusive_scan_prefix_callback_kernelILj256ELN6hipcub18BlockScanAlgorithmE0ElEvPT1_S3_S2_,"axG",@progbits,_Z37inclusive_scan_prefix_callback_kernelILj256ELN6hipcub18BlockScanAlgorithmE0ElEvPT1_S3_S2_,comdat
	.protected	_Z37inclusive_scan_prefix_callback_kernelILj256ELN6hipcub18BlockScanAlgorithmE0ElEvPT1_S3_S2_ ; -- Begin function _Z37inclusive_scan_prefix_callback_kernelILj256ELN6hipcub18BlockScanAlgorithmE0ElEvPT1_S3_S2_
	.globl	_Z37inclusive_scan_prefix_callback_kernelILj256ELN6hipcub18BlockScanAlgorithmE0ElEvPT1_S3_S2_
	.p2align	8
	.type	_Z37inclusive_scan_prefix_callback_kernelILj256ELN6hipcub18BlockScanAlgorithmE0ElEvPT1_S3_S2_,@function
_Z37inclusive_scan_prefix_callback_kernelILj256ELN6hipcub18BlockScanAlgorithmE0ElEvPT1_S3_S2_: ; @_Z37inclusive_scan_prefix_callback_kernelILj256ELN6hipcub18BlockScanAlgorithmE0ElEvPT1_S3_S2_
; %bb.0:
	s_load_dwordx4 s[0:3], s[4:5], 0x0
	v_lshl_or_b32 v2, s6, 8, v0
	v_mov_b32_e32 v3, 0
	v_lshlrev_b64 v[2:3], 3, v[2:3]
	s_waitcnt lgkmcnt(0)
	v_mov_b32_e32 v1, s1
	v_add_co_u32_e32 v2, vcc, s0, v2
	v_addc_co_u32_e32 v3, vcc, v1, v3, vcc
	global_load_dwordx2 v[4:5], v[2:3], off
	v_mbcnt_lo_u32_b32 v1, -1, 0
	v_mbcnt_hi_u32_b32 v7, -1, v1
	v_and_b32_e32 v1, 15, v7
	v_and_b32_e32 v9, 16, v7
	v_cmp_ne_u32_e64 s[0:1], 0, v7
	s_waitcnt vmcnt(0)
	v_mov_b32_dpp v6, v4 row_shr:1 row_mask:0xf bank_mask:0xf
	v_add_co_u32_e32 v6, vcc, v4, v6
	v_addc_co_u32_e32 v10, vcc, 0, v5, vcc
	v_mov_b32_dpp v8, v5 row_shr:1 row_mask:0xf bank_mask:0xf
	v_add_co_u32_e32 v11, vcc, 0, v6
	v_addc_co_u32_e32 v8, vcc, v8, v10, vcc
	v_cmp_eq_u32_e32 vcc, 0, v1
	v_cndmask_b32_e32 v6, v6, v4, vcc
	v_cndmask_b32_e32 v8, v8, v5, vcc
	v_cndmask_b32_e32 v10, v11, v4, vcc
	v_mov_b32_dpp v11, v6 row_shr:2 row_mask:0xf bank_mask:0xf
	v_mov_b32_dpp v12, v8 row_shr:2 row_mask:0xf bank_mask:0xf
	v_add_co_u32_e32 v11, vcc, v11, v10
	v_addc_co_u32_e32 v12, vcc, v12, v8, vcc
	v_cmp_lt_u32_e32 vcc, 1, v1
	v_cndmask_b32_e32 v6, v6, v11, vcc
	v_cndmask_b32_e32 v8, v8, v12, vcc
	v_cndmask_b32_e32 v10, v10, v11, vcc
	v_mov_b32_dpp v11, v6 row_shr:4 row_mask:0xf bank_mask:0xf
	v_mov_b32_dpp v12, v8 row_shr:4 row_mask:0xf bank_mask:0xf
	v_add_co_u32_e32 v11, vcc, v11, v10
	v_addc_co_u32_e32 v12, vcc, v12, v8, vcc
	v_cmp_lt_u32_e32 vcc, 3, v1
	;; [unrolled: 8-line block ×3, first 2 shown]
	v_cndmask_b32_e32 v13, v6, v11, vcc
	v_cndmask_b32_e32 v1, v8, v12, vcc
	;; [unrolled: 1-line block ×3, first 2 shown]
	v_mov_b32_dpp v8, v13 row_bcast:15 row_mask:0xf bank_mask:0xf
	v_mov_b32_dpp v10, v1 row_bcast:15 row_mask:0xf bank_mask:0xf
	v_add_co_u32_e32 v8, vcc, v8, v6
	v_addc_co_u32_e32 v10, vcc, v10, v1, vcc
	v_cmp_eq_u32_e32 vcc, 0, v9
	v_cndmask_b32_e32 v11, v10, v1, vcc
	v_cndmask_b32_e32 v9, v8, v13, vcc
	s_nop 0
	v_mov_b32_dpp v11, v11 row_bcast:31 row_mask:0xf bank_mask:0xf
	v_mov_b32_dpp v9, v9 row_bcast:31 row_mask:0xf bank_mask:0xf
	s_and_saveexec_b64 s[8:9], s[0:1]
; %bb.1:
	v_cndmask_b32_e32 v1, v10, v1, vcc
	v_cndmask_b32_e32 v4, v8, v6, vcc
	v_cmp_lt_u32_e32 vcc, 31, v7
	v_cndmask_b32_e32 v6, 0, v9, vcc
	v_cndmask_b32_e32 v5, 0, v11, vcc
	v_add_co_u32_e32 v4, vcc, v6, v4
	v_addc_co_u32_e32 v5, vcc, v5, v1, vcc
; %bb.2:
	s_or_b64 exec, exec, s[8:9]
	s_load_dwordx2 s[4:5], s[4:5], 0x10
	v_or_b32_e32 v6, 63, v0
	v_lshrrev_b32_e32 v1, 6, v0
	v_cmp_eq_u32_e32 vcc, v6, v0
	s_and_saveexec_b64 s[0:1], vcc
	s_cbranch_execz .LBB59_4
; %bb.3:
	v_lshlrev_b32_e32 v6, 3, v1
	ds_write_b64 v6, v[4:5]
.LBB59_4:
	s_or_b64 exec, exec, s[0:1]
	v_cmp_gt_u32_e32 vcc, 4, v0
	s_waitcnt lgkmcnt(0)
	s_barrier
	s_and_saveexec_b64 s[0:1], vcc
	s_cbranch_execz .LBB59_6
; %bb.5:
	v_lshlrev_b32_e32 v10, 3, v0
	ds_read_b64 v[8:9], v10
	v_and_b32_e32 v6, 3, v7
	s_waitcnt lgkmcnt(0)
	v_mov_b32_dpp v7, v8 row_shr:1 row_mask:0xf bank_mask:0xf
	v_add_co_u32_e32 v7, vcc, v8, v7
	v_addc_co_u32_e32 v12, vcc, 0, v9, vcc
	v_mov_b32_dpp v11, v9 row_shr:1 row_mask:0xf bank_mask:0xf
	v_add_co_u32_e32 v13, vcc, 0, v7
	v_addc_co_u32_e32 v11, vcc, v11, v12, vcc
	v_cmp_eq_u32_e32 vcc, 0, v6
	v_cndmask_b32_e32 v7, v7, v8, vcc
	v_cndmask_b32_e32 v9, v11, v9, vcc
	;; [unrolled: 1-line block ×3, first 2 shown]
	v_mov_b32_dpp v7, v7 row_shr:2 row_mask:0xf bank_mask:0xf
	v_cmp_lt_u32_e32 vcc, 1, v6
	v_mov_b32_dpp v8, v9 row_shr:2 row_mask:0xf bank_mask:0xf
	v_cndmask_b32_e32 v6, 0, v7, vcc
	v_cndmask_b32_e32 v7, 0, v8, vcc
	v_add_co_u32_e32 v6, vcc, v6, v11
	v_addc_co_u32_e32 v7, vcc, v7, v9, vcc
	ds_write_b64 v10, v[6:7]
.LBB59_6:
	s_or_b64 exec, exec, s[0:1]
	v_cmp_gt_u32_e32 vcc, 64, v0
	v_cmp_lt_u32_e64 s[0:1], 63, v0
	s_waitcnt lgkmcnt(0)
	s_barrier
	s_and_saveexec_b64 s[8:9], s[0:1]
	s_cbranch_execz .LBB59_8
; %bb.7:
	v_lshl_add_u32 v1, v1, 3, -8
	ds_read_b64 v[6:7], v1
	s_waitcnt lgkmcnt(0)
	v_add_co_u32_e64 v4, s[0:1], v6, v4
	v_addc_co_u32_e64 v5, s[0:1], v7, v5, s[0:1]
.LBB59_8:
	s_or_b64 exec, exec, s[8:9]
	v_pk_mov_b32 v[6:7], s[4:5], s[4:5] op_sel:[0,1]
	s_and_saveexec_b64 s[0:1], vcc
	s_cbranch_execz .LBB59_12
; %bb.9:
	v_mov_b32_e32 v1, 0
	ds_read_b64 v[6:7], v1 offset:24
	v_mov_b32_e32 v8, s5
	s_waitcnt lgkmcnt(0)
	v_add_co_u32_e32 v6, vcc, s4, v6
	v_addc_co_u32_e32 v7, vcc, v7, v8, vcc
	v_cmp_eq_u32_e32 vcc, 0, v0
	s_and_saveexec_b64 s[8:9], vcc
	s_cbranch_execz .LBB59_11
; %bb.10:
	v_pk_mov_b32 v[8:9], s[4:5], s[4:5] op_sel:[0,1]
	ds_write_b64 v1, v[8:9] offset:24
.LBB59_11:
	s_or_b64 exec, exec, s[8:9]
.LBB59_12:
	s_or_b64 exec, exec, s[0:1]
	v_mov_b32_e32 v1, 0
	s_waitcnt lgkmcnt(0)
	s_barrier
	ds_read_b64 v[8:9], v1 offset:24
	s_mov_b32 s7, 0
	s_waitcnt lgkmcnt(0)
	v_add_co_u32_e32 v4, vcc, v8, v4
	v_addc_co_u32_e32 v5, vcc, v9, v5, vcc
	v_cmp_eq_u32_e32 vcc, 0, v0
	global_store_dwordx2 v[2:3], v[4:5], off
	s_and_saveexec_b64 s[0:1], vcc
	s_cbranch_execz .LBB59_14
; %bb.13:
	s_lshl_b64 s[0:1], s[6:7], 3
	s_add_u32 s0, s2, s0
	s_addc_u32 s1, s3, s1
	global_store_dwordx2 v1, v[6:7], s[0:1]
.LBB59_14:
	s_endpgm
	.section	.rodata,"a",@progbits
	.p2align	6, 0x0
	.amdhsa_kernel _Z37inclusive_scan_prefix_callback_kernelILj256ELN6hipcub18BlockScanAlgorithmE0ElEvPT1_S3_S2_
		.amdhsa_group_segment_fixed_size 32
		.amdhsa_private_segment_fixed_size 0
		.amdhsa_kernarg_size 24
		.amdhsa_user_sgpr_count 6
		.amdhsa_user_sgpr_private_segment_buffer 1
		.amdhsa_user_sgpr_dispatch_ptr 0
		.amdhsa_user_sgpr_queue_ptr 0
		.amdhsa_user_sgpr_kernarg_segment_ptr 1
		.amdhsa_user_sgpr_dispatch_id 0
		.amdhsa_user_sgpr_flat_scratch_init 0
		.amdhsa_user_sgpr_kernarg_preload_length 0
		.amdhsa_user_sgpr_kernarg_preload_offset 0
		.amdhsa_user_sgpr_private_segment_size 0
		.amdhsa_uses_dynamic_stack 0
		.amdhsa_system_sgpr_private_segment_wavefront_offset 0
		.amdhsa_system_sgpr_workgroup_id_x 1
		.amdhsa_system_sgpr_workgroup_id_y 0
		.amdhsa_system_sgpr_workgroup_id_z 0
		.amdhsa_system_sgpr_workgroup_info 0
		.amdhsa_system_vgpr_workitem_id 0
		.amdhsa_next_free_vgpr 14
		.amdhsa_next_free_sgpr 10
		.amdhsa_accum_offset 16
		.amdhsa_reserve_vcc 1
		.amdhsa_reserve_flat_scratch 0
		.amdhsa_float_round_mode_32 0
		.amdhsa_float_round_mode_16_64 0
		.amdhsa_float_denorm_mode_32 3
		.amdhsa_float_denorm_mode_16_64 3
		.amdhsa_dx10_clamp 1
		.amdhsa_ieee_mode 1
		.amdhsa_fp16_overflow 0
		.amdhsa_tg_split 0
		.amdhsa_exception_fp_ieee_invalid_op 0
		.amdhsa_exception_fp_denorm_src 0
		.amdhsa_exception_fp_ieee_div_zero 0
		.amdhsa_exception_fp_ieee_overflow 0
		.amdhsa_exception_fp_ieee_underflow 0
		.amdhsa_exception_fp_ieee_inexact 0
		.amdhsa_exception_int_div_zero 0
	.end_amdhsa_kernel
	.section	.text._Z37inclusive_scan_prefix_callback_kernelILj256ELN6hipcub18BlockScanAlgorithmE0ElEvPT1_S3_S2_,"axG",@progbits,_Z37inclusive_scan_prefix_callback_kernelILj256ELN6hipcub18BlockScanAlgorithmE0ElEvPT1_S3_S2_,comdat
.Lfunc_end59:
	.size	_Z37inclusive_scan_prefix_callback_kernelILj256ELN6hipcub18BlockScanAlgorithmE0ElEvPT1_S3_S2_, .Lfunc_end59-_Z37inclusive_scan_prefix_callback_kernelILj256ELN6hipcub18BlockScanAlgorithmE0ElEvPT1_S3_S2_
                                        ; -- End function
	.section	.AMDGPU.csdata,"",@progbits
; Kernel info:
; codeLenInByte = 756
; NumSgprs: 14
; NumVgprs: 14
; NumAgprs: 0
; TotalNumVgprs: 14
; ScratchSize: 0
; MemoryBound: 0
; FloatMode: 240
; IeeeMode: 1
; LDSByteSize: 32 bytes/workgroup (compile time only)
; SGPRBlocks: 1
; VGPRBlocks: 1
; NumSGPRsForWavesPerEU: 14
; NumVGPRsForWavesPerEU: 14
; AccumOffset: 16
; Occupancy: 8
; WaveLimiterHint : 0
; COMPUTE_PGM_RSRC2:SCRATCH_EN: 0
; COMPUTE_PGM_RSRC2:USER_SGPR: 6
; COMPUTE_PGM_RSRC2:TRAP_HANDLER: 0
; COMPUTE_PGM_RSRC2:TGID_X_EN: 1
; COMPUTE_PGM_RSRC2:TGID_Y_EN: 0
; COMPUTE_PGM_RSRC2:TGID_Z_EN: 0
; COMPUTE_PGM_RSRC2:TIDIG_COMP_CNT: 0
; COMPUTE_PGM_RSRC3_GFX90A:ACCUM_OFFSET: 3
; COMPUTE_PGM_RSRC3_GFX90A:TG_SPLIT: 0
	.section	.text._Z37inclusive_scan_prefix_callback_kernelILj64ELN6hipcub18BlockScanAlgorithmE0ElEvPT1_S3_S2_,"axG",@progbits,_Z37inclusive_scan_prefix_callback_kernelILj64ELN6hipcub18BlockScanAlgorithmE0ElEvPT1_S3_S2_,comdat
	.protected	_Z37inclusive_scan_prefix_callback_kernelILj64ELN6hipcub18BlockScanAlgorithmE0ElEvPT1_S3_S2_ ; -- Begin function _Z37inclusive_scan_prefix_callback_kernelILj64ELN6hipcub18BlockScanAlgorithmE0ElEvPT1_S3_S2_
	.globl	_Z37inclusive_scan_prefix_callback_kernelILj64ELN6hipcub18BlockScanAlgorithmE0ElEvPT1_S3_S2_
	.p2align	8
	.type	_Z37inclusive_scan_prefix_callback_kernelILj64ELN6hipcub18BlockScanAlgorithmE0ElEvPT1_S3_S2_,@function
_Z37inclusive_scan_prefix_callback_kernelILj64ELN6hipcub18BlockScanAlgorithmE0ElEvPT1_S3_S2_: ; @_Z37inclusive_scan_prefix_callback_kernelILj64ELN6hipcub18BlockScanAlgorithmE0ElEvPT1_S3_S2_
; %bb.0:
	s_load_dwordx4 s[0:3], s[4:5], 0x0
	s_load_dwordx2 s[8:9], s[4:5], 0x10
	v_lshl_or_b32 v2, s6, 6, v0
	v_mov_b32_e32 v3, 0
	v_lshlrev_b64 v[2:3], 3, v[2:3]
	s_waitcnt lgkmcnt(0)
	v_mov_b32_e32 v1, s1
	v_add_co_u32_e32 v2, vcc, s0, v2
	v_addc_co_u32_e32 v3, vcc, v1, v3, vcc
	global_load_dwordx2 v[4:5], v[2:3], off
	v_mbcnt_lo_u32_b32 v1, -1, 0
	v_mbcnt_hi_u32_b32 v7, -1, v1
	v_and_b32_e32 v1, 15, v7
	v_and_b32_e32 v9, 16, v7
	v_cmp_ne_u32_e64 s[0:1], 0, v7
	s_waitcnt vmcnt(0)
	v_mov_b32_dpp v6, v4 row_shr:1 row_mask:0xf bank_mask:0xf
	v_add_co_u32_e32 v6, vcc, v4, v6
	v_addc_co_u32_e32 v10, vcc, 0, v5, vcc
	v_mov_b32_dpp v8, v5 row_shr:1 row_mask:0xf bank_mask:0xf
	v_add_co_u32_e32 v11, vcc, 0, v6
	v_addc_co_u32_e32 v8, vcc, v8, v10, vcc
	v_cmp_eq_u32_e32 vcc, 0, v1
	v_cndmask_b32_e32 v6, v6, v4, vcc
	v_cndmask_b32_e32 v8, v8, v5, vcc
	v_cndmask_b32_e32 v10, v11, v4, vcc
	v_mov_b32_dpp v11, v6 row_shr:2 row_mask:0xf bank_mask:0xf
	v_mov_b32_dpp v12, v8 row_shr:2 row_mask:0xf bank_mask:0xf
	v_add_co_u32_e32 v11, vcc, v11, v10
	v_addc_co_u32_e32 v12, vcc, v12, v8, vcc
	v_cmp_lt_u32_e32 vcc, 1, v1
	v_cndmask_b32_e32 v6, v6, v11, vcc
	v_cndmask_b32_e32 v8, v8, v12, vcc
	v_cndmask_b32_e32 v10, v10, v11, vcc
	v_mov_b32_dpp v11, v6 row_shr:4 row_mask:0xf bank_mask:0xf
	v_mov_b32_dpp v12, v8 row_shr:4 row_mask:0xf bank_mask:0xf
	v_add_co_u32_e32 v11, vcc, v11, v10
	v_addc_co_u32_e32 v12, vcc, v12, v8, vcc
	v_cmp_lt_u32_e32 vcc, 3, v1
	;; [unrolled: 8-line block ×3, first 2 shown]
	v_cndmask_b32_e32 v13, v6, v11, vcc
	v_cndmask_b32_e32 v1, v8, v12, vcc
	;; [unrolled: 1-line block ×3, first 2 shown]
	v_mov_b32_dpp v8, v13 row_bcast:15 row_mask:0xf bank_mask:0xf
	v_mov_b32_dpp v10, v1 row_bcast:15 row_mask:0xf bank_mask:0xf
	v_add_co_u32_e32 v8, vcc, v8, v6
	v_addc_co_u32_e32 v10, vcc, v10, v1, vcc
	v_cmp_eq_u32_e32 vcc, 0, v9
	v_cndmask_b32_e32 v11, v10, v1, vcc
	v_cndmask_b32_e32 v9, v8, v13, vcc
	s_nop 0
	v_mov_b32_dpp v11, v11 row_bcast:31 row_mask:0xf bank_mask:0xf
	v_mov_b32_dpp v9, v9 row_bcast:31 row_mask:0xf bank_mask:0xf
	s_and_saveexec_b64 s[4:5], s[0:1]
; %bb.1:
	v_cndmask_b32_e32 v1, v10, v1, vcc
	v_cndmask_b32_e32 v4, v8, v6, vcc
	v_cmp_lt_u32_e32 vcc, 31, v7
	v_cndmask_b32_e32 v6, 0, v9, vcc
	v_cndmask_b32_e32 v5, 0, v11, vcc
	v_add_co_u32_e32 v4, vcc, v6, v4
	v_addc_co_u32_e32 v5, vcc, v5, v1, vcc
; %bb.2:
	s_or_b64 exec, exec, s[4:5]
	v_cmp_eq_u32_e32 vcc, 63, v0
	s_and_saveexec_b64 s[0:1], vcc
	s_cbranch_execz .LBB60_4
; %bb.3:
	v_mov_b32_e32 v1, 0
	ds_write_b64 v1, v[4:5]
.LBB60_4:
	s_or_b64 exec, exec, s[0:1]
	v_cmp_gt_u32_e32 vcc, 64, v0
	v_pk_mov_b32 v[6:7], s[8:9], s[8:9] op_sel:[0,1]
	s_waitcnt lgkmcnt(0)
	; wave barrier
	s_waitcnt lgkmcnt(0)
	s_and_saveexec_b64 s[0:1], vcc
	s_cbranch_execz .LBB60_8
; %bb.5:
	v_mov_b32_e32 v1, 0
	ds_read_b64 v[6:7], v1
	v_mov_b32_e32 v8, s9
	s_waitcnt lgkmcnt(0)
	v_add_co_u32_e32 v6, vcc, s8, v6
	v_addc_co_u32_e32 v7, vcc, v7, v8, vcc
	v_cmp_eq_u32_e32 vcc, 0, v0
	s_and_saveexec_b64 s[4:5], vcc
	s_cbranch_execz .LBB60_7
; %bb.6:
	v_pk_mov_b32 v[8:9], s[8:9], s[8:9] op_sel:[0,1]
	ds_write_b64 v1, v[8:9]
.LBB60_7:
	s_or_b64 exec, exec, s[4:5]
.LBB60_8:
	s_or_b64 exec, exec, s[0:1]
	v_mov_b32_e32 v1, 0
	s_waitcnt lgkmcnt(0)
	; wave barrier
	s_waitcnt lgkmcnt(0)
	ds_read_b64 v[8:9], v1
	s_mov_b32 s7, 0
	s_waitcnt lgkmcnt(0)
	v_add_co_u32_e32 v4, vcc, v8, v4
	v_addc_co_u32_e32 v5, vcc, v9, v5, vcc
	v_cmp_eq_u32_e32 vcc, 0, v0
	global_store_dwordx2 v[2:3], v[4:5], off
	s_and_saveexec_b64 s[0:1], vcc
	s_cbranch_execz .LBB60_10
; %bb.9:
	s_lshl_b64 s[0:1], s[6:7], 3
	s_add_u32 s0, s2, s0
	s_addc_u32 s1, s3, s1
	global_store_dwordx2 v1, v[6:7], s[0:1]
.LBB60_10:
	s_endpgm
	.section	.rodata,"a",@progbits
	.p2align	6, 0x0
	.amdhsa_kernel _Z37inclusive_scan_prefix_callback_kernelILj64ELN6hipcub18BlockScanAlgorithmE0ElEvPT1_S3_S2_
		.amdhsa_group_segment_fixed_size 8
		.amdhsa_private_segment_fixed_size 0
		.amdhsa_kernarg_size 24
		.amdhsa_user_sgpr_count 6
		.amdhsa_user_sgpr_private_segment_buffer 1
		.amdhsa_user_sgpr_dispatch_ptr 0
		.amdhsa_user_sgpr_queue_ptr 0
		.amdhsa_user_sgpr_kernarg_segment_ptr 1
		.amdhsa_user_sgpr_dispatch_id 0
		.amdhsa_user_sgpr_flat_scratch_init 0
		.amdhsa_user_sgpr_kernarg_preload_length 0
		.amdhsa_user_sgpr_kernarg_preload_offset 0
		.amdhsa_user_sgpr_private_segment_size 0
		.amdhsa_uses_dynamic_stack 0
		.amdhsa_system_sgpr_private_segment_wavefront_offset 0
		.amdhsa_system_sgpr_workgroup_id_x 1
		.amdhsa_system_sgpr_workgroup_id_y 0
		.amdhsa_system_sgpr_workgroup_id_z 0
		.amdhsa_system_sgpr_workgroup_info 0
		.amdhsa_system_vgpr_workitem_id 0
		.amdhsa_next_free_vgpr 14
		.amdhsa_next_free_sgpr 10
		.amdhsa_accum_offset 16
		.amdhsa_reserve_vcc 1
		.amdhsa_reserve_flat_scratch 0
		.amdhsa_float_round_mode_32 0
		.amdhsa_float_round_mode_16_64 0
		.amdhsa_float_denorm_mode_32 3
		.amdhsa_float_denorm_mode_16_64 3
		.amdhsa_dx10_clamp 1
		.amdhsa_ieee_mode 1
		.amdhsa_fp16_overflow 0
		.amdhsa_tg_split 0
		.amdhsa_exception_fp_ieee_invalid_op 0
		.amdhsa_exception_fp_denorm_src 0
		.amdhsa_exception_fp_ieee_div_zero 0
		.amdhsa_exception_fp_ieee_overflow 0
		.amdhsa_exception_fp_ieee_underflow 0
		.amdhsa_exception_fp_ieee_inexact 0
		.amdhsa_exception_int_div_zero 0
	.end_amdhsa_kernel
	.section	.text._Z37inclusive_scan_prefix_callback_kernelILj64ELN6hipcub18BlockScanAlgorithmE0ElEvPT1_S3_S2_,"axG",@progbits,_Z37inclusive_scan_prefix_callback_kernelILj64ELN6hipcub18BlockScanAlgorithmE0ElEvPT1_S3_S2_,comdat
.Lfunc_end60:
	.size	_Z37inclusive_scan_prefix_callback_kernelILj64ELN6hipcub18BlockScanAlgorithmE0ElEvPT1_S3_S2_, .Lfunc_end60-_Z37inclusive_scan_prefix_callback_kernelILj64ELN6hipcub18BlockScanAlgorithmE0ElEvPT1_S3_S2_
                                        ; -- End function
	.section	.AMDGPU.csdata,"",@progbits
; Kernel info:
; codeLenInByte = 556
; NumSgprs: 14
; NumVgprs: 14
; NumAgprs: 0
; TotalNumVgprs: 14
; ScratchSize: 0
; MemoryBound: 0
; FloatMode: 240
; IeeeMode: 1
; LDSByteSize: 8 bytes/workgroup (compile time only)
; SGPRBlocks: 1
; VGPRBlocks: 1
; NumSGPRsForWavesPerEU: 14
; NumVGPRsForWavesPerEU: 14
; AccumOffset: 16
; Occupancy: 8
; WaveLimiterHint : 0
; COMPUTE_PGM_RSRC2:SCRATCH_EN: 0
; COMPUTE_PGM_RSRC2:USER_SGPR: 6
; COMPUTE_PGM_RSRC2:TRAP_HANDLER: 0
; COMPUTE_PGM_RSRC2:TGID_X_EN: 1
; COMPUTE_PGM_RSRC2:TGID_Y_EN: 0
; COMPUTE_PGM_RSRC2:TGID_Z_EN: 0
; COMPUTE_PGM_RSRC2:TIDIG_COMP_CNT: 0
; COMPUTE_PGM_RSRC3_GFX90A:ACCUM_OFFSET: 3
; COMPUTE_PGM_RSRC3_GFX90A:TG_SPLIT: 0
	.section	.text._Z37inclusive_scan_prefix_callback_kernelILj377ELN6hipcub18BlockScanAlgorithmE0EjEvPT1_S3_S2_,"axG",@progbits,_Z37inclusive_scan_prefix_callback_kernelILj377ELN6hipcub18BlockScanAlgorithmE0EjEvPT1_S3_S2_,comdat
	.protected	_Z37inclusive_scan_prefix_callback_kernelILj377ELN6hipcub18BlockScanAlgorithmE0EjEvPT1_S3_S2_ ; -- Begin function _Z37inclusive_scan_prefix_callback_kernelILj377ELN6hipcub18BlockScanAlgorithmE0EjEvPT1_S3_S2_
	.globl	_Z37inclusive_scan_prefix_callback_kernelILj377ELN6hipcub18BlockScanAlgorithmE0EjEvPT1_S3_S2_
	.p2align	8
	.type	_Z37inclusive_scan_prefix_callback_kernelILj377ELN6hipcub18BlockScanAlgorithmE0EjEvPT1_S3_S2_,@function
_Z37inclusive_scan_prefix_callback_kernelILj377ELN6hipcub18BlockScanAlgorithmE0EjEvPT1_S3_S2_: ; @_Z37inclusive_scan_prefix_callback_kernelILj377ELN6hipcub18BlockScanAlgorithmE0EjEvPT1_S3_S2_
; %bb.0:
	s_load_dwordx4 s[0:3], s[4:5], 0x0
	s_mul_i32 s7, s6, 0x179
	v_add_u32_e32 v2, s7, v0
	v_mov_b32_e32 v3, 0
	v_lshlrev_b64 v[2:3], 2, v[2:3]
	s_waitcnt lgkmcnt(0)
	v_mov_b32_e32 v1, s1
	v_add_co_u32_e32 v2, vcc, s0, v2
	v_addc_co_u32_e32 v3, vcc, v1, v3, vcc
	global_load_dword v4, v[2:3], off
	v_mbcnt_lo_u32_b32 v5, -1, 0
	v_mbcnt_hi_u32_b32 v5, -1, v5
	v_and_b32_e32 v7, 15, v5
	v_cmp_ne_u32_e32 vcc, 0, v7
	v_bfe_i32 v8, v5, 4, 1
	v_and_b32_e32 v6, 0x1c0, v0
	v_min_u32_e32 v6, 0x139, v6
	v_add_u32_e32 v6, 63, v6
	v_lshrrev_b32_e32 v1, 6, v0
	s_waitcnt vmcnt(0)
	v_mov_b32_dpp v9, v4 row_shr:1 row_mask:0xf bank_mask:0xf
	v_cndmask_b32_e32 v9, 0, v9, vcc
	v_add_u32_e32 v4, v9, v4
	v_cmp_lt_u32_e32 vcc, 1, v7
	s_nop 0
	v_mov_b32_dpp v9, v4 row_shr:2 row_mask:0xf bank_mask:0xf
	v_cndmask_b32_e32 v9, 0, v9, vcc
	v_add_u32_e32 v4, v4, v9
	v_cmp_lt_u32_e32 vcc, 3, v7
	s_nop 0
	;; [unrolled: 5-line block ×4, first 2 shown]
	v_mov_b32_dpp v7, v4 row_bcast:15 row_mask:0xf bank_mask:0xf
	v_and_b32_e32 v7, v8, v7
	v_add_u32_e32 v4, v4, v7
	s_nop 1
	v_mov_b32_dpp v7, v4 row_bcast:31 row_mask:0xf bank_mask:0xf
	v_cndmask_b32_e32 v7, 0, v7, vcc
	v_add_u32_e32 v4, v4, v7
	v_cmp_eq_u32_e32 vcc, v6, v0
	s_and_saveexec_b64 s[0:1], vcc
	s_cbranch_execz .LBB61_2
; %bb.1:
	v_lshlrev_b32_e32 v6, 2, v1
	ds_write_b32 v6, v4
.LBB61_2:
	s_or_b64 exec, exec, s[0:1]
	v_cmp_gt_u32_e32 vcc, 6, v0
	s_waitcnt lgkmcnt(0)
	s_barrier
	s_and_saveexec_b64 s[0:1], vcc
	s_cbranch_execz .LBB61_4
; %bb.3:
	v_lshlrev_b32_e32 v6, 2, v0
	ds_read_b32 v7, v6
	v_and_b32_e32 v5, 7, v5
	v_cmp_ne_u32_e32 vcc, 0, v5
	s_waitcnt lgkmcnt(0)
	v_mov_b32_dpp v8, v7 row_shr:1 row_mask:0xf bank_mask:0xf
	v_cndmask_b32_e32 v8, 0, v8, vcc
	v_add_u32_e32 v7, v8, v7
	v_cmp_lt_u32_e32 vcc, 1, v5
	s_nop 0
	v_mov_b32_dpp v8, v7 row_shr:2 row_mask:0xf bank_mask:0xf
	v_cndmask_b32_e32 v8, 0, v8, vcc
	v_add_u32_e32 v7, v7, v8
	v_cmp_lt_u32_e32 vcc, 3, v5
	s_nop 0
	v_mov_b32_dpp v8, v7 row_shr:4 row_mask:0xf bank_mask:0xf
	v_cndmask_b32_e32 v5, 0, v8, vcc
	v_add_u32_e32 v5, v7, v5
	ds_write_b32 v6, v5
.LBB61_4:
	s_or_b64 exec, exec, s[0:1]
	v_cmp_gt_u32_e32 vcc, 64, v0
	v_cmp_lt_u32_e64 s[0:1], 63, v0
	s_waitcnt lgkmcnt(0)
	s_barrier
	s_and_saveexec_b64 s[8:9], s[0:1]
	s_cbranch_execz .LBB61_6
; %bb.5:
	v_lshl_add_u32 v1, v1, 2, -4
	ds_read_b32 v1, v1
	s_waitcnt lgkmcnt(0)
	v_add_u32_e32 v4, v1, v4
.LBB61_6:
	s_or_b64 exec, exec, s[8:9]
	s_load_dword s7, s[4:5], 0x10
	s_waitcnt lgkmcnt(0)
	v_mov_b32_e32 v1, s7
	s_and_saveexec_b64 s[0:1], vcc
	s_cbranch_execz .LBB61_10
; %bb.7:
	v_mov_b32_e32 v5, 0
	ds_read_b32 v1, v5 offset:20
	v_cmp_eq_u32_e32 vcc, 0, v0
	s_and_saveexec_b64 s[4:5], vcc
	s_cbranch_execz .LBB61_9
; %bb.8:
	v_mov_b32_e32 v6, s7
	ds_write_b32 v5, v6 offset:20
.LBB61_9:
	s_or_b64 exec, exec, s[4:5]
	s_waitcnt lgkmcnt(0)
	v_add_u32_e32 v1, s7, v1
.LBB61_10:
	s_or_b64 exec, exec, s[0:1]
	v_mov_b32_e32 v5, 0
	s_barrier
	ds_read_b32 v6, v5 offset:20
	s_mov_b32 s7, 0
	v_cmp_eq_u32_e32 vcc, 0, v0
	s_waitcnt lgkmcnt(0)
	v_add_u32_e32 v4, v6, v4
	global_store_dword v[2:3], v4, off
	s_and_saveexec_b64 s[0:1], vcc
	s_cbranch_execz .LBB61_12
; %bb.11:
	s_lshl_b64 s[0:1], s[6:7], 2
	s_add_u32 s0, s2, s0
	s_addc_u32 s1, s3, s1
	global_store_dword v5, v1, s[0:1]
.LBB61_12:
	s_endpgm
	.section	.rodata,"a",@progbits
	.p2align	6, 0x0
	.amdhsa_kernel _Z37inclusive_scan_prefix_callback_kernelILj377ELN6hipcub18BlockScanAlgorithmE0EjEvPT1_S3_S2_
		.amdhsa_group_segment_fixed_size 24
		.amdhsa_private_segment_fixed_size 0
		.amdhsa_kernarg_size 20
		.amdhsa_user_sgpr_count 6
		.amdhsa_user_sgpr_private_segment_buffer 1
		.amdhsa_user_sgpr_dispatch_ptr 0
		.amdhsa_user_sgpr_queue_ptr 0
		.amdhsa_user_sgpr_kernarg_segment_ptr 1
		.amdhsa_user_sgpr_dispatch_id 0
		.amdhsa_user_sgpr_flat_scratch_init 0
		.amdhsa_user_sgpr_kernarg_preload_length 0
		.amdhsa_user_sgpr_kernarg_preload_offset 0
		.amdhsa_user_sgpr_private_segment_size 0
		.amdhsa_uses_dynamic_stack 0
		.amdhsa_system_sgpr_private_segment_wavefront_offset 0
		.amdhsa_system_sgpr_workgroup_id_x 1
		.amdhsa_system_sgpr_workgroup_id_y 0
		.amdhsa_system_sgpr_workgroup_id_z 0
		.amdhsa_system_sgpr_workgroup_info 0
		.amdhsa_system_vgpr_workitem_id 0
		.amdhsa_next_free_vgpr 10
		.amdhsa_next_free_sgpr 10
		.amdhsa_accum_offset 12
		.amdhsa_reserve_vcc 1
		.amdhsa_reserve_flat_scratch 0
		.amdhsa_float_round_mode_32 0
		.amdhsa_float_round_mode_16_64 0
		.amdhsa_float_denorm_mode_32 3
		.amdhsa_float_denorm_mode_16_64 3
		.amdhsa_dx10_clamp 1
		.amdhsa_ieee_mode 1
		.amdhsa_fp16_overflow 0
		.amdhsa_tg_split 0
		.amdhsa_exception_fp_ieee_invalid_op 0
		.amdhsa_exception_fp_denorm_src 0
		.amdhsa_exception_fp_ieee_div_zero 0
		.amdhsa_exception_fp_ieee_overflow 0
		.amdhsa_exception_fp_ieee_underflow 0
		.amdhsa_exception_fp_ieee_inexact 0
		.amdhsa_exception_int_div_zero 0
	.end_amdhsa_kernel
	.section	.text._Z37inclusive_scan_prefix_callback_kernelILj377ELN6hipcub18BlockScanAlgorithmE0EjEvPT1_S3_S2_,"axG",@progbits,_Z37inclusive_scan_prefix_callback_kernelILj377ELN6hipcub18BlockScanAlgorithmE0EjEvPT1_S3_S2_,comdat
.Lfunc_end61:
	.size	_Z37inclusive_scan_prefix_callback_kernelILj377ELN6hipcub18BlockScanAlgorithmE0EjEvPT1_S3_S2_, .Lfunc_end61-_Z37inclusive_scan_prefix_callback_kernelILj377ELN6hipcub18BlockScanAlgorithmE0EjEvPT1_S3_S2_
                                        ; -- End function
	.section	.AMDGPU.csdata,"",@progbits
; Kernel info:
; codeLenInByte = 600
; NumSgprs: 14
; NumVgprs: 10
; NumAgprs: 0
; TotalNumVgprs: 10
; ScratchSize: 0
; MemoryBound: 0
; FloatMode: 240
; IeeeMode: 1
; LDSByteSize: 24 bytes/workgroup (compile time only)
; SGPRBlocks: 1
; VGPRBlocks: 1
; NumSGPRsForWavesPerEU: 14
; NumVGPRsForWavesPerEU: 10
; AccumOffset: 12
; Occupancy: 8
; WaveLimiterHint : 0
; COMPUTE_PGM_RSRC2:SCRATCH_EN: 0
; COMPUTE_PGM_RSRC2:USER_SGPR: 6
; COMPUTE_PGM_RSRC2:TRAP_HANDLER: 0
; COMPUTE_PGM_RSRC2:TGID_X_EN: 1
; COMPUTE_PGM_RSRC2:TGID_Y_EN: 0
; COMPUTE_PGM_RSRC2:TGID_Z_EN: 0
; COMPUTE_PGM_RSRC2:TIDIG_COMP_CNT: 0
; COMPUTE_PGM_RSRC3_GFX90A:ACCUM_OFFSET: 2
; COMPUTE_PGM_RSRC3_GFX90A:TG_SPLIT: 0
	.section	.text._Z37inclusive_scan_prefix_callback_kernelILj256ELN6hipcub18BlockScanAlgorithmE0EjEvPT1_S3_S2_,"axG",@progbits,_Z37inclusive_scan_prefix_callback_kernelILj256ELN6hipcub18BlockScanAlgorithmE0EjEvPT1_S3_S2_,comdat
	.protected	_Z37inclusive_scan_prefix_callback_kernelILj256ELN6hipcub18BlockScanAlgorithmE0EjEvPT1_S3_S2_ ; -- Begin function _Z37inclusive_scan_prefix_callback_kernelILj256ELN6hipcub18BlockScanAlgorithmE0EjEvPT1_S3_S2_
	.globl	_Z37inclusive_scan_prefix_callback_kernelILj256ELN6hipcub18BlockScanAlgorithmE0EjEvPT1_S3_S2_
	.p2align	8
	.type	_Z37inclusive_scan_prefix_callback_kernelILj256ELN6hipcub18BlockScanAlgorithmE0EjEvPT1_S3_S2_,@function
_Z37inclusive_scan_prefix_callback_kernelILj256ELN6hipcub18BlockScanAlgorithmE0EjEvPT1_S3_S2_: ; @_Z37inclusive_scan_prefix_callback_kernelILj256ELN6hipcub18BlockScanAlgorithmE0EjEvPT1_S3_S2_
; %bb.0:
	s_load_dwordx4 s[0:3], s[4:5], 0x0
	v_lshl_or_b32 v2, s6, 8, v0
	v_mov_b32_e32 v3, 0
	v_lshlrev_b64 v[2:3], 2, v[2:3]
	v_mbcnt_lo_u32_b32 v5, -1, 0
	s_waitcnt lgkmcnt(0)
	v_mov_b32_e32 v1, s1
	v_add_co_u32_e32 v2, vcc, s0, v2
	v_addc_co_u32_e32 v3, vcc, v1, v3, vcc
	global_load_dword v4, v[2:3], off
	v_mbcnt_hi_u32_b32 v5, -1, v5
	v_and_b32_e32 v7, 15, v5
	v_cmp_ne_u32_e32 vcc, 0, v7
	v_bfe_i32 v8, v5, 4, 1
	v_or_b32_e32 v6, 63, v0
	v_lshrrev_b32_e32 v1, 6, v0
	s_waitcnt vmcnt(0)
	v_mov_b32_dpp v9, v4 row_shr:1 row_mask:0xf bank_mask:0xf
	v_cndmask_b32_e32 v9, 0, v9, vcc
	v_add_u32_e32 v4, v9, v4
	v_cmp_lt_u32_e32 vcc, 1, v7
	s_nop 0
	v_mov_b32_dpp v9, v4 row_shr:2 row_mask:0xf bank_mask:0xf
	v_cndmask_b32_e32 v9, 0, v9, vcc
	v_add_u32_e32 v4, v4, v9
	v_cmp_lt_u32_e32 vcc, 3, v7
	s_nop 0
	;; [unrolled: 5-line block ×4, first 2 shown]
	v_mov_b32_dpp v7, v4 row_bcast:15 row_mask:0xf bank_mask:0xf
	v_and_b32_e32 v7, v8, v7
	v_add_u32_e32 v4, v4, v7
	s_nop 1
	v_mov_b32_dpp v7, v4 row_bcast:31 row_mask:0xf bank_mask:0xf
	v_cndmask_b32_e32 v7, 0, v7, vcc
	v_add_u32_e32 v4, v4, v7
	v_cmp_eq_u32_e32 vcc, v6, v0
	s_and_saveexec_b64 s[0:1], vcc
	s_cbranch_execz .LBB62_2
; %bb.1:
	v_lshlrev_b32_e32 v6, 2, v1
	ds_write_b32 v6, v4
.LBB62_2:
	s_or_b64 exec, exec, s[0:1]
	v_cmp_gt_u32_e32 vcc, 4, v0
	s_waitcnt lgkmcnt(0)
	s_barrier
	s_and_saveexec_b64 s[0:1], vcc
	s_cbranch_execz .LBB62_4
; %bb.3:
	v_lshlrev_b32_e32 v6, 2, v0
	ds_read_b32 v7, v6
	v_and_b32_e32 v5, 3, v5
	v_cmp_ne_u32_e32 vcc, 0, v5
	s_waitcnt lgkmcnt(0)
	v_mov_b32_dpp v8, v7 row_shr:1 row_mask:0xf bank_mask:0xf
	v_cndmask_b32_e32 v8, 0, v8, vcc
	v_add_u32_e32 v7, v8, v7
	v_cmp_lt_u32_e32 vcc, 1, v5
	s_nop 0
	v_mov_b32_dpp v8, v7 row_shr:2 row_mask:0xf bank_mask:0xf
	v_cndmask_b32_e32 v5, 0, v8, vcc
	v_add_u32_e32 v5, v7, v5
	ds_write_b32 v6, v5
.LBB62_4:
	s_or_b64 exec, exec, s[0:1]
	v_cmp_gt_u32_e32 vcc, 64, v0
	v_cmp_lt_u32_e64 s[0:1], 63, v0
	s_waitcnt lgkmcnt(0)
	s_barrier
	s_and_saveexec_b64 s[8:9], s[0:1]
	s_cbranch_execz .LBB62_6
; %bb.5:
	v_lshl_add_u32 v1, v1, 2, -4
	ds_read_b32 v1, v1
	s_waitcnt lgkmcnt(0)
	v_add_u32_e32 v4, v1, v4
.LBB62_6:
	s_or_b64 exec, exec, s[8:9]
	s_load_dword s7, s[4:5], 0x10
	s_waitcnt lgkmcnt(0)
	v_mov_b32_e32 v1, s7
	s_and_saveexec_b64 s[0:1], vcc
	s_cbranch_execz .LBB62_10
; %bb.7:
	v_mov_b32_e32 v5, 0
	ds_read_b32 v1, v5 offset:12
	v_cmp_eq_u32_e32 vcc, 0, v0
	s_and_saveexec_b64 s[4:5], vcc
	s_cbranch_execz .LBB62_9
; %bb.8:
	v_mov_b32_e32 v6, s7
	ds_write_b32 v5, v6 offset:12
.LBB62_9:
	s_or_b64 exec, exec, s[4:5]
	s_waitcnt lgkmcnt(0)
	v_add_u32_e32 v1, s7, v1
.LBB62_10:
	s_or_b64 exec, exec, s[0:1]
	v_mov_b32_e32 v5, 0
	s_barrier
	ds_read_b32 v6, v5 offset:12
	s_mov_b32 s7, 0
	v_cmp_eq_u32_e32 vcc, 0, v0
	s_waitcnt lgkmcnt(0)
	v_add_u32_e32 v4, v6, v4
	global_store_dword v[2:3], v4, off
	s_and_saveexec_b64 s[0:1], vcc
	s_cbranch_execz .LBB62_12
; %bb.11:
	s_lshl_b64 s[0:1], s[6:7], 2
	s_add_u32 s0, s2, s0
	s_addc_u32 s1, s3, s1
	global_store_dword v5, v1, s[0:1]
.LBB62_12:
	s_endpgm
	.section	.rodata,"a",@progbits
	.p2align	6, 0x0
	.amdhsa_kernel _Z37inclusive_scan_prefix_callback_kernelILj256ELN6hipcub18BlockScanAlgorithmE0EjEvPT1_S3_S2_
		.amdhsa_group_segment_fixed_size 16
		.amdhsa_private_segment_fixed_size 0
		.amdhsa_kernarg_size 20
		.amdhsa_user_sgpr_count 6
		.amdhsa_user_sgpr_private_segment_buffer 1
		.amdhsa_user_sgpr_dispatch_ptr 0
		.amdhsa_user_sgpr_queue_ptr 0
		.amdhsa_user_sgpr_kernarg_segment_ptr 1
		.amdhsa_user_sgpr_dispatch_id 0
		.amdhsa_user_sgpr_flat_scratch_init 0
		.amdhsa_user_sgpr_kernarg_preload_length 0
		.amdhsa_user_sgpr_kernarg_preload_offset 0
		.amdhsa_user_sgpr_private_segment_size 0
		.amdhsa_uses_dynamic_stack 0
		.amdhsa_system_sgpr_private_segment_wavefront_offset 0
		.amdhsa_system_sgpr_workgroup_id_x 1
		.amdhsa_system_sgpr_workgroup_id_y 0
		.amdhsa_system_sgpr_workgroup_id_z 0
		.amdhsa_system_sgpr_workgroup_info 0
		.amdhsa_system_vgpr_workitem_id 0
		.amdhsa_next_free_vgpr 10
		.amdhsa_next_free_sgpr 10
		.amdhsa_accum_offset 12
		.amdhsa_reserve_vcc 1
		.amdhsa_reserve_flat_scratch 0
		.amdhsa_float_round_mode_32 0
		.amdhsa_float_round_mode_16_64 0
		.amdhsa_float_denorm_mode_32 3
		.amdhsa_float_denorm_mode_16_64 3
		.amdhsa_dx10_clamp 1
		.amdhsa_ieee_mode 1
		.amdhsa_fp16_overflow 0
		.amdhsa_tg_split 0
		.amdhsa_exception_fp_ieee_invalid_op 0
		.amdhsa_exception_fp_denorm_src 0
		.amdhsa_exception_fp_ieee_div_zero 0
		.amdhsa_exception_fp_ieee_overflow 0
		.amdhsa_exception_fp_ieee_underflow 0
		.amdhsa_exception_fp_ieee_inexact 0
		.amdhsa_exception_int_div_zero 0
	.end_amdhsa_kernel
	.section	.text._Z37inclusive_scan_prefix_callback_kernelILj256ELN6hipcub18BlockScanAlgorithmE0EjEvPT1_S3_S2_,"axG",@progbits,_Z37inclusive_scan_prefix_callback_kernelILj256ELN6hipcub18BlockScanAlgorithmE0EjEvPT1_S3_S2_,comdat
.Lfunc_end62:
	.size	_Z37inclusive_scan_prefix_callback_kernelILj256ELN6hipcub18BlockScanAlgorithmE0EjEvPT1_S3_S2_, .Lfunc_end62-_Z37inclusive_scan_prefix_callback_kernelILj256ELN6hipcub18BlockScanAlgorithmE0EjEvPT1_S3_S2_
                                        ; -- End function
	.section	.AMDGPU.csdata,"",@progbits
; Kernel info:
; codeLenInByte = 556
; NumSgprs: 14
; NumVgprs: 10
; NumAgprs: 0
; TotalNumVgprs: 10
; ScratchSize: 0
; MemoryBound: 0
; FloatMode: 240
; IeeeMode: 1
; LDSByteSize: 16 bytes/workgroup (compile time only)
; SGPRBlocks: 1
; VGPRBlocks: 1
; NumSGPRsForWavesPerEU: 14
; NumVGPRsForWavesPerEU: 10
; AccumOffset: 12
; Occupancy: 8
; WaveLimiterHint : 0
; COMPUTE_PGM_RSRC2:SCRATCH_EN: 0
; COMPUTE_PGM_RSRC2:USER_SGPR: 6
; COMPUTE_PGM_RSRC2:TRAP_HANDLER: 0
; COMPUTE_PGM_RSRC2:TGID_X_EN: 1
; COMPUTE_PGM_RSRC2:TGID_Y_EN: 0
; COMPUTE_PGM_RSRC2:TGID_Z_EN: 0
; COMPUTE_PGM_RSRC2:TIDIG_COMP_CNT: 0
; COMPUTE_PGM_RSRC3_GFX90A:ACCUM_OFFSET: 2
; COMPUTE_PGM_RSRC3_GFX90A:TG_SPLIT: 0
	.section	.text._Z37inclusive_scan_prefix_callback_kernelILj64ELN6hipcub18BlockScanAlgorithmE0EjEvPT1_S3_S2_,"axG",@progbits,_Z37inclusive_scan_prefix_callback_kernelILj64ELN6hipcub18BlockScanAlgorithmE0EjEvPT1_S3_S2_,comdat
	.protected	_Z37inclusive_scan_prefix_callback_kernelILj64ELN6hipcub18BlockScanAlgorithmE0EjEvPT1_S3_S2_ ; -- Begin function _Z37inclusive_scan_prefix_callback_kernelILj64ELN6hipcub18BlockScanAlgorithmE0EjEvPT1_S3_S2_
	.globl	_Z37inclusive_scan_prefix_callback_kernelILj64ELN6hipcub18BlockScanAlgorithmE0EjEvPT1_S3_S2_
	.p2align	8
	.type	_Z37inclusive_scan_prefix_callback_kernelILj64ELN6hipcub18BlockScanAlgorithmE0EjEvPT1_S3_S2_,@function
_Z37inclusive_scan_prefix_callback_kernelILj64ELN6hipcub18BlockScanAlgorithmE0EjEvPT1_S3_S2_: ; @_Z37inclusive_scan_prefix_callback_kernelILj64ELN6hipcub18BlockScanAlgorithmE0EjEvPT1_S3_S2_
; %bb.0:
	s_load_dwordx4 s[0:3], s[4:5], 0x0
	v_lshl_or_b32 v4, s6, 6, v0
	v_mov_b32_e32 v5, 0
	v_lshlrev_b64 v[2:3], 2, v[4:5]
	v_mbcnt_lo_u32_b32 v4, -1, 0
	s_waitcnt lgkmcnt(0)
	v_mov_b32_e32 v1, s1
	v_add_co_u32_e32 v2, vcc, s0, v2
	v_addc_co_u32_e32 v3, vcc, v1, v3, vcc
	global_load_dword v1, v[2:3], off
	v_mbcnt_hi_u32_b32 v4, -1, v4
	v_and_b32_e32 v6, 15, v4
	v_cmp_ne_u32_e32 vcc, 0, v6
	v_bfe_i32 v7, v4, 4, 1
	s_waitcnt vmcnt(0)
	v_mov_b32_dpp v8, v1 row_shr:1 row_mask:0xf bank_mask:0xf
	v_cndmask_b32_e32 v8, 0, v8, vcc
	v_add_u32_e32 v1, v8, v1
	v_cmp_lt_u32_e32 vcc, 1, v6
	s_nop 0
	v_mov_b32_dpp v8, v1 row_shr:2 row_mask:0xf bank_mask:0xf
	v_cndmask_b32_e32 v8, 0, v8, vcc
	v_add_u32_e32 v1, v1, v8
	v_cmp_lt_u32_e32 vcc, 3, v6
	s_nop 0
	;; [unrolled: 5-line block ×4, first 2 shown]
	v_mov_b32_dpp v6, v1 row_bcast:15 row_mask:0xf bank_mask:0xf
	v_and_b32_e32 v6, v7, v6
	v_add_u32_e32 v1, v1, v6
	s_nop 1
	v_mov_b32_dpp v6, v1 row_bcast:31 row_mask:0xf bank_mask:0xf
	v_cndmask_b32_e32 v4, 0, v6, vcc
	v_add_u32_e32 v1, v1, v4
	v_cmp_eq_u32_e32 vcc, 63, v0
	s_and_saveexec_b64 s[0:1], vcc
	s_cbranch_execz .LBB63_2
; %bb.1:
	ds_write_b32 v5, v1
.LBB63_2:
	s_or_b64 exec, exec, s[0:1]
	s_load_dword s7, s[4:5], 0x10
	v_cmp_gt_u32_e32 vcc, 64, v0
	s_waitcnt lgkmcnt(0)
	; wave barrier
	s_waitcnt lgkmcnt(0)
	v_mov_b32_e32 v4, s7
	s_and_saveexec_b64 s[0:1], vcc
	s_cbranch_execz .LBB63_6
; %bb.3:
	v_mov_b32_e32 v5, 0
	ds_read_b32 v4, v5
	v_cmp_eq_u32_e32 vcc, 0, v0
	s_and_saveexec_b64 s[4:5], vcc
	s_cbranch_execz .LBB63_5
; %bb.4:
	v_mov_b32_e32 v6, s7
	ds_write_b32 v5, v6
.LBB63_5:
	s_or_b64 exec, exec, s[4:5]
	s_waitcnt lgkmcnt(0)
	v_add_u32_e32 v4, s7, v4
.LBB63_6:
	s_or_b64 exec, exec, s[0:1]
	v_mov_b32_e32 v5, 0
	s_waitcnt lgkmcnt(0)
	; wave barrier
	ds_read_b32 v6, v5
	s_mov_b32 s7, 0
	v_cmp_eq_u32_e32 vcc, 0, v0
	s_waitcnt lgkmcnt(0)
	v_add_u32_e32 v1, v6, v1
	global_store_dword v[2:3], v1, off
	s_and_saveexec_b64 s[0:1], vcc
	s_cbranch_execz .LBB63_8
; %bb.7:
	s_lshl_b64 s[0:1], s[6:7], 2
	s_add_u32 s0, s2, s0
	s_addc_u32 s1, s3, s1
	global_store_dword v5, v4, s[0:1]
.LBB63_8:
	s_endpgm
	.section	.rodata,"a",@progbits
	.p2align	6, 0x0
	.amdhsa_kernel _Z37inclusive_scan_prefix_callback_kernelILj64ELN6hipcub18BlockScanAlgorithmE0EjEvPT1_S3_S2_
		.amdhsa_group_segment_fixed_size 4
		.amdhsa_private_segment_fixed_size 0
		.amdhsa_kernarg_size 20
		.amdhsa_user_sgpr_count 6
		.amdhsa_user_sgpr_private_segment_buffer 1
		.amdhsa_user_sgpr_dispatch_ptr 0
		.amdhsa_user_sgpr_queue_ptr 0
		.amdhsa_user_sgpr_kernarg_segment_ptr 1
		.amdhsa_user_sgpr_dispatch_id 0
		.amdhsa_user_sgpr_flat_scratch_init 0
		.amdhsa_user_sgpr_kernarg_preload_length 0
		.amdhsa_user_sgpr_kernarg_preload_offset 0
		.amdhsa_user_sgpr_private_segment_size 0
		.amdhsa_uses_dynamic_stack 0
		.amdhsa_system_sgpr_private_segment_wavefront_offset 0
		.amdhsa_system_sgpr_workgroup_id_x 1
		.amdhsa_system_sgpr_workgroup_id_y 0
		.amdhsa_system_sgpr_workgroup_id_z 0
		.amdhsa_system_sgpr_workgroup_info 0
		.amdhsa_system_vgpr_workitem_id 0
		.amdhsa_next_free_vgpr 9
		.amdhsa_next_free_sgpr 8
		.amdhsa_accum_offset 12
		.amdhsa_reserve_vcc 1
		.amdhsa_reserve_flat_scratch 0
		.amdhsa_float_round_mode_32 0
		.amdhsa_float_round_mode_16_64 0
		.amdhsa_float_denorm_mode_32 3
		.amdhsa_float_denorm_mode_16_64 3
		.amdhsa_dx10_clamp 1
		.amdhsa_ieee_mode 1
		.amdhsa_fp16_overflow 0
		.amdhsa_tg_split 0
		.amdhsa_exception_fp_ieee_invalid_op 0
		.amdhsa_exception_fp_denorm_src 0
		.amdhsa_exception_fp_ieee_div_zero 0
		.amdhsa_exception_fp_ieee_overflow 0
		.amdhsa_exception_fp_ieee_underflow 0
		.amdhsa_exception_fp_ieee_inexact 0
		.amdhsa_exception_int_div_zero 0
	.end_amdhsa_kernel
	.section	.text._Z37inclusive_scan_prefix_callback_kernelILj64ELN6hipcub18BlockScanAlgorithmE0EjEvPT1_S3_S2_,"axG",@progbits,_Z37inclusive_scan_prefix_callback_kernelILj64ELN6hipcub18BlockScanAlgorithmE0EjEvPT1_S3_S2_,comdat
.Lfunc_end63:
	.size	_Z37inclusive_scan_prefix_callback_kernelILj64ELN6hipcub18BlockScanAlgorithmE0EjEvPT1_S3_S2_, .Lfunc_end63-_Z37inclusive_scan_prefix_callback_kernelILj64ELN6hipcub18BlockScanAlgorithmE0EjEvPT1_S3_S2_
                                        ; -- End function
	.section	.AMDGPU.csdata,"",@progbits
; Kernel info:
; codeLenInByte = 400
; NumSgprs: 12
; NumVgprs: 9
; NumAgprs: 0
; TotalNumVgprs: 9
; ScratchSize: 0
; MemoryBound: 0
; FloatMode: 240
; IeeeMode: 1
; LDSByteSize: 4 bytes/workgroup (compile time only)
; SGPRBlocks: 1
; VGPRBlocks: 1
; NumSGPRsForWavesPerEU: 12
; NumVGPRsForWavesPerEU: 9
; AccumOffset: 12
; Occupancy: 8
; WaveLimiterHint : 0
; COMPUTE_PGM_RSRC2:SCRATCH_EN: 0
; COMPUTE_PGM_RSRC2:USER_SGPR: 6
; COMPUTE_PGM_RSRC2:TRAP_HANDLER: 0
; COMPUTE_PGM_RSRC2:TGID_X_EN: 1
; COMPUTE_PGM_RSRC2:TGID_Y_EN: 0
; COMPUTE_PGM_RSRC2:TGID_Z_EN: 0
; COMPUTE_PGM_RSRC2:TIDIG_COMP_CNT: 0
; COMPUTE_PGM_RSRC3_GFX90A:ACCUM_OFFSET: 2
; COMPUTE_PGM_RSRC3_GFX90A:TG_SPLIT: 0
	.section	.text._Z37inclusive_scan_prefix_callback_kernelILj255ELN6hipcub18BlockScanAlgorithmE0EiEvPT1_S3_S2_,"axG",@progbits,_Z37inclusive_scan_prefix_callback_kernelILj255ELN6hipcub18BlockScanAlgorithmE0EiEvPT1_S3_S2_,comdat
	.protected	_Z37inclusive_scan_prefix_callback_kernelILj255ELN6hipcub18BlockScanAlgorithmE0EiEvPT1_S3_S2_ ; -- Begin function _Z37inclusive_scan_prefix_callback_kernelILj255ELN6hipcub18BlockScanAlgorithmE0EiEvPT1_S3_S2_
	.globl	_Z37inclusive_scan_prefix_callback_kernelILj255ELN6hipcub18BlockScanAlgorithmE0EiEvPT1_S3_S2_
	.p2align	8
	.type	_Z37inclusive_scan_prefix_callback_kernelILj255ELN6hipcub18BlockScanAlgorithmE0EiEvPT1_S3_S2_,@function
_Z37inclusive_scan_prefix_callback_kernelILj255ELN6hipcub18BlockScanAlgorithmE0EiEvPT1_S3_S2_: ; @_Z37inclusive_scan_prefix_callback_kernelILj255ELN6hipcub18BlockScanAlgorithmE0EiEvPT1_S3_S2_
; %bb.0:
	s_load_dwordx4 s[0:3], s[4:5], 0x0
	s_mul_i32 s7, s6, 0xff
	v_add_u32_e32 v2, s7, v0
	v_mov_b32_e32 v3, 0
	v_lshlrev_b64 v[2:3], 2, v[2:3]
	s_waitcnt lgkmcnt(0)
	v_mov_b32_e32 v1, s1
	v_add_co_u32_e32 v2, vcc, s0, v2
	v_addc_co_u32_e32 v3, vcc, v1, v3, vcc
	global_load_dword v4, v[2:3], off
	v_mbcnt_lo_u32_b32 v5, -1, 0
	v_mbcnt_hi_u32_b32 v5, -1, v5
	v_and_b32_e32 v7, 15, v5
	v_cmp_ne_u32_e32 vcc, 0, v7
	v_bfe_i32 v8, v5, 4, 1
	v_and_b32_e32 v6, 0xc0, v0
	v_min_u32_e32 v6, 0xbf, v6
	v_add_u32_e32 v6, 63, v6
	v_lshrrev_b32_e32 v1, 6, v0
	s_waitcnt vmcnt(0)
	v_mov_b32_dpp v9, v4 row_shr:1 row_mask:0xf bank_mask:0xf
	v_cndmask_b32_e32 v9, 0, v9, vcc
	v_add_u32_e32 v4, v9, v4
	v_cmp_lt_u32_e32 vcc, 1, v7
	s_nop 0
	v_mov_b32_dpp v9, v4 row_shr:2 row_mask:0xf bank_mask:0xf
	v_cndmask_b32_e32 v9, 0, v9, vcc
	v_add_u32_e32 v4, v4, v9
	v_cmp_lt_u32_e32 vcc, 3, v7
	s_nop 0
	;; [unrolled: 5-line block ×4, first 2 shown]
	v_mov_b32_dpp v7, v4 row_bcast:15 row_mask:0xf bank_mask:0xf
	v_and_b32_e32 v7, v8, v7
	v_add_u32_e32 v4, v4, v7
	s_nop 1
	v_mov_b32_dpp v7, v4 row_bcast:31 row_mask:0xf bank_mask:0xf
	v_cndmask_b32_e32 v7, 0, v7, vcc
	v_add_u32_e32 v4, v4, v7
	v_cmp_eq_u32_e32 vcc, v6, v0
	s_and_saveexec_b64 s[0:1], vcc
	s_cbranch_execz .LBB64_2
; %bb.1:
	v_lshlrev_b32_e32 v6, 2, v1
	ds_write_b32 v6, v4
.LBB64_2:
	s_or_b64 exec, exec, s[0:1]
	v_cmp_gt_u32_e32 vcc, 4, v0
	s_waitcnt lgkmcnt(0)
	s_barrier
	s_and_saveexec_b64 s[0:1], vcc
	s_cbranch_execz .LBB64_4
; %bb.3:
	v_lshlrev_b32_e32 v6, 2, v0
	ds_read_b32 v7, v6
	v_and_b32_e32 v5, 3, v5
	v_cmp_ne_u32_e32 vcc, 0, v5
	s_waitcnt lgkmcnt(0)
	v_mov_b32_dpp v8, v7 row_shr:1 row_mask:0xf bank_mask:0xf
	v_cndmask_b32_e32 v8, 0, v8, vcc
	v_add_u32_e32 v7, v8, v7
	v_cmp_lt_u32_e32 vcc, 1, v5
	s_nop 0
	v_mov_b32_dpp v8, v7 row_shr:2 row_mask:0xf bank_mask:0xf
	v_cndmask_b32_e32 v5, 0, v8, vcc
	v_add_u32_e32 v5, v7, v5
	ds_write_b32 v6, v5
.LBB64_4:
	s_or_b64 exec, exec, s[0:1]
	v_cmp_gt_u32_e32 vcc, 64, v0
	v_cmp_lt_u32_e64 s[0:1], 63, v0
	s_waitcnt lgkmcnt(0)
	s_barrier
	s_and_saveexec_b64 s[8:9], s[0:1]
	s_cbranch_execz .LBB64_6
; %bb.5:
	v_lshl_add_u32 v1, v1, 2, -4
	ds_read_b32 v1, v1
	s_waitcnt lgkmcnt(0)
	v_add_u32_e32 v4, v1, v4
.LBB64_6:
	s_or_b64 exec, exec, s[8:9]
	s_load_dword s7, s[4:5], 0x10
	s_waitcnt lgkmcnt(0)
	v_mov_b32_e32 v1, s7
	s_and_saveexec_b64 s[0:1], vcc
	s_cbranch_execz .LBB64_10
; %bb.7:
	v_mov_b32_e32 v5, 0
	ds_read_b32 v1, v5 offset:12
	v_cmp_eq_u32_e32 vcc, 0, v0
	s_and_saveexec_b64 s[4:5], vcc
	s_cbranch_execz .LBB64_9
; %bb.8:
	v_mov_b32_e32 v6, s7
	ds_write_b32 v5, v6 offset:12
.LBB64_9:
	s_or_b64 exec, exec, s[4:5]
	s_waitcnt lgkmcnt(0)
	v_add_u32_e32 v1, s7, v1
.LBB64_10:
	s_or_b64 exec, exec, s[0:1]
	v_mov_b32_e32 v5, 0
	s_barrier
	ds_read_b32 v6, v5 offset:12
	s_mov_b32 s7, 0
	v_cmp_eq_u32_e32 vcc, 0, v0
	s_waitcnt lgkmcnt(0)
	v_add_u32_e32 v4, v6, v4
	global_store_dword v[2:3], v4, off
	s_and_saveexec_b64 s[0:1], vcc
	s_cbranch_execz .LBB64_12
; %bb.11:
	s_lshl_b64 s[0:1], s[6:7], 2
	s_add_u32 s0, s2, s0
	s_addc_u32 s1, s3, s1
	global_store_dword v5, v1, s[0:1]
.LBB64_12:
	s_endpgm
	.section	.rodata,"a",@progbits
	.p2align	6, 0x0
	.amdhsa_kernel _Z37inclusive_scan_prefix_callback_kernelILj255ELN6hipcub18BlockScanAlgorithmE0EiEvPT1_S3_S2_
		.amdhsa_group_segment_fixed_size 16
		.amdhsa_private_segment_fixed_size 0
		.amdhsa_kernarg_size 20
		.amdhsa_user_sgpr_count 6
		.amdhsa_user_sgpr_private_segment_buffer 1
		.amdhsa_user_sgpr_dispatch_ptr 0
		.amdhsa_user_sgpr_queue_ptr 0
		.amdhsa_user_sgpr_kernarg_segment_ptr 1
		.amdhsa_user_sgpr_dispatch_id 0
		.amdhsa_user_sgpr_flat_scratch_init 0
		.amdhsa_user_sgpr_kernarg_preload_length 0
		.amdhsa_user_sgpr_kernarg_preload_offset 0
		.amdhsa_user_sgpr_private_segment_size 0
		.amdhsa_uses_dynamic_stack 0
		.amdhsa_system_sgpr_private_segment_wavefront_offset 0
		.amdhsa_system_sgpr_workgroup_id_x 1
		.amdhsa_system_sgpr_workgroup_id_y 0
		.amdhsa_system_sgpr_workgroup_id_z 0
		.amdhsa_system_sgpr_workgroup_info 0
		.amdhsa_system_vgpr_workitem_id 0
		.amdhsa_next_free_vgpr 10
		.amdhsa_next_free_sgpr 10
		.amdhsa_accum_offset 12
		.amdhsa_reserve_vcc 1
		.amdhsa_reserve_flat_scratch 0
		.amdhsa_float_round_mode_32 0
		.amdhsa_float_round_mode_16_64 0
		.amdhsa_float_denorm_mode_32 3
		.amdhsa_float_denorm_mode_16_64 3
		.amdhsa_dx10_clamp 1
		.amdhsa_ieee_mode 1
		.amdhsa_fp16_overflow 0
		.amdhsa_tg_split 0
		.amdhsa_exception_fp_ieee_invalid_op 0
		.amdhsa_exception_fp_denorm_src 0
		.amdhsa_exception_fp_ieee_div_zero 0
		.amdhsa_exception_fp_ieee_overflow 0
		.amdhsa_exception_fp_ieee_underflow 0
		.amdhsa_exception_fp_ieee_inexact 0
		.amdhsa_exception_int_div_zero 0
	.end_amdhsa_kernel
	.section	.text._Z37inclusive_scan_prefix_callback_kernelILj255ELN6hipcub18BlockScanAlgorithmE0EiEvPT1_S3_S2_,"axG",@progbits,_Z37inclusive_scan_prefix_callback_kernelILj255ELN6hipcub18BlockScanAlgorithmE0EiEvPT1_S3_S2_,comdat
.Lfunc_end64:
	.size	_Z37inclusive_scan_prefix_callback_kernelILj255ELN6hipcub18BlockScanAlgorithmE0EiEvPT1_S3_S2_, .Lfunc_end64-_Z37inclusive_scan_prefix_callback_kernelILj255ELN6hipcub18BlockScanAlgorithmE0EiEvPT1_S3_S2_
                                        ; -- End function
	.section	.AMDGPU.csdata,"",@progbits
; Kernel info:
; codeLenInByte = 576
; NumSgprs: 14
; NumVgprs: 10
; NumAgprs: 0
; TotalNumVgprs: 10
; ScratchSize: 0
; MemoryBound: 0
; FloatMode: 240
; IeeeMode: 1
; LDSByteSize: 16 bytes/workgroup (compile time only)
; SGPRBlocks: 1
; VGPRBlocks: 1
; NumSGPRsForWavesPerEU: 14
; NumVGPRsForWavesPerEU: 10
; AccumOffset: 12
; Occupancy: 8
; WaveLimiterHint : 0
; COMPUTE_PGM_RSRC2:SCRATCH_EN: 0
; COMPUTE_PGM_RSRC2:USER_SGPR: 6
; COMPUTE_PGM_RSRC2:TRAP_HANDLER: 0
; COMPUTE_PGM_RSRC2:TGID_X_EN: 1
; COMPUTE_PGM_RSRC2:TGID_Y_EN: 0
; COMPUTE_PGM_RSRC2:TGID_Z_EN: 0
; COMPUTE_PGM_RSRC2:TIDIG_COMP_CNT: 0
; COMPUTE_PGM_RSRC3_GFX90A:ACCUM_OFFSET: 2
; COMPUTE_PGM_RSRC3_GFX90A:TG_SPLIT: 0
	.section	.text._Z37inclusive_scan_prefix_callback_kernelILj162ELN6hipcub18BlockScanAlgorithmE0EiEvPT1_S3_S2_,"axG",@progbits,_Z37inclusive_scan_prefix_callback_kernelILj162ELN6hipcub18BlockScanAlgorithmE0EiEvPT1_S3_S2_,comdat
	.protected	_Z37inclusive_scan_prefix_callback_kernelILj162ELN6hipcub18BlockScanAlgorithmE0EiEvPT1_S3_S2_ ; -- Begin function _Z37inclusive_scan_prefix_callback_kernelILj162ELN6hipcub18BlockScanAlgorithmE0EiEvPT1_S3_S2_
	.globl	_Z37inclusive_scan_prefix_callback_kernelILj162ELN6hipcub18BlockScanAlgorithmE0EiEvPT1_S3_S2_
	.p2align	8
	.type	_Z37inclusive_scan_prefix_callback_kernelILj162ELN6hipcub18BlockScanAlgorithmE0EiEvPT1_S3_S2_,@function
_Z37inclusive_scan_prefix_callback_kernelILj162ELN6hipcub18BlockScanAlgorithmE0EiEvPT1_S3_S2_: ; @_Z37inclusive_scan_prefix_callback_kernelILj162ELN6hipcub18BlockScanAlgorithmE0EiEvPT1_S3_S2_
; %bb.0:
	s_load_dwordx4 s[0:3], s[4:5], 0x0
	s_mul_i32 s7, s6, 0xa2
	v_add_u32_e32 v2, s7, v0
	v_mov_b32_e32 v3, 0
	v_lshlrev_b64 v[2:3], 2, v[2:3]
	s_waitcnt lgkmcnt(0)
	v_mov_b32_e32 v1, s1
	v_add_co_u32_e32 v2, vcc, s0, v2
	v_addc_co_u32_e32 v3, vcc, v1, v3, vcc
	global_load_dword v4, v[2:3], off
	v_mbcnt_lo_u32_b32 v5, -1, 0
	v_mbcnt_hi_u32_b32 v5, -1, v5
	v_and_b32_e32 v7, 15, v5
	v_cmp_ne_u32_e32 vcc, 0, v7
	v_bfe_i32 v8, v5, 4, 1
	v_and_b32_e32 v6, 0xc0, v0
	v_min_u32_e32 v6, 0x62, v6
	v_add_u32_e32 v6, 63, v6
	v_lshrrev_b32_e32 v1, 6, v0
	s_waitcnt vmcnt(0)
	v_mov_b32_dpp v9, v4 row_shr:1 row_mask:0xf bank_mask:0xf
	v_cndmask_b32_e32 v9, 0, v9, vcc
	v_add_u32_e32 v4, v9, v4
	v_cmp_lt_u32_e32 vcc, 1, v7
	s_nop 0
	v_mov_b32_dpp v9, v4 row_shr:2 row_mask:0xf bank_mask:0xf
	v_cndmask_b32_e32 v9, 0, v9, vcc
	v_add_u32_e32 v4, v4, v9
	v_cmp_lt_u32_e32 vcc, 3, v7
	s_nop 0
	;; [unrolled: 5-line block ×4, first 2 shown]
	v_mov_b32_dpp v7, v4 row_bcast:15 row_mask:0xf bank_mask:0xf
	v_and_b32_e32 v7, v8, v7
	v_add_u32_e32 v4, v4, v7
	s_nop 1
	v_mov_b32_dpp v7, v4 row_bcast:31 row_mask:0xf bank_mask:0xf
	v_cndmask_b32_e32 v7, 0, v7, vcc
	v_add_u32_e32 v4, v4, v7
	v_cmp_eq_u32_e32 vcc, v6, v0
	s_and_saveexec_b64 s[0:1], vcc
	s_cbranch_execz .LBB65_2
; %bb.1:
	v_lshlrev_b32_e32 v6, 2, v1
	ds_write_b32 v6, v4
.LBB65_2:
	s_or_b64 exec, exec, s[0:1]
	v_cmp_gt_u32_e32 vcc, 3, v0
	s_waitcnt lgkmcnt(0)
	s_barrier
	s_and_saveexec_b64 s[0:1], vcc
	s_cbranch_execz .LBB65_4
; %bb.3:
	v_lshlrev_b32_e32 v6, 2, v0
	ds_read_b32 v7, v6
	v_and_b32_e32 v5, 3, v5
	v_cmp_ne_u32_e32 vcc, 0, v5
	s_waitcnt lgkmcnt(0)
	v_mov_b32_dpp v8, v7 row_shr:1 row_mask:0xf bank_mask:0xf
	v_cndmask_b32_e32 v8, 0, v8, vcc
	v_add_u32_e32 v7, v8, v7
	v_cmp_lt_u32_e32 vcc, 1, v5
	s_nop 0
	v_mov_b32_dpp v8, v7 row_shr:2 row_mask:0xf bank_mask:0xf
	v_cndmask_b32_e32 v5, 0, v8, vcc
	v_add_u32_e32 v5, v7, v5
	ds_write_b32 v6, v5
.LBB65_4:
	s_or_b64 exec, exec, s[0:1]
	v_cmp_gt_u32_e32 vcc, 64, v0
	v_cmp_lt_u32_e64 s[0:1], 63, v0
	s_waitcnt lgkmcnt(0)
	s_barrier
	s_and_saveexec_b64 s[8:9], s[0:1]
	s_cbranch_execz .LBB65_6
; %bb.5:
	v_lshl_add_u32 v1, v1, 2, -4
	ds_read_b32 v1, v1
	s_waitcnt lgkmcnt(0)
	v_add_u32_e32 v4, v1, v4
.LBB65_6:
	s_or_b64 exec, exec, s[8:9]
	s_load_dword s7, s[4:5], 0x10
	s_waitcnt lgkmcnt(0)
	v_mov_b32_e32 v1, s7
	s_and_saveexec_b64 s[0:1], vcc
	s_cbranch_execz .LBB65_10
; %bb.7:
	v_mov_b32_e32 v5, 0
	ds_read_b32 v1, v5 offset:8
	v_cmp_eq_u32_e32 vcc, 0, v0
	s_and_saveexec_b64 s[4:5], vcc
	s_cbranch_execz .LBB65_9
; %bb.8:
	v_mov_b32_e32 v6, s7
	ds_write_b32 v5, v6 offset:8
.LBB65_9:
	s_or_b64 exec, exec, s[4:5]
	s_waitcnt lgkmcnt(0)
	v_add_u32_e32 v1, s7, v1
.LBB65_10:
	s_or_b64 exec, exec, s[0:1]
	v_mov_b32_e32 v5, 0
	s_barrier
	ds_read_b32 v6, v5 offset:8
	s_mov_b32 s7, 0
	v_cmp_eq_u32_e32 vcc, 0, v0
	s_waitcnt lgkmcnt(0)
	v_add_u32_e32 v4, v6, v4
	global_store_dword v[2:3], v4, off
	s_and_saveexec_b64 s[0:1], vcc
	s_cbranch_execz .LBB65_12
; %bb.11:
	s_lshl_b64 s[0:1], s[6:7], 2
	s_add_u32 s0, s2, s0
	s_addc_u32 s1, s3, s1
	global_store_dword v5, v1, s[0:1]
.LBB65_12:
	s_endpgm
	.section	.rodata,"a",@progbits
	.p2align	6, 0x0
	.amdhsa_kernel _Z37inclusive_scan_prefix_callback_kernelILj162ELN6hipcub18BlockScanAlgorithmE0EiEvPT1_S3_S2_
		.amdhsa_group_segment_fixed_size 12
		.amdhsa_private_segment_fixed_size 0
		.amdhsa_kernarg_size 20
		.amdhsa_user_sgpr_count 6
		.amdhsa_user_sgpr_private_segment_buffer 1
		.amdhsa_user_sgpr_dispatch_ptr 0
		.amdhsa_user_sgpr_queue_ptr 0
		.amdhsa_user_sgpr_kernarg_segment_ptr 1
		.amdhsa_user_sgpr_dispatch_id 0
		.amdhsa_user_sgpr_flat_scratch_init 0
		.amdhsa_user_sgpr_kernarg_preload_length 0
		.amdhsa_user_sgpr_kernarg_preload_offset 0
		.amdhsa_user_sgpr_private_segment_size 0
		.amdhsa_uses_dynamic_stack 0
		.amdhsa_system_sgpr_private_segment_wavefront_offset 0
		.amdhsa_system_sgpr_workgroup_id_x 1
		.amdhsa_system_sgpr_workgroup_id_y 0
		.amdhsa_system_sgpr_workgroup_id_z 0
		.amdhsa_system_sgpr_workgroup_info 0
		.amdhsa_system_vgpr_workitem_id 0
		.amdhsa_next_free_vgpr 10
		.amdhsa_next_free_sgpr 10
		.amdhsa_accum_offset 12
		.amdhsa_reserve_vcc 1
		.amdhsa_reserve_flat_scratch 0
		.amdhsa_float_round_mode_32 0
		.amdhsa_float_round_mode_16_64 0
		.amdhsa_float_denorm_mode_32 3
		.amdhsa_float_denorm_mode_16_64 3
		.amdhsa_dx10_clamp 1
		.amdhsa_ieee_mode 1
		.amdhsa_fp16_overflow 0
		.amdhsa_tg_split 0
		.amdhsa_exception_fp_ieee_invalid_op 0
		.amdhsa_exception_fp_denorm_src 0
		.amdhsa_exception_fp_ieee_div_zero 0
		.amdhsa_exception_fp_ieee_overflow 0
		.amdhsa_exception_fp_ieee_underflow 0
		.amdhsa_exception_fp_ieee_inexact 0
		.amdhsa_exception_int_div_zero 0
	.end_amdhsa_kernel
	.section	.text._Z37inclusive_scan_prefix_callback_kernelILj162ELN6hipcub18BlockScanAlgorithmE0EiEvPT1_S3_S2_,"axG",@progbits,_Z37inclusive_scan_prefix_callback_kernelILj162ELN6hipcub18BlockScanAlgorithmE0EiEvPT1_S3_S2_,comdat
.Lfunc_end65:
	.size	_Z37inclusive_scan_prefix_callback_kernelILj162ELN6hipcub18BlockScanAlgorithmE0EiEvPT1_S3_S2_, .Lfunc_end65-_Z37inclusive_scan_prefix_callback_kernelILj162ELN6hipcub18BlockScanAlgorithmE0EiEvPT1_S3_S2_
                                        ; -- End function
	.section	.AMDGPU.csdata,"",@progbits
; Kernel info:
; codeLenInByte = 576
; NumSgprs: 14
; NumVgprs: 10
; NumAgprs: 0
; TotalNumVgprs: 10
; ScratchSize: 0
; MemoryBound: 0
; FloatMode: 240
; IeeeMode: 1
; LDSByteSize: 12 bytes/workgroup (compile time only)
; SGPRBlocks: 1
; VGPRBlocks: 1
; NumSGPRsForWavesPerEU: 14
; NumVGPRsForWavesPerEU: 10
; AccumOffset: 12
; Occupancy: 8
; WaveLimiterHint : 0
; COMPUTE_PGM_RSRC2:SCRATCH_EN: 0
; COMPUTE_PGM_RSRC2:USER_SGPR: 6
; COMPUTE_PGM_RSRC2:TRAP_HANDLER: 0
; COMPUTE_PGM_RSRC2:TGID_X_EN: 1
; COMPUTE_PGM_RSRC2:TGID_Y_EN: 0
; COMPUTE_PGM_RSRC2:TGID_Z_EN: 0
; COMPUTE_PGM_RSRC2:TIDIG_COMP_CNT: 0
; COMPUTE_PGM_RSRC3_GFX90A:ACCUM_OFFSET: 2
; COMPUTE_PGM_RSRC3_GFX90A:TG_SPLIT: 0
	.section	.text._Z37inclusive_scan_prefix_callback_kernelILj37ELN6hipcub18BlockScanAlgorithmE0EiEvPT1_S3_S2_,"axG",@progbits,_Z37inclusive_scan_prefix_callback_kernelILj37ELN6hipcub18BlockScanAlgorithmE0EiEvPT1_S3_S2_,comdat
	.protected	_Z37inclusive_scan_prefix_callback_kernelILj37ELN6hipcub18BlockScanAlgorithmE0EiEvPT1_S3_S2_ ; -- Begin function _Z37inclusive_scan_prefix_callback_kernelILj37ELN6hipcub18BlockScanAlgorithmE0EiEvPT1_S3_S2_
	.globl	_Z37inclusive_scan_prefix_callback_kernelILj37ELN6hipcub18BlockScanAlgorithmE0EiEvPT1_S3_S2_
	.p2align	8
	.type	_Z37inclusive_scan_prefix_callback_kernelILj37ELN6hipcub18BlockScanAlgorithmE0EiEvPT1_S3_S2_,@function
_Z37inclusive_scan_prefix_callback_kernelILj37ELN6hipcub18BlockScanAlgorithmE0EiEvPT1_S3_S2_: ; @_Z37inclusive_scan_prefix_callback_kernelILj37ELN6hipcub18BlockScanAlgorithmE0EiEvPT1_S3_S2_
; %bb.0:
	s_load_dwordx4 s[0:3], s[4:5], 0x0
	v_mad_u64_u32 v[4:5], s[8:9], s6, 37, v[0:1]
	v_mov_b32_e32 v5, 0
	v_lshlrev_b64 v[2:3], 2, v[4:5]
	s_waitcnt lgkmcnt(0)
	v_mov_b32_e32 v1, s1
	v_add_co_u32_e32 v2, vcc, s0, v2
	v_addc_co_u32_e32 v3, vcc, v1, v3, vcc
	global_load_dword v1, v[2:3], off
	v_mbcnt_lo_u32_b32 v4, -1, 0
	v_mbcnt_hi_u32_b32 v4, -1, v4
	v_and_b32_e32 v6, 15, v4
	v_cmp_ne_u32_e32 vcc, 0, v6
	v_bfe_i32 v7, v4, 4, 1
	s_waitcnt vmcnt(0)
	v_mov_b32_dpp v8, v1 row_shr:1 row_mask:0xf bank_mask:0xf
	v_cndmask_b32_e32 v8, 0, v8, vcc
	v_add_u32_e32 v1, v8, v1
	v_cmp_lt_u32_e32 vcc, 1, v6
	s_nop 0
	v_mov_b32_dpp v8, v1 row_shr:2 row_mask:0xf bank_mask:0xf
	v_cndmask_b32_e32 v8, 0, v8, vcc
	v_add_u32_e32 v1, v1, v8
	v_cmp_lt_u32_e32 vcc, 3, v6
	s_nop 0
	;; [unrolled: 5-line block ×4, first 2 shown]
	v_mov_b32_dpp v6, v1 row_bcast:15 row_mask:0xf bank_mask:0xf
	v_and_b32_e32 v6, v7, v6
	v_add_u32_e32 v1, v1, v6
	s_nop 1
	v_mov_b32_dpp v6, v1 row_bcast:31 row_mask:0xf bank_mask:0xf
	v_cndmask_b32_e32 v4, 0, v6, vcc
	v_add_u32_e32 v1, v1, v4
	v_cmp_eq_u32_e32 vcc, 36, v0
	s_and_saveexec_b64 s[0:1], vcc
	s_cbranch_execz .LBB66_2
; %bb.1:
	ds_write_b32 v5, v1
.LBB66_2:
	s_or_b64 exec, exec, s[0:1]
	s_load_dword s7, s[4:5], 0x10
	v_cmp_gt_u32_e32 vcc, 64, v0
	s_waitcnt lgkmcnt(0)
	; wave barrier
	s_waitcnt lgkmcnt(0)
	v_mov_b32_e32 v4, s7
	s_and_saveexec_b64 s[0:1], vcc
	s_cbranch_execz .LBB66_6
; %bb.3:
	v_mov_b32_e32 v5, 0
	ds_read_b32 v4, v5
	v_cmp_eq_u32_e32 vcc, 0, v0
	s_and_saveexec_b64 s[4:5], vcc
	s_cbranch_execz .LBB66_5
; %bb.4:
	v_mov_b32_e32 v6, s7
	ds_write_b32 v5, v6
.LBB66_5:
	s_or_b64 exec, exec, s[4:5]
	s_waitcnt lgkmcnt(0)
	v_add_u32_e32 v4, s7, v4
.LBB66_6:
	s_or_b64 exec, exec, s[0:1]
	v_mov_b32_e32 v5, 0
	s_waitcnt lgkmcnt(0)
	; wave barrier
	ds_read_b32 v6, v5
	s_mov_b32 s7, 0
	v_cmp_eq_u32_e32 vcc, 0, v0
	s_waitcnt lgkmcnt(0)
	v_add_u32_e32 v1, v6, v1
	global_store_dword v[2:3], v1, off
	s_and_saveexec_b64 s[0:1], vcc
	s_cbranch_execz .LBB66_8
; %bb.7:
	s_lshl_b64 s[0:1], s[6:7], 2
	s_add_u32 s0, s2, s0
	s_addc_u32 s1, s3, s1
	global_store_dword v5, v4, s[0:1]
.LBB66_8:
	s_endpgm
	.section	.rodata,"a",@progbits
	.p2align	6, 0x0
	.amdhsa_kernel _Z37inclusive_scan_prefix_callback_kernelILj37ELN6hipcub18BlockScanAlgorithmE0EiEvPT1_S3_S2_
		.amdhsa_group_segment_fixed_size 4
		.amdhsa_private_segment_fixed_size 0
		.amdhsa_kernarg_size 20
		.amdhsa_user_sgpr_count 6
		.amdhsa_user_sgpr_private_segment_buffer 1
		.amdhsa_user_sgpr_dispatch_ptr 0
		.amdhsa_user_sgpr_queue_ptr 0
		.amdhsa_user_sgpr_kernarg_segment_ptr 1
		.amdhsa_user_sgpr_dispatch_id 0
		.amdhsa_user_sgpr_flat_scratch_init 0
		.amdhsa_user_sgpr_kernarg_preload_length 0
		.amdhsa_user_sgpr_kernarg_preload_offset 0
		.amdhsa_user_sgpr_private_segment_size 0
		.amdhsa_uses_dynamic_stack 0
		.amdhsa_system_sgpr_private_segment_wavefront_offset 0
		.amdhsa_system_sgpr_workgroup_id_x 1
		.amdhsa_system_sgpr_workgroup_id_y 0
		.amdhsa_system_sgpr_workgroup_id_z 0
		.amdhsa_system_sgpr_workgroup_info 0
		.amdhsa_system_vgpr_workitem_id 0
		.amdhsa_next_free_vgpr 9
		.amdhsa_next_free_sgpr 10
		.amdhsa_accum_offset 12
		.amdhsa_reserve_vcc 1
		.amdhsa_reserve_flat_scratch 0
		.amdhsa_float_round_mode_32 0
		.amdhsa_float_round_mode_16_64 0
		.amdhsa_float_denorm_mode_32 3
		.amdhsa_float_denorm_mode_16_64 3
		.amdhsa_dx10_clamp 1
		.amdhsa_ieee_mode 1
		.amdhsa_fp16_overflow 0
		.amdhsa_tg_split 0
		.amdhsa_exception_fp_ieee_invalid_op 0
		.amdhsa_exception_fp_denorm_src 0
		.amdhsa_exception_fp_ieee_div_zero 0
		.amdhsa_exception_fp_ieee_overflow 0
		.amdhsa_exception_fp_ieee_underflow 0
		.amdhsa_exception_fp_ieee_inexact 0
		.amdhsa_exception_int_div_zero 0
	.end_amdhsa_kernel
	.section	.text._Z37inclusive_scan_prefix_callback_kernelILj37ELN6hipcub18BlockScanAlgorithmE0EiEvPT1_S3_S2_,"axG",@progbits,_Z37inclusive_scan_prefix_callback_kernelILj37ELN6hipcub18BlockScanAlgorithmE0EiEvPT1_S3_S2_,comdat
.Lfunc_end66:
	.size	_Z37inclusive_scan_prefix_callback_kernelILj37ELN6hipcub18BlockScanAlgorithmE0EiEvPT1_S3_S2_, .Lfunc_end66-_Z37inclusive_scan_prefix_callback_kernelILj37ELN6hipcub18BlockScanAlgorithmE0EiEvPT1_S3_S2_
                                        ; -- End function
	.section	.AMDGPU.csdata,"",@progbits
; Kernel info:
; codeLenInByte = 400
; NumSgprs: 14
; NumVgprs: 9
; NumAgprs: 0
; TotalNumVgprs: 9
; ScratchSize: 0
; MemoryBound: 0
; FloatMode: 240
; IeeeMode: 1
; LDSByteSize: 4 bytes/workgroup (compile time only)
; SGPRBlocks: 1
; VGPRBlocks: 1
; NumSGPRsForWavesPerEU: 14
; NumVGPRsForWavesPerEU: 9
; AccumOffset: 12
; Occupancy: 8
; WaveLimiterHint : 0
; COMPUTE_PGM_RSRC2:SCRATCH_EN: 0
; COMPUTE_PGM_RSRC2:USER_SGPR: 6
; COMPUTE_PGM_RSRC2:TRAP_HANDLER: 0
; COMPUTE_PGM_RSRC2:TGID_X_EN: 1
; COMPUTE_PGM_RSRC2:TGID_Y_EN: 0
; COMPUTE_PGM_RSRC2:TGID_Z_EN: 0
; COMPUTE_PGM_RSRC2:TIDIG_COMP_CNT: 0
; COMPUTE_PGM_RSRC3_GFX90A:ACCUM_OFFSET: 2
; COMPUTE_PGM_RSRC3_GFX90A:TG_SPLIT: 0
	.section	.text._Z37inclusive_scan_prefix_callback_kernelILj65ELN6hipcub18BlockScanAlgorithmE0EiEvPT1_S3_S2_,"axG",@progbits,_Z37inclusive_scan_prefix_callback_kernelILj65ELN6hipcub18BlockScanAlgorithmE0EiEvPT1_S3_S2_,comdat
	.protected	_Z37inclusive_scan_prefix_callback_kernelILj65ELN6hipcub18BlockScanAlgorithmE0EiEvPT1_S3_S2_ ; -- Begin function _Z37inclusive_scan_prefix_callback_kernelILj65ELN6hipcub18BlockScanAlgorithmE0EiEvPT1_S3_S2_
	.globl	_Z37inclusive_scan_prefix_callback_kernelILj65ELN6hipcub18BlockScanAlgorithmE0EiEvPT1_S3_S2_
	.p2align	8
	.type	_Z37inclusive_scan_prefix_callback_kernelILj65ELN6hipcub18BlockScanAlgorithmE0EiEvPT1_S3_S2_,@function
_Z37inclusive_scan_prefix_callback_kernelILj65ELN6hipcub18BlockScanAlgorithmE0EiEvPT1_S3_S2_: ; @_Z37inclusive_scan_prefix_callback_kernelILj65ELN6hipcub18BlockScanAlgorithmE0EiEvPT1_S3_S2_
; %bb.0:
	s_load_dwordx4 s[8:11], s[4:5], 0x0
	s_mul_i32 s0, s6, 0x41
	v_add_u32_e32 v2, s0, v0
	v_mov_b32_e32 v3, 0
	v_lshlrev_b64 v[2:3], 2, v[2:3]
	s_waitcnt lgkmcnt(0)
	v_mov_b32_e32 v1, s9
	v_add_co_u32_e32 v2, vcc, s8, v2
	v_addc_co_u32_e32 v3, vcc, v1, v3, vcc
	global_load_dword v4, v[2:3], off
	v_mbcnt_lo_u32_b32 v5, -1, 0
	v_mbcnt_hi_u32_b32 v5, -1, v5
	v_and_b32_e32 v7, 15, v5
	v_cmp_ne_u32_e64 s[2:3], 0, v7
	v_bfe_i32 v8, v5, 4, 1
	v_cmp_gt_u32_e32 vcc, 64, v0
	v_cndmask_b32_e64 v6, 64, 63, vcc
	v_lshrrev_b32_e32 v1, 6, v0
	v_cmp_lt_u32_e64 s[0:1], 63, v0
	s_waitcnt vmcnt(0)
	v_mov_b32_dpp v9, v4 row_shr:1 row_mask:0xf bank_mask:0xf
	v_cndmask_b32_e64 v9, 0, v9, s[2:3]
	v_add_u32_e32 v4, v9, v4
	v_cmp_lt_u32_e64 s[2:3], 1, v7
	s_nop 0
	v_mov_b32_dpp v9, v4 row_shr:2 row_mask:0xf bank_mask:0xf
	v_cndmask_b32_e64 v9, 0, v9, s[2:3]
	v_add_u32_e32 v4, v4, v9
	v_cmp_lt_u32_e64 s[2:3], 3, v7
	s_nop 0
	;; [unrolled: 5-line block ×4, first 2 shown]
	v_mov_b32_dpp v7, v4 row_bcast:15 row_mask:0xf bank_mask:0xf
	v_and_b32_e32 v7, v8, v7
	v_add_u32_e32 v4, v4, v7
	s_nop 1
	v_mov_b32_dpp v7, v4 row_bcast:31 row_mask:0xf bank_mask:0xf
	v_cndmask_b32_e64 v7, 0, v7, s[2:3]
	v_add_u32_e32 v4, v4, v7
	v_cmp_eq_u32_e64 s[2:3], v6, v0
	s_and_saveexec_b64 s[8:9], s[2:3]
	s_cbranch_execz .LBB67_2
; %bb.1:
	v_lshlrev_b32_e32 v6, 2, v1
	ds_write_b32 v6, v4
.LBB67_2:
	s_or_b64 exec, exec, s[8:9]
	v_cmp_gt_u32_e64 s[2:3], 2, v0
	s_waitcnt lgkmcnt(0)
	s_barrier
	s_and_saveexec_b64 s[8:9], s[2:3]
	s_cbranch_execz .LBB67_4
; %bb.3:
	v_lshlrev_b32_e32 v6, 2, v0
	ds_read_b32 v7, v6
	v_bfe_i32 v5, v5, 0, 1
	s_waitcnt lgkmcnt(0)
	v_mov_b32_dpp v8, v7 row_shr:1 row_mask:0xf bank_mask:0xf
	v_and_b32_e32 v5, v5, v8
	v_add_u32_e32 v5, v5, v7
	ds_write_b32 v6, v5
.LBB67_4:
	s_or_b64 exec, exec, s[8:9]
	s_waitcnt lgkmcnt(0)
	s_barrier
	s_and_saveexec_b64 s[2:3], s[0:1]
	s_cbranch_execz .LBB67_6
; %bb.5:
	v_lshl_add_u32 v1, v1, 2, -4
	ds_read_b32 v1, v1
	s_waitcnt lgkmcnt(0)
	v_add_u32_e32 v4, v1, v4
.LBB67_6:
	s_or_b64 exec, exec, s[2:3]
	s_load_dword s4, s[4:5], 0x10
	s_waitcnt lgkmcnt(0)
	v_mov_b32_e32 v1, s4
	s_and_saveexec_b64 s[0:1], vcc
	s_cbranch_execz .LBB67_10
; %bb.7:
	v_mov_b32_e32 v5, 0
	ds_read_b32 v1, v5 offset:4
	v_cmp_eq_u32_e32 vcc, 0, v0
	s_and_saveexec_b64 s[2:3], vcc
	s_cbranch_execz .LBB67_9
; %bb.8:
	v_mov_b32_e32 v6, s4
	ds_write_b32 v5, v6 offset:4
.LBB67_9:
	s_or_b64 exec, exec, s[2:3]
	s_waitcnt lgkmcnt(0)
	v_add_u32_e32 v1, s4, v1
.LBB67_10:
	s_or_b64 exec, exec, s[0:1]
	v_mov_b32_e32 v5, 0
	s_barrier
	ds_read_b32 v6, v5 offset:4
	s_mov_b32 s7, 0
	v_cmp_eq_u32_e32 vcc, 0, v0
	s_waitcnt lgkmcnt(0)
	v_add_u32_e32 v4, v6, v4
	global_store_dword v[2:3], v4, off
	s_and_saveexec_b64 s[0:1], vcc
	s_cbranch_execz .LBB67_12
; %bb.11:
	s_lshl_b64 s[0:1], s[6:7], 2
	s_add_u32 s0, s10, s0
	s_addc_u32 s1, s11, s1
	global_store_dword v5, v1, s[0:1]
.LBB67_12:
	s_endpgm
	.section	.rodata,"a",@progbits
	.p2align	6, 0x0
	.amdhsa_kernel _Z37inclusive_scan_prefix_callback_kernelILj65ELN6hipcub18BlockScanAlgorithmE0EiEvPT1_S3_S2_
		.amdhsa_group_segment_fixed_size 8
		.amdhsa_private_segment_fixed_size 0
		.amdhsa_kernarg_size 20
		.amdhsa_user_sgpr_count 6
		.amdhsa_user_sgpr_private_segment_buffer 1
		.amdhsa_user_sgpr_dispatch_ptr 0
		.amdhsa_user_sgpr_queue_ptr 0
		.amdhsa_user_sgpr_kernarg_segment_ptr 1
		.amdhsa_user_sgpr_dispatch_id 0
		.amdhsa_user_sgpr_flat_scratch_init 0
		.amdhsa_user_sgpr_kernarg_preload_length 0
		.amdhsa_user_sgpr_kernarg_preload_offset 0
		.amdhsa_user_sgpr_private_segment_size 0
		.amdhsa_uses_dynamic_stack 0
		.amdhsa_system_sgpr_private_segment_wavefront_offset 0
		.amdhsa_system_sgpr_workgroup_id_x 1
		.amdhsa_system_sgpr_workgroup_id_y 0
		.amdhsa_system_sgpr_workgroup_id_z 0
		.amdhsa_system_sgpr_workgroup_info 0
		.amdhsa_system_vgpr_workitem_id 0
		.amdhsa_next_free_vgpr 10
		.amdhsa_next_free_sgpr 12
		.amdhsa_accum_offset 12
		.amdhsa_reserve_vcc 1
		.amdhsa_reserve_flat_scratch 0
		.amdhsa_float_round_mode_32 0
		.amdhsa_float_round_mode_16_64 0
		.amdhsa_float_denorm_mode_32 3
		.amdhsa_float_denorm_mode_16_64 3
		.amdhsa_dx10_clamp 1
		.amdhsa_ieee_mode 1
		.amdhsa_fp16_overflow 0
		.amdhsa_tg_split 0
		.amdhsa_exception_fp_ieee_invalid_op 0
		.amdhsa_exception_fp_denorm_src 0
		.amdhsa_exception_fp_ieee_div_zero 0
		.amdhsa_exception_fp_ieee_overflow 0
		.amdhsa_exception_fp_ieee_underflow 0
		.amdhsa_exception_fp_ieee_inexact 0
		.amdhsa_exception_int_div_zero 0
	.end_amdhsa_kernel
	.section	.text._Z37inclusive_scan_prefix_callback_kernelILj65ELN6hipcub18BlockScanAlgorithmE0EiEvPT1_S3_S2_,"axG",@progbits,_Z37inclusive_scan_prefix_callback_kernelILj65ELN6hipcub18BlockScanAlgorithmE0EiEvPT1_S3_S2_,comdat
.Lfunc_end67:
	.size	_Z37inclusive_scan_prefix_callback_kernelILj65ELN6hipcub18BlockScanAlgorithmE0EiEvPT1_S3_S2_, .Lfunc_end67-_Z37inclusive_scan_prefix_callback_kernelILj65ELN6hipcub18BlockScanAlgorithmE0EiEvPT1_S3_S2_
                                        ; -- End function
	.section	.AMDGPU.csdata,"",@progbits
; Kernel info:
; codeLenInByte = 588
; NumSgprs: 16
; NumVgprs: 10
; NumAgprs: 0
; TotalNumVgprs: 10
; ScratchSize: 0
; MemoryBound: 0
; FloatMode: 240
; IeeeMode: 1
; LDSByteSize: 8 bytes/workgroup (compile time only)
; SGPRBlocks: 1
; VGPRBlocks: 1
; NumSGPRsForWavesPerEU: 16
; NumVGPRsForWavesPerEU: 10
; AccumOffset: 12
; Occupancy: 8
; WaveLimiterHint : 0
; COMPUTE_PGM_RSRC2:SCRATCH_EN: 0
; COMPUTE_PGM_RSRC2:USER_SGPR: 6
; COMPUTE_PGM_RSRC2:TRAP_HANDLER: 0
; COMPUTE_PGM_RSRC2:TGID_X_EN: 1
; COMPUTE_PGM_RSRC2:TGID_Y_EN: 0
; COMPUTE_PGM_RSRC2:TGID_Z_EN: 0
; COMPUTE_PGM_RSRC2:TIDIG_COMP_CNT: 0
; COMPUTE_PGM_RSRC3_GFX90A:ACCUM_OFFSET: 2
; COMPUTE_PGM_RSRC3_GFX90A:TG_SPLIT: 0
	.section	.text._Z37inclusive_scan_prefix_callback_kernelILj512ELN6hipcub18BlockScanAlgorithmE0EiEvPT1_S3_S2_,"axG",@progbits,_Z37inclusive_scan_prefix_callback_kernelILj512ELN6hipcub18BlockScanAlgorithmE0EiEvPT1_S3_S2_,comdat
	.protected	_Z37inclusive_scan_prefix_callback_kernelILj512ELN6hipcub18BlockScanAlgorithmE0EiEvPT1_S3_S2_ ; -- Begin function _Z37inclusive_scan_prefix_callback_kernelILj512ELN6hipcub18BlockScanAlgorithmE0EiEvPT1_S3_S2_
	.globl	_Z37inclusive_scan_prefix_callback_kernelILj512ELN6hipcub18BlockScanAlgorithmE0EiEvPT1_S3_S2_
	.p2align	8
	.type	_Z37inclusive_scan_prefix_callback_kernelILj512ELN6hipcub18BlockScanAlgorithmE0EiEvPT1_S3_S2_,@function
_Z37inclusive_scan_prefix_callback_kernelILj512ELN6hipcub18BlockScanAlgorithmE0EiEvPT1_S3_S2_: ; @_Z37inclusive_scan_prefix_callback_kernelILj512ELN6hipcub18BlockScanAlgorithmE0EiEvPT1_S3_S2_
; %bb.0:
	s_load_dwordx4 s[0:3], s[4:5], 0x0
	v_lshl_or_b32 v2, s6, 9, v0
	v_mov_b32_e32 v3, 0
	v_lshlrev_b64 v[2:3], 2, v[2:3]
	v_mbcnt_lo_u32_b32 v5, -1, 0
	s_waitcnt lgkmcnt(0)
	v_mov_b32_e32 v1, s1
	v_add_co_u32_e32 v2, vcc, s0, v2
	v_addc_co_u32_e32 v3, vcc, v1, v3, vcc
	global_load_dword v4, v[2:3], off
	v_mbcnt_hi_u32_b32 v5, -1, v5
	v_and_b32_e32 v7, 15, v5
	v_cmp_ne_u32_e32 vcc, 0, v7
	v_bfe_i32 v8, v5, 4, 1
	v_or_b32_e32 v6, 63, v0
	v_lshrrev_b32_e32 v1, 6, v0
	s_waitcnt vmcnt(0)
	v_mov_b32_dpp v9, v4 row_shr:1 row_mask:0xf bank_mask:0xf
	v_cndmask_b32_e32 v9, 0, v9, vcc
	v_add_u32_e32 v4, v9, v4
	v_cmp_lt_u32_e32 vcc, 1, v7
	s_nop 0
	v_mov_b32_dpp v9, v4 row_shr:2 row_mask:0xf bank_mask:0xf
	v_cndmask_b32_e32 v9, 0, v9, vcc
	v_add_u32_e32 v4, v4, v9
	v_cmp_lt_u32_e32 vcc, 3, v7
	s_nop 0
	;; [unrolled: 5-line block ×4, first 2 shown]
	v_mov_b32_dpp v7, v4 row_bcast:15 row_mask:0xf bank_mask:0xf
	v_and_b32_e32 v7, v8, v7
	v_add_u32_e32 v4, v4, v7
	s_nop 1
	v_mov_b32_dpp v7, v4 row_bcast:31 row_mask:0xf bank_mask:0xf
	v_cndmask_b32_e32 v7, 0, v7, vcc
	v_add_u32_e32 v4, v4, v7
	v_cmp_eq_u32_e32 vcc, v6, v0
	s_and_saveexec_b64 s[0:1], vcc
	s_cbranch_execz .LBB68_2
; %bb.1:
	v_lshlrev_b32_e32 v6, 2, v1
	ds_write_b32 v6, v4
.LBB68_2:
	s_or_b64 exec, exec, s[0:1]
	v_cmp_gt_u32_e32 vcc, 8, v0
	s_waitcnt lgkmcnt(0)
	s_barrier
	s_and_saveexec_b64 s[0:1], vcc
	s_cbranch_execz .LBB68_4
; %bb.3:
	v_lshlrev_b32_e32 v6, 2, v0
	ds_read_b32 v7, v6
	v_and_b32_e32 v5, 7, v5
	v_cmp_ne_u32_e32 vcc, 0, v5
	s_waitcnt lgkmcnt(0)
	v_mov_b32_dpp v8, v7 row_shr:1 row_mask:0xf bank_mask:0xf
	v_cndmask_b32_e32 v8, 0, v8, vcc
	v_add_u32_e32 v7, v8, v7
	v_cmp_lt_u32_e32 vcc, 1, v5
	s_nop 0
	v_mov_b32_dpp v8, v7 row_shr:2 row_mask:0xf bank_mask:0xf
	v_cndmask_b32_e32 v8, 0, v8, vcc
	v_add_u32_e32 v7, v7, v8
	v_cmp_lt_u32_e32 vcc, 3, v5
	s_nop 0
	v_mov_b32_dpp v8, v7 row_shr:4 row_mask:0xf bank_mask:0xf
	v_cndmask_b32_e32 v5, 0, v8, vcc
	v_add_u32_e32 v5, v7, v5
	ds_write_b32 v6, v5
.LBB68_4:
	s_or_b64 exec, exec, s[0:1]
	v_cmp_gt_u32_e32 vcc, 64, v0
	v_cmp_lt_u32_e64 s[0:1], 63, v0
	s_waitcnt lgkmcnt(0)
	s_barrier
	s_and_saveexec_b64 s[8:9], s[0:1]
	s_cbranch_execz .LBB68_6
; %bb.5:
	v_lshl_add_u32 v1, v1, 2, -4
	ds_read_b32 v1, v1
	s_waitcnt lgkmcnt(0)
	v_add_u32_e32 v4, v1, v4
.LBB68_6:
	s_or_b64 exec, exec, s[8:9]
	s_load_dword s7, s[4:5], 0x10
	s_waitcnt lgkmcnt(0)
	v_mov_b32_e32 v1, s7
	s_and_saveexec_b64 s[0:1], vcc
	s_cbranch_execz .LBB68_10
; %bb.7:
	v_mov_b32_e32 v5, 0
	ds_read_b32 v1, v5 offset:28
	v_cmp_eq_u32_e32 vcc, 0, v0
	s_and_saveexec_b64 s[4:5], vcc
	s_cbranch_execz .LBB68_9
; %bb.8:
	v_mov_b32_e32 v6, s7
	ds_write_b32 v5, v6 offset:28
.LBB68_9:
	s_or_b64 exec, exec, s[4:5]
	s_waitcnt lgkmcnt(0)
	v_add_u32_e32 v1, s7, v1
.LBB68_10:
	s_or_b64 exec, exec, s[0:1]
	v_mov_b32_e32 v5, 0
	s_barrier
	ds_read_b32 v6, v5 offset:28
	s_mov_b32 s7, 0
	v_cmp_eq_u32_e32 vcc, 0, v0
	s_waitcnt lgkmcnt(0)
	v_add_u32_e32 v4, v6, v4
	global_store_dword v[2:3], v4, off
	s_and_saveexec_b64 s[0:1], vcc
	s_cbranch_execz .LBB68_12
; %bb.11:
	s_lshl_b64 s[0:1], s[6:7], 2
	s_add_u32 s0, s2, s0
	s_addc_u32 s1, s3, s1
	global_store_dword v5, v1, s[0:1]
.LBB68_12:
	s_endpgm
	.section	.rodata,"a",@progbits
	.p2align	6, 0x0
	.amdhsa_kernel _Z37inclusive_scan_prefix_callback_kernelILj512ELN6hipcub18BlockScanAlgorithmE0EiEvPT1_S3_S2_
		.amdhsa_group_segment_fixed_size 32
		.amdhsa_private_segment_fixed_size 0
		.amdhsa_kernarg_size 20
		.amdhsa_user_sgpr_count 6
		.amdhsa_user_sgpr_private_segment_buffer 1
		.amdhsa_user_sgpr_dispatch_ptr 0
		.amdhsa_user_sgpr_queue_ptr 0
		.amdhsa_user_sgpr_kernarg_segment_ptr 1
		.amdhsa_user_sgpr_dispatch_id 0
		.amdhsa_user_sgpr_flat_scratch_init 0
		.amdhsa_user_sgpr_kernarg_preload_length 0
		.amdhsa_user_sgpr_kernarg_preload_offset 0
		.amdhsa_user_sgpr_private_segment_size 0
		.amdhsa_uses_dynamic_stack 0
		.amdhsa_system_sgpr_private_segment_wavefront_offset 0
		.amdhsa_system_sgpr_workgroup_id_x 1
		.amdhsa_system_sgpr_workgroup_id_y 0
		.amdhsa_system_sgpr_workgroup_id_z 0
		.amdhsa_system_sgpr_workgroup_info 0
		.amdhsa_system_vgpr_workitem_id 0
		.amdhsa_next_free_vgpr 10
		.amdhsa_next_free_sgpr 10
		.amdhsa_accum_offset 12
		.amdhsa_reserve_vcc 1
		.amdhsa_reserve_flat_scratch 0
		.amdhsa_float_round_mode_32 0
		.amdhsa_float_round_mode_16_64 0
		.amdhsa_float_denorm_mode_32 3
		.amdhsa_float_denorm_mode_16_64 3
		.amdhsa_dx10_clamp 1
		.amdhsa_ieee_mode 1
		.amdhsa_fp16_overflow 0
		.amdhsa_tg_split 0
		.amdhsa_exception_fp_ieee_invalid_op 0
		.amdhsa_exception_fp_denorm_src 0
		.amdhsa_exception_fp_ieee_div_zero 0
		.amdhsa_exception_fp_ieee_overflow 0
		.amdhsa_exception_fp_ieee_underflow 0
		.amdhsa_exception_fp_ieee_inexact 0
		.amdhsa_exception_int_div_zero 0
	.end_amdhsa_kernel
	.section	.text._Z37inclusive_scan_prefix_callback_kernelILj512ELN6hipcub18BlockScanAlgorithmE0EiEvPT1_S3_S2_,"axG",@progbits,_Z37inclusive_scan_prefix_callback_kernelILj512ELN6hipcub18BlockScanAlgorithmE0EiEvPT1_S3_S2_,comdat
.Lfunc_end68:
	.size	_Z37inclusive_scan_prefix_callback_kernelILj512ELN6hipcub18BlockScanAlgorithmE0EiEvPT1_S3_S2_, .Lfunc_end68-_Z37inclusive_scan_prefix_callback_kernelILj512ELN6hipcub18BlockScanAlgorithmE0EiEvPT1_S3_S2_
                                        ; -- End function
	.section	.AMDGPU.csdata,"",@progbits
; Kernel info:
; codeLenInByte = 580
; NumSgprs: 14
; NumVgprs: 10
; NumAgprs: 0
; TotalNumVgprs: 10
; ScratchSize: 0
; MemoryBound: 0
; FloatMode: 240
; IeeeMode: 1
; LDSByteSize: 32 bytes/workgroup (compile time only)
; SGPRBlocks: 1
; VGPRBlocks: 1
; NumSGPRsForWavesPerEU: 14
; NumVGPRsForWavesPerEU: 10
; AccumOffset: 12
; Occupancy: 8
; WaveLimiterHint : 0
; COMPUTE_PGM_RSRC2:SCRATCH_EN: 0
; COMPUTE_PGM_RSRC2:USER_SGPR: 6
; COMPUTE_PGM_RSRC2:TRAP_HANDLER: 0
; COMPUTE_PGM_RSRC2:TGID_X_EN: 1
; COMPUTE_PGM_RSRC2:TGID_Y_EN: 0
; COMPUTE_PGM_RSRC2:TGID_Z_EN: 0
; COMPUTE_PGM_RSRC2:TIDIG_COMP_CNT: 0
; COMPUTE_PGM_RSRC3_GFX90A:ACCUM_OFFSET: 2
; COMPUTE_PGM_RSRC3_GFX90A:TG_SPLIT: 0
	.section	.text._Z37inclusive_scan_prefix_callback_kernelILj256ELN6hipcub18BlockScanAlgorithmE0EiEvPT1_S3_S2_,"axG",@progbits,_Z37inclusive_scan_prefix_callback_kernelILj256ELN6hipcub18BlockScanAlgorithmE0EiEvPT1_S3_S2_,comdat
	.protected	_Z37inclusive_scan_prefix_callback_kernelILj256ELN6hipcub18BlockScanAlgorithmE0EiEvPT1_S3_S2_ ; -- Begin function _Z37inclusive_scan_prefix_callback_kernelILj256ELN6hipcub18BlockScanAlgorithmE0EiEvPT1_S3_S2_
	.globl	_Z37inclusive_scan_prefix_callback_kernelILj256ELN6hipcub18BlockScanAlgorithmE0EiEvPT1_S3_S2_
	.p2align	8
	.type	_Z37inclusive_scan_prefix_callback_kernelILj256ELN6hipcub18BlockScanAlgorithmE0EiEvPT1_S3_S2_,@function
_Z37inclusive_scan_prefix_callback_kernelILj256ELN6hipcub18BlockScanAlgorithmE0EiEvPT1_S3_S2_: ; @_Z37inclusive_scan_prefix_callback_kernelILj256ELN6hipcub18BlockScanAlgorithmE0EiEvPT1_S3_S2_
; %bb.0:
	s_load_dwordx4 s[0:3], s[4:5], 0x0
	v_lshl_or_b32 v2, s6, 8, v0
	v_mov_b32_e32 v3, 0
	v_lshlrev_b64 v[2:3], 2, v[2:3]
	v_mbcnt_lo_u32_b32 v5, -1, 0
	s_waitcnt lgkmcnt(0)
	v_mov_b32_e32 v1, s1
	v_add_co_u32_e32 v2, vcc, s0, v2
	v_addc_co_u32_e32 v3, vcc, v1, v3, vcc
	global_load_dword v4, v[2:3], off
	v_mbcnt_hi_u32_b32 v5, -1, v5
	v_and_b32_e32 v7, 15, v5
	v_cmp_ne_u32_e32 vcc, 0, v7
	v_bfe_i32 v8, v5, 4, 1
	v_or_b32_e32 v6, 63, v0
	v_lshrrev_b32_e32 v1, 6, v0
	s_waitcnt vmcnt(0)
	v_mov_b32_dpp v9, v4 row_shr:1 row_mask:0xf bank_mask:0xf
	v_cndmask_b32_e32 v9, 0, v9, vcc
	v_add_u32_e32 v4, v9, v4
	v_cmp_lt_u32_e32 vcc, 1, v7
	s_nop 0
	v_mov_b32_dpp v9, v4 row_shr:2 row_mask:0xf bank_mask:0xf
	v_cndmask_b32_e32 v9, 0, v9, vcc
	v_add_u32_e32 v4, v4, v9
	v_cmp_lt_u32_e32 vcc, 3, v7
	s_nop 0
	;; [unrolled: 5-line block ×4, first 2 shown]
	v_mov_b32_dpp v7, v4 row_bcast:15 row_mask:0xf bank_mask:0xf
	v_and_b32_e32 v7, v8, v7
	v_add_u32_e32 v4, v4, v7
	s_nop 1
	v_mov_b32_dpp v7, v4 row_bcast:31 row_mask:0xf bank_mask:0xf
	v_cndmask_b32_e32 v7, 0, v7, vcc
	v_add_u32_e32 v4, v4, v7
	v_cmp_eq_u32_e32 vcc, v6, v0
	s_and_saveexec_b64 s[0:1], vcc
	s_cbranch_execz .LBB69_2
; %bb.1:
	v_lshlrev_b32_e32 v6, 2, v1
	ds_write_b32 v6, v4
.LBB69_2:
	s_or_b64 exec, exec, s[0:1]
	v_cmp_gt_u32_e32 vcc, 4, v0
	s_waitcnt lgkmcnt(0)
	s_barrier
	s_and_saveexec_b64 s[0:1], vcc
	s_cbranch_execz .LBB69_4
; %bb.3:
	v_lshlrev_b32_e32 v6, 2, v0
	ds_read_b32 v7, v6
	v_and_b32_e32 v5, 3, v5
	v_cmp_ne_u32_e32 vcc, 0, v5
	s_waitcnt lgkmcnt(0)
	v_mov_b32_dpp v8, v7 row_shr:1 row_mask:0xf bank_mask:0xf
	v_cndmask_b32_e32 v8, 0, v8, vcc
	v_add_u32_e32 v7, v8, v7
	v_cmp_lt_u32_e32 vcc, 1, v5
	s_nop 0
	v_mov_b32_dpp v8, v7 row_shr:2 row_mask:0xf bank_mask:0xf
	v_cndmask_b32_e32 v5, 0, v8, vcc
	v_add_u32_e32 v5, v7, v5
	ds_write_b32 v6, v5
.LBB69_4:
	s_or_b64 exec, exec, s[0:1]
	v_cmp_gt_u32_e32 vcc, 64, v0
	v_cmp_lt_u32_e64 s[0:1], 63, v0
	s_waitcnt lgkmcnt(0)
	s_barrier
	s_and_saveexec_b64 s[8:9], s[0:1]
	s_cbranch_execz .LBB69_6
; %bb.5:
	v_lshl_add_u32 v1, v1, 2, -4
	ds_read_b32 v1, v1
	s_waitcnt lgkmcnt(0)
	v_add_u32_e32 v4, v1, v4
.LBB69_6:
	s_or_b64 exec, exec, s[8:9]
	s_load_dword s7, s[4:5], 0x10
	s_waitcnt lgkmcnt(0)
	v_mov_b32_e32 v1, s7
	s_and_saveexec_b64 s[0:1], vcc
	s_cbranch_execz .LBB69_10
; %bb.7:
	v_mov_b32_e32 v5, 0
	ds_read_b32 v1, v5 offset:12
	v_cmp_eq_u32_e32 vcc, 0, v0
	s_and_saveexec_b64 s[4:5], vcc
	s_cbranch_execz .LBB69_9
; %bb.8:
	v_mov_b32_e32 v6, s7
	ds_write_b32 v5, v6 offset:12
.LBB69_9:
	s_or_b64 exec, exec, s[4:5]
	s_waitcnt lgkmcnt(0)
	v_add_u32_e32 v1, s7, v1
.LBB69_10:
	s_or_b64 exec, exec, s[0:1]
	v_mov_b32_e32 v5, 0
	s_barrier
	ds_read_b32 v6, v5 offset:12
	s_mov_b32 s7, 0
	v_cmp_eq_u32_e32 vcc, 0, v0
	s_waitcnt lgkmcnt(0)
	v_add_u32_e32 v4, v6, v4
	global_store_dword v[2:3], v4, off
	s_and_saveexec_b64 s[0:1], vcc
	s_cbranch_execz .LBB69_12
; %bb.11:
	s_lshl_b64 s[0:1], s[6:7], 2
	s_add_u32 s0, s2, s0
	s_addc_u32 s1, s3, s1
	global_store_dword v5, v1, s[0:1]
.LBB69_12:
	s_endpgm
	.section	.rodata,"a",@progbits
	.p2align	6, 0x0
	.amdhsa_kernel _Z37inclusive_scan_prefix_callback_kernelILj256ELN6hipcub18BlockScanAlgorithmE0EiEvPT1_S3_S2_
		.amdhsa_group_segment_fixed_size 16
		.amdhsa_private_segment_fixed_size 0
		.amdhsa_kernarg_size 20
		.amdhsa_user_sgpr_count 6
		.amdhsa_user_sgpr_private_segment_buffer 1
		.amdhsa_user_sgpr_dispatch_ptr 0
		.amdhsa_user_sgpr_queue_ptr 0
		.amdhsa_user_sgpr_kernarg_segment_ptr 1
		.amdhsa_user_sgpr_dispatch_id 0
		.amdhsa_user_sgpr_flat_scratch_init 0
		.amdhsa_user_sgpr_kernarg_preload_length 0
		.amdhsa_user_sgpr_kernarg_preload_offset 0
		.amdhsa_user_sgpr_private_segment_size 0
		.amdhsa_uses_dynamic_stack 0
		.amdhsa_system_sgpr_private_segment_wavefront_offset 0
		.amdhsa_system_sgpr_workgroup_id_x 1
		.amdhsa_system_sgpr_workgroup_id_y 0
		.amdhsa_system_sgpr_workgroup_id_z 0
		.amdhsa_system_sgpr_workgroup_info 0
		.amdhsa_system_vgpr_workitem_id 0
		.amdhsa_next_free_vgpr 10
		.amdhsa_next_free_sgpr 10
		.amdhsa_accum_offset 12
		.amdhsa_reserve_vcc 1
		.amdhsa_reserve_flat_scratch 0
		.amdhsa_float_round_mode_32 0
		.amdhsa_float_round_mode_16_64 0
		.amdhsa_float_denorm_mode_32 3
		.amdhsa_float_denorm_mode_16_64 3
		.amdhsa_dx10_clamp 1
		.amdhsa_ieee_mode 1
		.amdhsa_fp16_overflow 0
		.amdhsa_tg_split 0
		.amdhsa_exception_fp_ieee_invalid_op 0
		.amdhsa_exception_fp_denorm_src 0
		.amdhsa_exception_fp_ieee_div_zero 0
		.amdhsa_exception_fp_ieee_overflow 0
		.amdhsa_exception_fp_ieee_underflow 0
		.amdhsa_exception_fp_ieee_inexact 0
		.amdhsa_exception_int_div_zero 0
	.end_amdhsa_kernel
	.section	.text._Z37inclusive_scan_prefix_callback_kernelILj256ELN6hipcub18BlockScanAlgorithmE0EiEvPT1_S3_S2_,"axG",@progbits,_Z37inclusive_scan_prefix_callback_kernelILj256ELN6hipcub18BlockScanAlgorithmE0EiEvPT1_S3_S2_,comdat
.Lfunc_end69:
	.size	_Z37inclusive_scan_prefix_callback_kernelILj256ELN6hipcub18BlockScanAlgorithmE0EiEvPT1_S3_S2_, .Lfunc_end69-_Z37inclusive_scan_prefix_callback_kernelILj256ELN6hipcub18BlockScanAlgorithmE0EiEvPT1_S3_S2_
                                        ; -- End function
	.section	.AMDGPU.csdata,"",@progbits
; Kernel info:
; codeLenInByte = 556
; NumSgprs: 14
; NumVgprs: 10
; NumAgprs: 0
; TotalNumVgprs: 10
; ScratchSize: 0
; MemoryBound: 0
; FloatMode: 240
; IeeeMode: 1
; LDSByteSize: 16 bytes/workgroup (compile time only)
; SGPRBlocks: 1
; VGPRBlocks: 1
; NumSGPRsForWavesPerEU: 14
; NumVGPRsForWavesPerEU: 10
; AccumOffset: 12
; Occupancy: 8
; WaveLimiterHint : 0
; COMPUTE_PGM_RSRC2:SCRATCH_EN: 0
; COMPUTE_PGM_RSRC2:USER_SGPR: 6
; COMPUTE_PGM_RSRC2:TRAP_HANDLER: 0
; COMPUTE_PGM_RSRC2:TGID_X_EN: 1
; COMPUTE_PGM_RSRC2:TGID_Y_EN: 0
; COMPUTE_PGM_RSRC2:TGID_Z_EN: 0
; COMPUTE_PGM_RSRC2:TIDIG_COMP_CNT: 0
; COMPUTE_PGM_RSRC3_GFX90A:ACCUM_OFFSET: 2
; COMPUTE_PGM_RSRC3_GFX90A:TG_SPLIT: 0
	.section	.text._Z37inclusive_scan_prefix_callback_kernelILj128ELN6hipcub18BlockScanAlgorithmE0EiEvPT1_S3_S2_,"axG",@progbits,_Z37inclusive_scan_prefix_callback_kernelILj128ELN6hipcub18BlockScanAlgorithmE0EiEvPT1_S3_S2_,comdat
	.protected	_Z37inclusive_scan_prefix_callback_kernelILj128ELN6hipcub18BlockScanAlgorithmE0EiEvPT1_S3_S2_ ; -- Begin function _Z37inclusive_scan_prefix_callback_kernelILj128ELN6hipcub18BlockScanAlgorithmE0EiEvPT1_S3_S2_
	.globl	_Z37inclusive_scan_prefix_callback_kernelILj128ELN6hipcub18BlockScanAlgorithmE0EiEvPT1_S3_S2_
	.p2align	8
	.type	_Z37inclusive_scan_prefix_callback_kernelILj128ELN6hipcub18BlockScanAlgorithmE0EiEvPT1_S3_S2_,@function
_Z37inclusive_scan_prefix_callback_kernelILj128ELN6hipcub18BlockScanAlgorithmE0EiEvPT1_S3_S2_: ; @_Z37inclusive_scan_prefix_callback_kernelILj128ELN6hipcub18BlockScanAlgorithmE0EiEvPT1_S3_S2_
; %bb.0:
	s_load_dwordx4 s[0:3], s[4:5], 0x0
	v_lshl_or_b32 v2, s6, 7, v0
	v_mov_b32_e32 v3, 0
	v_lshlrev_b64 v[2:3], 2, v[2:3]
	v_mbcnt_lo_u32_b32 v5, -1, 0
	s_waitcnt lgkmcnt(0)
	v_mov_b32_e32 v1, s1
	v_add_co_u32_e32 v2, vcc, s0, v2
	v_addc_co_u32_e32 v3, vcc, v1, v3, vcc
	global_load_dword v4, v[2:3], off
	v_mbcnt_hi_u32_b32 v5, -1, v5
	v_and_b32_e32 v7, 15, v5
	v_cmp_ne_u32_e32 vcc, 0, v7
	v_bfe_i32 v8, v5, 4, 1
	v_or_b32_e32 v6, 63, v0
	v_lshrrev_b32_e32 v1, 6, v0
	s_waitcnt vmcnt(0)
	v_mov_b32_dpp v9, v4 row_shr:1 row_mask:0xf bank_mask:0xf
	v_cndmask_b32_e32 v9, 0, v9, vcc
	v_add_u32_e32 v4, v9, v4
	v_cmp_lt_u32_e32 vcc, 1, v7
	s_nop 0
	v_mov_b32_dpp v9, v4 row_shr:2 row_mask:0xf bank_mask:0xf
	v_cndmask_b32_e32 v9, 0, v9, vcc
	v_add_u32_e32 v4, v4, v9
	v_cmp_lt_u32_e32 vcc, 3, v7
	s_nop 0
	;; [unrolled: 5-line block ×4, first 2 shown]
	v_mov_b32_dpp v7, v4 row_bcast:15 row_mask:0xf bank_mask:0xf
	v_and_b32_e32 v7, v8, v7
	v_add_u32_e32 v4, v4, v7
	s_nop 1
	v_mov_b32_dpp v7, v4 row_bcast:31 row_mask:0xf bank_mask:0xf
	v_cndmask_b32_e32 v7, 0, v7, vcc
	v_add_u32_e32 v4, v4, v7
	v_cmp_eq_u32_e32 vcc, v6, v0
	s_and_saveexec_b64 s[0:1], vcc
	s_cbranch_execz .LBB70_2
; %bb.1:
	v_lshlrev_b32_e32 v6, 2, v1
	ds_write_b32 v6, v4
.LBB70_2:
	s_or_b64 exec, exec, s[0:1]
	v_cmp_gt_u32_e32 vcc, 2, v0
	s_waitcnt lgkmcnt(0)
	s_barrier
	s_and_saveexec_b64 s[0:1], vcc
	s_cbranch_execz .LBB70_4
; %bb.3:
	v_lshlrev_b32_e32 v6, 2, v0
	ds_read_b32 v7, v6
	v_bfe_i32 v5, v5, 0, 1
	s_waitcnt lgkmcnt(0)
	v_mov_b32_dpp v8, v7 row_shr:1 row_mask:0xf bank_mask:0xf
	v_and_b32_e32 v5, v5, v8
	v_add_u32_e32 v5, v5, v7
	ds_write_b32 v6, v5
.LBB70_4:
	s_or_b64 exec, exec, s[0:1]
	v_cmp_gt_u32_e32 vcc, 64, v0
	v_cmp_lt_u32_e64 s[0:1], 63, v0
	s_waitcnt lgkmcnt(0)
	s_barrier
	s_and_saveexec_b64 s[8:9], s[0:1]
	s_cbranch_execz .LBB70_6
; %bb.5:
	v_lshl_add_u32 v1, v1, 2, -4
	ds_read_b32 v1, v1
	s_waitcnt lgkmcnt(0)
	v_add_u32_e32 v4, v1, v4
.LBB70_6:
	s_or_b64 exec, exec, s[8:9]
	s_load_dword s7, s[4:5], 0x10
	s_waitcnt lgkmcnt(0)
	v_mov_b32_e32 v1, s7
	s_and_saveexec_b64 s[0:1], vcc
	s_cbranch_execz .LBB70_10
; %bb.7:
	v_mov_b32_e32 v5, 0
	ds_read_b32 v1, v5 offset:4
	v_cmp_eq_u32_e32 vcc, 0, v0
	s_and_saveexec_b64 s[4:5], vcc
	s_cbranch_execz .LBB70_9
; %bb.8:
	v_mov_b32_e32 v6, s7
	ds_write_b32 v5, v6 offset:4
.LBB70_9:
	s_or_b64 exec, exec, s[4:5]
	s_waitcnt lgkmcnt(0)
	v_add_u32_e32 v1, s7, v1
.LBB70_10:
	s_or_b64 exec, exec, s[0:1]
	v_mov_b32_e32 v5, 0
	s_barrier
	ds_read_b32 v6, v5 offset:4
	s_mov_b32 s7, 0
	v_cmp_eq_u32_e32 vcc, 0, v0
	s_waitcnt lgkmcnt(0)
	v_add_u32_e32 v4, v6, v4
	global_store_dword v[2:3], v4, off
	s_and_saveexec_b64 s[0:1], vcc
	s_cbranch_execz .LBB70_12
; %bb.11:
	s_lshl_b64 s[0:1], s[6:7], 2
	s_add_u32 s0, s2, s0
	s_addc_u32 s1, s3, s1
	global_store_dword v5, v1, s[0:1]
.LBB70_12:
	s_endpgm
	.section	.rodata,"a",@progbits
	.p2align	6, 0x0
	.amdhsa_kernel _Z37inclusive_scan_prefix_callback_kernelILj128ELN6hipcub18BlockScanAlgorithmE0EiEvPT1_S3_S2_
		.amdhsa_group_segment_fixed_size 8
		.amdhsa_private_segment_fixed_size 0
		.amdhsa_kernarg_size 20
		.amdhsa_user_sgpr_count 6
		.amdhsa_user_sgpr_private_segment_buffer 1
		.amdhsa_user_sgpr_dispatch_ptr 0
		.amdhsa_user_sgpr_queue_ptr 0
		.amdhsa_user_sgpr_kernarg_segment_ptr 1
		.amdhsa_user_sgpr_dispatch_id 0
		.amdhsa_user_sgpr_flat_scratch_init 0
		.amdhsa_user_sgpr_kernarg_preload_length 0
		.amdhsa_user_sgpr_kernarg_preload_offset 0
		.amdhsa_user_sgpr_private_segment_size 0
		.amdhsa_uses_dynamic_stack 0
		.amdhsa_system_sgpr_private_segment_wavefront_offset 0
		.amdhsa_system_sgpr_workgroup_id_x 1
		.amdhsa_system_sgpr_workgroup_id_y 0
		.amdhsa_system_sgpr_workgroup_id_z 0
		.amdhsa_system_sgpr_workgroup_info 0
		.amdhsa_system_vgpr_workitem_id 0
		.amdhsa_next_free_vgpr 10
		.amdhsa_next_free_sgpr 10
		.amdhsa_accum_offset 12
		.amdhsa_reserve_vcc 1
		.amdhsa_reserve_flat_scratch 0
		.amdhsa_float_round_mode_32 0
		.amdhsa_float_round_mode_16_64 0
		.amdhsa_float_denorm_mode_32 3
		.amdhsa_float_denorm_mode_16_64 3
		.amdhsa_dx10_clamp 1
		.amdhsa_ieee_mode 1
		.amdhsa_fp16_overflow 0
		.amdhsa_tg_split 0
		.amdhsa_exception_fp_ieee_invalid_op 0
		.amdhsa_exception_fp_denorm_src 0
		.amdhsa_exception_fp_ieee_div_zero 0
		.amdhsa_exception_fp_ieee_overflow 0
		.amdhsa_exception_fp_ieee_underflow 0
		.amdhsa_exception_fp_ieee_inexact 0
		.amdhsa_exception_int_div_zero 0
	.end_amdhsa_kernel
	.section	.text._Z37inclusive_scan_prefix_callback_kernelILj128ELN6hipcub18BlockScanAlgorithmE0EiEvPT1_S3_S2_,"axG",@progbits,_Z37inclusive_scan_prefix_callback_kernelILj128ELN6hipcub18BlockScanAlgorithmE0EiEvPT1_S3_S2_,comdat
.Lfunc_end70:
	.size	_Z37inclusive_scan_prefix_callback_kernelILj128ELN6hipcub18BlockScanAlgorithmE0EiEvPT1_S3_S2_, .Lfunc_end70-_Z37inclusive_scan_prefix_callback_kernelILj128ELN6hipcub18BlockScanAlgorithmE0EiEvPT1_S3_S2_
                                        ; -- End function
	.section	.AMDGPU.csdata,"",@progbits
; Kernel info:
; codeLenInByte = 532
; NumSgprs: 14
; NumVgprs: 10
; NumAgprs: 0
; TotalNumVgprs: 10
; ScratchSize: 0
; MemoryBound: 0
; FloatMode: 240
; IeeeMode: 1
; LDSByteSize: 8 bytes/workgroup (compile time only)
; SGPRBlocks: 1
; VGPRBlocks: 1
; NumSGPRsForWavesPerEU: 14
; NumVGPRsForWavesPerEU: 10
; AccumOffset: 12
; Occupancy: 8
; WaveLimiterHint : 0
; COMPUTE_PGM_RSRC2:SCRATCH_EN: 0
; COMPUTE_PGM_RSRC2:USER_SGPR: 6
; COMPUTE_PGM_RSRC2:TRAP_HANDLER: 0
; COMPUTE_PGM_RSRC2:TGID_X_EN: 1
; COMPUTE_PGM_RSRC2:TGID_Y_EN: 0
; COMPUTE_PGM_RSRC2:TGID_Z_EN: 0
; COMPUTE_PGM_RSRC2:TIDIG_COMP_CNT: 0
; COMPUTE_PGM_RSRC3_GFX90A:ACCUM_OFFSET: 2
; COMPUTE_PGM_RSRC3_GFX90A:TG_SPLIT: 0
	.section	.text._Z37inclusive_scan_prefix_callback_kernelILj64ELN6hipcub18BlockScanAlgorithmE0EiEvPT1_S3_S2_,"axG",@progbits,_Z37inclusive_scan_prefix_callback_kernelILj64ELN6hipcub18BlockScanAlgorithmE0EiEvPT1_S3_S2_,comdat
	.protected	_Z37inclusive_scan_prefix_callback_kernelILj64ELN6hipcub18BlockScanAlgorithmE0EiEvPT1_S3_S2_ ; -- Begin function _Z37inclusive_scan_prefix_callback_kernelILj64ELN6hipcub18BlockScanAlgorithmE0EiEvPT1_S3_S2_
	.globl	_Z37inclusive_scan_prefix_callback_kernelILj64ELN6hipcub18BlockScanAlgorithmE0EiEvPT1_S3_S2_
	.p2align	8
	.type	_Z37inclusive_scan_prefix_callback_kernelILj64ELN6hipcub18BlockScanAlgorithmE0EiEvPT1_S3_S2_,@function
_Z37inclusive_scan_prefix_callback_kernelILj64ELN6hipcub18BlockScanAlgorithmE0EiEvPT1_S3_S2_: ; @_Z37inclusive_scan_prefix_callback_kernelILj64ELN6hipcub18BlockScanAlgorithmE0EiEvPT1_S3_S2_
; %bb.0:
	s_load_dwordx4 s[0:3], s[4:5], 0x0
	v_lshl_or_b32 v4, s6, 6, v0
	v_mov_b32_e32 v5, 0
	v_lshlrev_b64 v[2:3], 2, v[4:5]
	v_mbcnt_lo_u32_b32 v4, -1, 0
	s_waitcnt lgkmcnt(0)
	v_mov_b32_e32 v1, s1
	v_add_co_u32_e32 v2, vcc, s0, v2
	v_addc_co_u32_e32 v3, vcc, v1, v3, vcc
	global_load_dword v1, v[2:3], off
	v_mbcnt_hi_u32_b32 v4, -1, v4
	v_and_b32_e32 v6, 15, v4
	v_cmp_ne_u32_e32 vcc, 0, v6
	v_bfe_i32 v7, v4, 4, 1
	s_waitcnt vmcnt(0)
	v_mov_b32_dpp v8, v1 row_shr:1 row_mask:0xf bank_mask:0xf
	v_cndmask_b32_e32 v8, 0, v8, vcc
	v_add_u32_e32 v1, v8, v1
	v_cmp_lt_u32_e32 vcc, 1, v6
	s_nop 0
	v_mov_b32_dpp v8, v1 row_shr:2 row_mask:0xf bank_mask:0xf
	v_cndmask_b32_e32 v8, 0, v8, vcc
	v_add_u32_e32 v1, v1, v8
	v_cmp_lt_u32_e32 vcc, 3, v6
	s_nop 0
	;; [unrolled: 5-line block ×4, first 2 shown]
	v_mov_b32_dpp v6, v1 row_bcast:15 row_mask:0xf bank_mask:0xf
	v_and_b32_e32 v6, v7, v6
	v_add_u32_e32 v1, v1, v6
	s_nop 1
	v_mov_b32_dpp v6, v1 row_bcast:31 row_mask:0xf bank_mask:0xf
	v_cndmask_b32_e32 v4, 0, v6, vcc
	v_add_u32_e32 v1, v1, v4
	v_cmp_eq_u32_e32 vcc, 63, v0
	s_and_saveexec_b64 s[0:1], vcc
	s_cbranch_execz .LBB71_2
; %bb.1:
	ds_write_b32 v5, v1
.LBB71_2:
	s_or_b64 exec, exec, s[0:1]
	s_load_dword s7, s[4:5], 0x10
	v_cmp_gt_u32_e32 vcc, 64, v0
	s_waitcnt lgkmcnt(0)
	; wave barrier
	s_waitcnt lgkmcnt(0)
	v_mov_b32_e32 v4, s7
	s_and_saveexec_b64 s[0:1], vcc
	s_cbranch_execz .LBB71_6
; %bb.3:
	v_mov_b32_e32 v5, 0
	ds_read_b32 v4, v5
	v_cmp_eq_u32_e32 vcc, 0, v0
	s_and_saveexec_b64 s[4:5], vcc
	s_cbranch_execz .LBB71_5
; %bb.4:
	v_mov_b32_e32 v6, s7
	ds_write_b32 v5, v6
.LBB71_5:
	s_or_b64 exec, exec, s[4:5]
	s_waitcnt lgkmcnt(0)
	v_add_u32_e32 v4, s7, v4
.LBB71_6:
	s_or_b64 exec, exec, s[0:1]
	v_mov_b32_e32 v5, 0
	s_waitcnt lgkmcnt(0)
	; wave barrier
	ds_read_b32 v6, v5
	s_mov_b32 s7, 0
	v_cmp_eq_u32_e32 vcc, 0, v0
	s_waitcnt lgkmcnt(0)
	v_add_u32_e32 v1, v6, v1
	global_store_dword v[2:3], v1, off
	s_and_saveexec_b64 s[0:1], vcc
	s_cbranch_execz .LBB71_8
; %bb.7:
	s_lshl_b64 s[0:1], s[6:7], 2
	s_add_u32 s0, s2, s0
	s_addc_u32 s1, s3, s1
	global_store_dword v5, v4, s[0:1]
.LBB71_8:
	s_endpgm
	.section	.rodata,"a",@progbits
	.p2align	6, 0x0
	.amdhsa_kernel _Z37inclusive_scan_prefix_callback_kernelILj64ELN6hipcub18BlockScanAlgorithmE0EiEvPT1_S3_S2_
		.amdhsa_group_segment_fixed_size 4
		.amdhsa_private_segment_fixed_size 0
		.amdhsa_kernarg_size 20
		.amdhsa_user_sgpr_count 6
		.amdhsa_user_sgpr_private_segment_buffer 1
		.amdhsa_user_sgpr_dispatch_ptr 0
		.amdhsa_user_sgpr_queue_ptr 0
		.amdhsa_user_sgpr_kernarg_segment_ptr 1
		.amdhsa_user_sgpr_dispatch_id 0
		.amdhsa_user_sgpr_flat_scratch_init 0
		.amdhsa_user_sgpr_kernarg_preload_length 0
		.amdhsa_user_sgpr_kernarg_preload_offset 0
		.amdhsa_user_sgpr_private_segment_size 0
		.amdhsa_uses_dynamic_stack 0
		.amdhsa_system_sgpr_private_segment_wavefront_offset 0
		.amdhsa_system_sgpr_workgroup_id_x 1
		.amdhsa_system_sgpr_workgroup_id_y 0
		.amdhsa_system_sgpr_workgroup_id_z 0
		.amdhsa_system_sgpr_workgroup_info 0
		.amdhsa_system_vgpr_workitem_id 0
		.amdhsa_next_free_vgpr 9
		.amdhsa_next_free_sgpr 8
		.amdhsa_accum_offset 12
		.amdhsa_reserve_vcc 1
		.amdhsa_reserve_flat_scratch 0
		.amdhsa_float_round_mode_32 0
		.amdhsa_float_round_mode_16_64 0
		.amdhsa_float_denorm_mode_32 3
		.amdhsa_float_denorm_mode_16_64 3
		.amdhsa_dx10_clamp 1
		.amdhsa_ieee_mode 1
		.amdhsa_fp16_overflow 0
		.amdhsa_tg_split 0
		.amdhsa_exception_fp_ieee_invalid_op 0
		.amdhsa_exception_fp_denorm_src 0
		.amdhsa_exception_fp_ieee_div_zero 0
		.amdhsa_exception_fp_ieee_overflow 0
		.amdhsa_exception_fp_ieee_underflow 0
		.amdhsa_exception_fp_ieee_inexact 0
		.amdhsa_exception_int_div_zero 0
	.end_amdhsa_kernel
	.section	.text._Z37inclusive_scan_prefix_callback_kernelILj64ELN6hipcub18BlockScanAlgorithmE0EiEvPT1_S3_S2_,"axG",@progbits,_Z37inclusive_scan_prefix_callback_kernelILj64ELN6hipcub18BlockScanAlgorithmE0EiEvPT1_S3_S2_,comdat
.Lfunc_end71:
	.size	_Z37inclusive_scan_prefix_callback_kernelILj64ELN6hipcub18BlockScanAlgorithmE0EiEvPT1_S3_S2_, .Lfunc_end71-_Z37inclusive_scan_prefix_callback_kernelILj64ELN6hipcub18BlockScanAlgorithmE0EiEvPT1_S3_S2_
                                        ; -- End function
	.section	.AMDGPU.csdata,"",@progbits
; Kernel info:
; codeLenInByte = 400
; NumSgprs: 12
; NumVgprs: 9
; NumAgprs: 0
; TotalNumVgprs: 9
; ScratchSize: 0
; MemoryBound: 0
; FloatMode: 240
; IeeeMode: 1
; LDSByteSize: 4 bytes/workgroup (compile time only)
; SGPRBlocks: 1
; VGPRBlocks: 1
; NumSGPRsForWavesPerEU: 12
; NumVGPRsForWavesPerEU: 9
; AccumOffset: 12
; Occupancy: 8
; WaveLimiterHint : 0
; COMPUTE_PGM_RSRC2:SCRATCH_EN: 0
; COMPUTE_PGM_RSRC2:USER_SGPR: 6
; COMPUTE_PGM_RSRC2:TRAP_HANDLER: 0
; COMPUTE_PGM_RSRC2:TGID_X_EN: 1
; COMPUTE_PGM_RSRC2:TGID_Y_EN: 0
; COMPUTE_PGM_RSRC2:TGID_Z_EN: 0
; COMPUTE_PGM_RSRC2:TIDIG_COMP_CNT: 0
; COMPUTE_PGM_RSRC3_GFX90A:ACCUM_OFFSET: 2
; COMPUTE_PGM_RSRC3_GFX90A:TG_SPLIT: 0
	.section	.text._Z21exclusive_scan_kernelILj377ELN6hipcub18BlockScanAlgorithmE1EhEvPT1_S2_,"axG",@progbits,_Z21exclusive_scan_kernelILj377ELN6hipcub18BlockScanAlgorithmE1EhEvPT1_S2_,comdat
	.protected	_Z21exclusive_scan_kernelILj377ELN6hipcub18BlockScanAlgorithmE1EhEvPT1_S2_ ; -- Begin function _Z21exclusive_scan_kernelILj377ELN6hipcub18BlockScanAlgorithmE1EhEvPT1_S2_
	.globl	_Z21exclusive_scan_kernelILj377ELN6hipcub18BlockScanAlgorithmE1EhEvPT1_S2_
	.p2align	8
	.type	_Z21exclusive_scan_kernelILj377ELN6hipcub18BlockScanAlgorithmE1EhEvPT1_S2_,@function
_Z21exclusive_scan_kernelILj377ELN6hipcub18BlockScanAlgorithmE1EhEvPT1_S2_: ; @_Z21exclusive_scan_kernelILj377ELN6hipcub18BlockScanAlgorithmE1EhEvPT1_S2_
; %bb.0:
	s_load_dwordx2 s[0:1], s[4:5], 0x0
	s_mulk_i32 s6, 0x179
	v_add_u32_e32 v2, s6, v0
	s_waitcnt lgkmcnt(0)
	global_load_ubyte v1, v2, s[0:1]
	v_mov_b32_e32 v3, s1
	v_add_co_u32_e32 v2, vcc, s0, v2
	v_addc_co_u32_e32 v3, vcc, 0, v3, vcc
	v_cmp_gt_u32_e32 vcc, 64, v0
	s_waitcnt vmcnt(0)
	ds_write_b8 v0, v1
	s_waitcnt lgkmcnt(0)
	s_barrier
	s_and_saveexec_b64 s[0:1], vcc
	s_cbranch_execz .LBB72_2
; %bb.1:
	v_mul_u32_u24_e32 v4, 6, v0
	ds_read_u8 v5, v4
	ds_read_u8 v6, v4 offset:1
	ds_read_u8 v7, v4 offset:2
	;; [unrolled: 1-line block ×5, first 2 shown]
	s_waitcnt lgkmcnt(4)
	v_add_u16_e32 v11, v6, v5
	s_waitcnt lgkmcnt(3)
	v_add_u16_e32 v11, v11, v7
	;; [unrolled: 2-line block ×4, first 2 shown]
	v_mbcnt_lo_u32_b32 v12, -1, 0
	s_waitcnt lgkmcnt(0)
	v_add_u16_e32 v11, v11, v10
	v_mbcnt_hi_u32_b32 v12, -1, v12
	v_and_b32_e32 v13, 15, v12
	v_and_b32_e32 v14, 0xff, v11
	v_cmp_ne_u32_e32 vcc, 0, v13
	s_nop 0
	v_mov_b32_dpp v14, v14 row_shr:1 row_mask:0xf bank_mask:0xf
	v_cndmask_b32_e32 v14, 0, v14, vcc
	v_add_u16_e32 v11, v14, v11
	v_and_b32_e32 v14, 0xff, v11
	v_cmp_lt_u32_e32 vcc, 1, v13
	s_nop 0
	v_mov_b32_dpp v14, v14 row_shr:2 row_mask:0xf bank_mask:0xf
	v_cndmask_b32_e32 v14, 0, v14, vcc
	v_add_u16_e32 v11, v11, v14
	v_and_b32_e32 v14, 0xff, v11
	v_cmp_lt_u32_e32 vcc, 3, v13
	;; [unrolled: 6-line block ×3, first 2 shown]
	s_nop 0
	v_mov_b32_dpp v14, v14 row_shr:8 row_mask:0xf bank_mask:0xf
	v_cndmask_b32_e32 v13, 0, v14, vcc
	v_add_u16_e32 v11, v11, v13
	v_and_b32_e32 v13, 0xff, v11
	v_and_b32_e32 v14, 16, v12
	v_cmp_ne_u32_e32 vcc, 0, v14
	v_mov_b32_dpp v13, v13 row_bcast:15 row_mask:0xf bank_mask:0xf
	v_cndmask_b32_e32 v13, 0, v13, vcc
	v_add_u16_e32 v11, v11, v13
	v_and_b32_e32 v13, 0xff, v11
	v_cmp_lt_u32_e32 vcc, 31, v12
	v_and_b32_e32 v14, 64, v12
	v_mov_b32_dpp v13, v13 row_bcast:31 row_mask:0xf bank_mask:0xf
	v_cndmask_b32_e32 v13, 0, v13, vcc
	v_add_u16_e32 v11, v11, v13
	v_add_u32_e32 v13, -1, v12
	v_cmp_lt_i32_e32 vcc, v13, v14
	v_cndmask_b32_e32 v12, v13, v12, vcc
	v_and_b32_e32 v11, 0xff, v11
	v_lshlrev_b32_e32 v12, 2, v12
	ds_bpermute_b32 v11, v12, v11
	v_cmp_eq_u32_e32 vcc, 0, v0
	s_waitcnt lgkmcnt(0)
	v_add_u16_e32 v5, v5, v11
	v_cndmask_b32_e32 v1, v5, v1, vcc
	ds_write_b8 v4, v1
	v_add_u16_e32 v1, v1, v6
	ds_write_b8 v4, v1 offset:1
	v_add_u16_e32 v1, v1, v7
	ds_write_b8 v4, v1 offset:2
	;; [unrolled: 2-line block ×5, first 2 shown]
.LBB72_2:
	s_or_b64 exec, exec, s[0:1]
	s_load_dword s2, s[4:5], 0x8
	v_cmp_ne_u32_e32 vcc, 0, v0
	s_waitcnt lgkmcnt(0)
	s_barrier
	v_mov_b32_e32 v1, s2
	s_and_saveexec_b64 s[0:1], vcc
	s_cbranch_execz .LBB72_4
; %bb.3:
	v_add_u32_e32 v0, -1, v0
	ds_read_u8 v0, v0
	s_waitcnt lgkmcnt(0)
	v_add_u16_e32 v1, s2, v0
.LBB72_4:
	s_or_b64 exec, exec, s[0:1]
	global_store_byte v[2:3], v1, off
	s_endpgm
	.section	.rodata,"a",@progbits
	.p2align	6, 0x0
	.amdhsa_kernel _Z21exclusive_scan_kernelILj377ELN6hipcub18BlockScanAlgorithmE1EhEvPT1_S2_
		.amdhsa_group_segment_fixed_size 384
		.amdhsa_private_segment_fixed_size 0
		.amdhsa_kernarg_size 12
		.amdhsa_user_sgpr_count 6
		.amdhsa_user_sgpr_private_segment_buffer 1
		.amdhsa_user_sgpr_dispatch_ptr 0
		.amdhsa_user_sgpr_queue_ptr 0
		.amdhsa_user_sgpr_kernarg_segment_ptr 1
		.amdhsa_user_sgpr_dispatch_id 0
		.amdhsa_user_sgpr_flat_scratch_init 0
		.amdhsa_user_sgpr_kernarg_preload_length 0
		.amdhsa_user_sgpr_kernarg_preload_offset 0
		.amdhsa_user_sgpr_private_segment_size 0
		.amdhsa_uses_dynamic_stack 0
		.amdhsa_system_sgpr_private_segment_wavefront_offset 0
		.amdhsa_system_sgpr_workgroup_id_x 1
		.amdhsa_system_sgpr_workgroup_id_y 0
		.amdhsa_system_sgpr_workgroup_id_z 0
		.amdhsa_system_sgpr_workgroup_info 0
		.amdhsa_system_vgpr_workitem_id 0
		.amdhsa_next_free_vgpr 15
		.amdhsa_next_free_sgpr 7
		.amdhsa_accum_offset 16
		.amdhsa_reserve_vcc 1
		.amdhsa_reserve_flat_scratch 0
		.amdhsa_float_round_mode_32 0
		.amdhsa_float_round_mode_16_64 0
		.amdhsa_float_denorm_mode_32 3
		.amdhsa_float_denorm_mode_16_64 3
		.amdhsa_dx10_clamp 1
		.amdhsa_ieee_mode 1
		.amdhsa_fp16_overflow 0
		.amdhsa_tg_split 0
		.amdhsa_exception_fp_ieee_invalid_op 0
		.amdhsa_exception_fp_denorm_src 0
		.amdhsa_exception_fp_ieee_div_zero 0
		.amdhsa_exception_fp_ieee_overflow 0
		.amdhsa_exception_fp_ieee_underflow 0
		.amdhsa_exception_fp_ieee_inexact 0
		.amdhsa_exception_int_div_zero 0
	.end_amdhsa_kernel
	.section	.text._Z21exclusive_scan_kernelILj377ELN6hipcub18BlockScanAlgorithmE1EhEvPT1_S2_,"axG",@progbits,_Z21exclusive_scan_kernelILj377ELN6hipcub18BlockScanAlgorithmE1EhEvPT1_S2_,comdat
.Lfunc_end72:
	.size	_Z21exclusive_scan_kernelILj377ELN6hipcub18BlockScanAlgorithmE1EhEvPT1_S2_, .Lfunc_end72-_Z21exclusive_scan_kernelILj377ELN6hipcub18BlockScanAlgorithmE1EhEvPT1_S2_
                                        ; -- End function
	.section	.AMDGPU.csdata,"",@progbits
; Kernel info:
; codeLenInByte = 564
; NumSgprs: 11
; NumVgprs: 15
; NumAgprs: 0
; TotalNumVgprs: 15
; ScratchSize: 0
; MemoryBound: 0
; FloatMode: 240
; IeeeMode: 1
; LDSByteSize: 384 bytes/workgroup (compile time only)
; SGPRBlocks: 1
; VGPRBlocks: 1
; NumSGPRsForWavesPerEU: 11
; NumVGPRsForWavesPerEU: 15
; AccumOffset: 16
; Occupancy: 8
; WaveLimiterHint : 0
; COMPUTE_PGM_RSRC2:SCRATCH_EN: 0
; COMPUTE_PGM_RSRC2:USER_SGPR: 6
; COMPUTE_PGM_RSRC2:TRAP_HANDLER: 0
; COMPUTE_PGM_RSRC2:TGID_X_EN: 1
; COMPUTE_PGM_RSRC2:TGID_Y_EN: 0
; COMPUTE_PGM_RSRC2:TGID_Z_EN: 0
; COMPUTE_PGM_RSRC2:TIDIG_COMP_CNT: 0
; COMPUTE_PGM_RSRC3_GFX90A:ACCUM_OFFSET: 3
; COMPUTE_PGM_RSRC3_GFX90A:TG_SPLIT: 0
	.section	.text._Z21exclusive_scan_kernelILj377ELN6hipcub18BlockScanAlgorithmE1EiEvPT1_S2_,"axG",@progbits,_Z21exclusive_scan_kernelILj377ELN6hipcub18BlockScanAlgorithmE1EiEvPT1_S2_,comdat
	.protected	_Z21exclusive_scan_kernelILj377ELN6hipcub18BlockScanAlgorithmE1EiEvPT1_S2_ ; -- Begin function _Z21exclusive_scan_kernelILj377ELN6hipcub18BlockScanAlgorithmE1EiEvPT1_S2_
	.globl	_Z21exclusive_scan_kernelILj377ELN6hipcub18BlockScanAlgorithmE1EiEvPT1_S2_
	.p2align	8
	.type	_Z21exclusive_scan_kernelILj377ELN6hipcub18BlockScanAlgorithmE1EiEvPT1_S2_,@function
_Z21exclusive_scan_kernelILj377ELN6hipcub18BlockScanAlgorithmE1EiEvPT1_S2_: ; @_Z21exclusive_scan_kernelILj377ELN6hipcub18BlockScanAlgorithmE1EiEvPT1_S2_
; %bb.0:
	s_load_dwordx2 s[0:1], s[4:5], 0x0
	s_mulk_i32 s6, 0x179
	v_add_u32_e32 v2, s6, v0
	v_mov_b32_e32 v3, 0
	v_lshlrev_b64 v[2:3], 2, v[2:3]
	s_waitcnt lgkmcnt(0)
	v_mov_b32_e32 v1, s1
	v_add_co_u32_e32 v2, vcc, s0, v2
	v_addc_co_u32_e32 v3, vcc, v1, v3, vcc
	global_load_dword v4, v[2:3], off
	v_lshlrev_b32_e32 v1, 2, v0
	v_cmp_gt_u32_e32 vcc, 64, v0
	s_waitcnt vmcnt(0)
	ds_write_b32 v1, v4
	s_waitcnt lgkmcnt(0)
	s_barrier
	s_and_saveexec_b64 s[0:1], vcc
	s_cbranch_execz .LBB73_2
; %bb.1:
	v_mul_u32_u24_e32 v5, 6, v0
	v_lshlrev_b32_e32 v5, 2, v5
	ds_read2_b32 v[6:7], v5 offset1:1
	ds_read2_b32 v[8:9], v5 offset0:2 offset1:3
	ds_read2_b32 v[10:11], v5 offset0:4 offset1:5
	v_mbcnt_lo_u32_b32 v12, -1, 0
	v_mbcnt_hi_u32_b32 v12, -1, v12
	s_waitcnt lgkmcnt(2)
	v_add_u32_e32 v13, v7, v6
	s_waitcnt lgkmcnt(1)
	v_add3_u32 v13, v13, v8, v9
	s_waitcnt lgkmcnt(0)
	v_add3_u32 v13, v13, v10, v11
	v_and_b32_e32 v14, 15, v12
	v_cmp_ne_u32_e32 vcc, 0, v14
	v_mov_b32_dpp v15, v13 row_shr:1 row_mask:0xf bank_mask:0xf
	v_cndmask_b32_e32 v15, 0, v15, vcc
	v_add_u32_e32 v13, v15, v13
	v_cmp_lt_u32_e32 vcc, 1, v14
	s_nop 0
	v_mov_b32_dpp v15, v13 row_shr:2 row_mask:0xf bank_mask:0xf
	v_cndmask_b32_e32 v15, 0, v15, vcc
	v_add_u32_e32 v13, v13, v15
	v_cmp_lt_u32_e32 vcc, 3, v14
	s_nop 0
	;; [unrolled: 5-line block ×3, first 2 shown]
	v_mov_b32_dpp v15, v13 row_shr:8 row_mask:0xf bank_mask:0xf
	v_cndmask_b32_e32 v14, 0, v15, vcc
	v_add_u32_e32 v13, v13, v14
	v_bfe_i32 v15, v12, 4, 1
	v_cmp_lt_u32_e32 vcc, 31, v12
	v_mov_b32_dpp v14, v13 row_bcast:15 row_mask:0xf bank_mask:0xf
	v_and_b32_e32 v14, v15, v14
	v_add_u32_e32 v13, v13, v14
	v_and_b32_e32 v15, 64, v12
	s_nop 0
	v_mov_b32_dpp v14, v13 row_bcast:31 row_mask:0xf bank_mask:0xf
	v_cndmask_b32_e32 v14, 0, v14, vcc
	v_add_u32_e32 v13, v13, v14
	v_add_u32_e32 v14, -1, v12
	v_cmp_lt_i32_e32 vcc, v14, v15
	v_cndmask_b32_e32 v12, v14, v12, vcc
	v_lshlrev_b32_e32 v12, 2, v12
	ds_bpermute_b32 v12, v12, v13
	v_cmp_eq_u32_e32 vcc, 0, v0
	s_waitcnt lgkmcnt(0)
	v_add_u32_e32 v6, v12, v6
	v_cndmask_b32_e32 v4, v6, v4, vcc
	v_add_u32_e32 v6, v4, v7
	ds_write2_b32 v5, v4, v6 offset1:1
	v_add_u32_e32 v4, v6, v8
	v_add_u32_e32 v6, v4, v9
	ds_write2_b32 v5, v4, v6 offset0:2 offset1:3
	v_add_u32_e32 v4, v6, v10
	v_add_u32_e32 v6, v4, v11
	ds_write2_b32 v5, v4, v6 offset0:4 offset1:5
.LBB73_2:
	s_or_b64 exec, exec, s[0:1]
	s_load_dword s2, s[4:5], 0x8
	v_cmp_ne_u32_e32 vcc, 0, v0
	s_waitcnt lgkmcnt(0)
	s_barrier
	v_mov_b32_e32 v0, s2
	s_and_saveexec_b64 s[0:1], vcc
	s_cbranch_execz .LBB73_4
; %bb.3:
	v_add_u32_e32 v0, -4, v1
	ds_read_b32 v0, v0
	s_waitcnt lgkmcnt(0)
	v_add_u32_e32 v0, s2, v0
.LBB73_4:
	s_or_b64 exec, exec, s[0:1]
	global_store_dword v[2:3], v0, off
	s_endpgm
	.section	.rodata,"a",@progbits
	.p2align	6, 0x0
	.amdhsa_kernel _Z21exclusive_scan_kernelILj377ELN6hipcub18BlockScanAlgorithmE1EiEvPT1_S2_
		.amdhsa_group_segment_fixed_size 1536
		.amdhsa_private_segment_fixed_size 0
		.amdhsa_kernarg_size 12
		.amdhsa_user_sgpr_count 6
		.amdhsa_user_sgpr_private_segment_buffer 1
		.amdhsa_user_sgpr_dispatch_ptr 0
		.amdhsa_user_sgpr_queue_ptr 0
		.amdhsa_user_sgpr_kernarg_segment_ptr 1
		.amdhsa_user_sgpr_dispatch_id 0
		.amdhsa_user_sgpr_flat_scratch_init 0
		.amdhsa_user_sgpr_kernarg_preload_length 0
		.amdhsa_user_sgpr_kernarg_preload_offset 0
		.amdhsa_user_sgpr_private_segment_size 0
		.amdhsa_uses_dynamic_stack 0
		.amdhsa_system_sgpr_private_segment_wavefront_offset 0
		.amdhsa_system_sgpr_workgroup_id_x 1
		.amdhsa_system_sgpr_workgroup_id_y 0
		.amdhsa_system_sgpr_workgroup_id_z 0
		.amdhsa_system_sgpr_workgroup_info 0
		.amdhsa_system_vgpr_workitem_id 0
		.amdhsa_next_free_vgpr 16
		.amdhsa_next_free_sgpr 7
		.amdhsa_accum_offset 16
		.amdhsa_reserve_vcc 1
		.amdhsa_reserve_flat_scratch 0
		.amdhsa_float_round_mode_32 0
		.amdhsa_float_round_mode_16_64 0
		.amdhsa_float_denorm_mode_32 3
		.amdhsa_float_denorm_mode_16_64 3
		.amdhsa_dx10_clamp 1
		.amdhsa_ieee_mode 1
		.amdhsa_fp16_overflow 0
		.amdhsa_tg_split 0
		.amdhsa_exception_fp_ieee_invalid_op 0
		.amdhsa_exception_fp_denorm_src 0
		.amdhsa_exception_fp_ieee_div_zero 0
		.amdhsa_exception_fp_ieee_overflow 0
		.amdhsa_exception_fp_ieee_underflow 0
		.amdhsa_exception_fp_ieee_inexact 0
		.amdhsa_exception_int_div_zero 0
	.end_amdhsa_kernel
	.section	.text._Z21exclusive_scan_kernelILj377ELN6hipcub18BlockScanAlgorithmE1EiEvPT1_S2_,"axG",@progbits,_Z21exclusive_scan_kernelILj377ELN6hipcub18BlockScanAlgorithmE1EiEvPT1_S2_,comdat
.Lfunc_end73:
	.size	_Z21exclusive_scan_kernelILj377ELN6hipcub18BlockScanAlgorithmE1EiEvPT1_S2_, .Lfunc_end73-_Z21exclusive_scan_kernelILj377ELN6hipcub18BlockScanAlgorithmE1EiEvPT1_S2_
                                        ; -- End function
	.section	.AMDGPU.csdata,"",@progbits
; Kernel info:
; codeLenInByte = 472
; NumSgprs: 11
; NumVgprs: 16
; NumAgprs: 0
; TotalNumVgprs: 16
; ScratchSize: 0
; MemoryBound: 0
; FloatMode: 240
; IeeeMode: 1
; LDSByteSize: 1536 bytes/workgroup (compile time only)
; SGPRBlocks: 1
; VGPRBlocks: 1
; NumSGPRsForWavesPerEU: 11
; NumVGPRsForWavesPerEU: 16
; AccumOffset: 16
; Occupancy: 8
; WaveLimiterHint : 0
; COMPUTE_PGM_RSRC2:SCRATCH_EN: 0
; COMPUTE_PGM_RSRC2:USER_SGPR: 6
; COMPUTE_PGM_RSRC2:TRAP_HANDLER: 0
; COMPUTE_PGM_RSRC2:TGID_X_EN: 1
; COMPUTE_PGM_RSRC2:TGID_Y_EN: 0
; COMPUTE_PGM_RSRC2:TGID_Z_EN: 0
; COMPUTE_PGM_RSRC2:TIDIG_COMP_CNT: 0
; COMPUTE_PGM_RSRC3_GFX90A:ACCUM_OFFSET: 3
; COMPUTE_PGM_RSRC3_GFX90A:TG_SPLIT: 0
	.section	.text._Z21exclusive_scan_kernelILj255ELN6hipcub18BlockScanAlgorithmE1EjEvPT1_S2_,"axG",@progbits,_Z21exclusive_scan_kernelILj255ELN6hipcub18BlockScanAlgorithmE1EjEvPT1_S2_,comdat
	.protected	_Z21exclusive_scan_kernelILj255ELN6hipcub18BlockScanAlgorithmE1EjEvPT1_S2_ ; -- Begin function _Z21exclusive_scan_kernelILj255ELN6hipcub18BlockScanAlgorithmE1EjEvPT1_S2_
	.globl	_Z21exclusive_scan_kernelILj255ELN6hipcub18BlockScanAlgorithmE1EjEvPT1_S2_
	.p2align	8
	.type	_Z21exclusive_scan_kernelILj255ELN6hipcub18BlockScanAlgorithmE1EjEvPT1_S2_,@function
_Z21exclusive_scan_kernelILj255ELN6hipcub18BlockScanAlgorithmE1EjEvPT1_S2_: ; @_Z21exclusive_scan_kernelILj255ELN6hipcub18BlockScanAlgorithmE1EjEvPT1_S2_
; %bb.0:
	s_load_dwordx2 s[0:1], s[4:5], 0x0
	s_mulk_i32 s6, 0xff
	v_add_u32_e32 v2, s6, v0
	v_mov_b32_e32 v3, 0
	v_lshlrev_b64 v[2:3], 2, v[2:3]
	s_waitcnt lgkmcnt(0)
	v_mov_b32_e32 v1, s1
	v_add_co_u32_e32 v2, vcc, s0, v2
	v_addc_co_u32_e32 v3, vcc, v1, v3, vcc
	global_load_dword v1, v[2:3], off
	v_lshrrev_b32_e32 v4, 5, v0
	v_add_lshl_u32 v4, v4, v0, 2
	v_cmp_gt_u32_e32 vcc, 64, v0
	s_waitcnt vmcnt(0)
	ds_write_b32 v4, v1
	s_waitcnt lgkmcnt(0)
	s_barrier
	s_and_saveexec_b64 s[0:1], vcc
	s_cbranch_execz .LBB74_2
; %bb.1:
	v_lshlrev_b32_e32 v4, 2, v0
	v_lshrrev_b32_e32 v5, 3, v0
	v_add_lshl_u32 v8, v5, v4, 2
	ds_read2_b32 v[4:5], v8 offset1:1
	ds_read2_b32 v[6:7], v8 offset0:2 offset1:3
	v_mbcnt_lo_u32_b32 v9, -1, 0
	v_mbcnt_hi_u32_b32 v9, -1, v9
	v_and_b32_e32 v11, 15, v9
	s_waitcnt lgkmcnt(1)
	v_add_u32_e32 v10, v5, v4
	s_waitcnt lgkmcnt(0)
	v_add3_u32 v10, v10, v6, v7
	v_cmp_ne_u32_e32 vcc, 0, v11
	s_nop 0
	v_mov_b32_dpp v12, v10 row_shr:1 row_mask:0xf bank_mask:0xf
	v_cndmask_b32_e32 v12, 0, v12, vcc
	v_add_u32_e32 v10, v12, v10
	v_cmp_lt_u32_e32 vcc, 1, v11
	s_nop 0
	v_mov_b32_dpp v12, v10 row_shr:2 row_mask:0xf bank_mask:0xf
	v_cndmask_b32_e32 v12, 0, v12, vcc
	v_add_u32_e32 v10, v10, v12
	v_cmp_lt_u32_e32 vcc, 3, v11
	;; [unrolled: 5-line block ×3, first 2 shown]
	s_nop 0
	v_mov_b32_dpp v12, v10 row_shr:8 row_mask:0xf bank_mask:0xf
	v_cndmask_b32_e32 v11, 0, v12, vcc
	v_add_u32_e32 v10, v10, v11
	v_bfe_i32 v12, v9, 4, 1
	v_cmp_lt_u32_e32 vcc, 31, v9
	v_mov_b32_dpp v11, v10 row_bcast:15 row_mask:0xf bank_mask:0xf
	v_and_b32_e32 v11, v12, v11
	v_add_u32_e32 v10, v10, v11
	v_and_b32_e32 v12, 64, v9
	s_nop 0
	v_mov_b32_dpp v11, v10 row_bcast:31 row_mask:0xf bank_mask:0xf
	v_cndmask_b32_e32 v11, 0, v11, vcc
	v_add_u32_e32 v10, v10, v11
	v_add_u32_e32 v11, -1, v9
	v_cmp_lt_i32_e32 vcc, v11, v12
	v_cndmask_b32_e32 v9, v11, v9, vcc
	v_lshlrev_b32_e32 v9, 2, v9
	ds_bpermute_b32 v9, v9, v10
	v_cmp_eq_u32_e32 vcc, 0, v0
	s_waitcnt lgkmcnt(0)
	v_add_u32_e32 v4, v9, v4
	v_cndmask_b32_e32 v1, v4, v1, vcc
	v_add_u32_e32 v4, v1, v5
	ds_write2_b32 v8, v1, v4 offset1:1
	v_add_u32_e32 v1, v4, v6
	v_add_u32_e32 v4, v1, v7
	ds_write2_b32 v8, v1, v4 offset0:2 offset1:3
.LBB74_2:
	s_or_b64 exec, exec, s[0:1]
	s_load_dword s2, s[4:5], 0x8
	v_cmp_ne_u32_e32 vcc, 0, v0
	s_waitcnt lgkmcnt(0)
	s_barrier
	v_mov_b32_e32 v1, s2
	s_and_saveexec_b64 s[0:1], vcc
	s_cbranch_execz .LBB74_4
; %bb.3:
	v_add_u32_e32 v0, -1, v0
	v_lshrrev_b32_e32 v1, 5, v0
	v_add_lshl_u32 v0, v1, v0, 2
	ds_read_b32 v0, v0
	s_waitcnt lgkmcnt(0)
	v_add_u32_e32 v1, s2, v0
.LBB74_4:
	s_or_b64 exec, exec, s[0:1]
	global_store_dword v[2:3], v1, off
	s_endpgm
	.section	.rodata,"a",@progbits
	.p2align	6, 0x0
	.amdhsa_kernel _Z21exclusive_scan_kernelILj255ELN6hipcub18BlockScanAlgorithmE1EjEvPT1_S2_
		.amdhsa_group_segment_fixed_size 1056
		.amdhsa_private_segment_fixed_size 0
		.amdhsa_kernarg_size 12
		.amdhsa_user_sgpr_count 6
		.amdhsa_user_sgpr_private_segment_buffer 1
		.amdhsa_user_sgpr_dispatch_ptr 0
		.amdhsa_user_sgpr_queue_ptr 0
		.amdhsa_user_sgpr_kernarg_segment_ptr 1
		.amdhsa_user_sgpr_dispatch_id 0
		.amdhsa_user_sgpr_flat_scratch_init 0
		.amdhsa_user_sgpr_kernarg_preload_length 0
		.amdhsa_user_sgpr_kernarg_preload_offset 0
		.amdhsa_user_sgpr_private_segment_size 0
		.amdhsa_uses_dynamic_stack 0
		.amdhsa_system_sgpr_private_segment_wavefront_offset 0
		.amdhsa_system_sgpr_workgroup_id_x 1
		.amdhsa_system_sgpr_workgroup_id_y 0
		.amdhsa_system_sgpr_workgroup_id_z 0
		.amdhsa_system_sgpr_workgroup_info 0
		.amdhsa_system_vgpr_workitem_id 0
		.amdhsa_next_free_vgpr 13
		.amdhsa_next_free_sgpr 7
		.amdhsa_accum_offset 16
		.amdhsa_reserve_vcc 1
		.amdhsa_reserve_flat_scratch 0
		.amdhsa_float_round_mode_32 0
		.amdhsa_float_round_mode_16_64 0
		.amdhsa_float_denorm_mode_32 3
		.amdhsa_float_denorm_mode_16_64 3
		.amdhsa_dx10_clamp 1
		.amdhsa_ieee_mode 1
		.amdhsa_fp16_overflow 0
		.amdhsa_tg_split 0
		.amdhsa_exception_fp_ieee_invalid_op 0
		.amdhsa_exception_fp_denorm_src 0
		.amdhsa_exception_fp_ieee_div_zero 0
		.amdhsa_exception_fp_ieee_overflow 0
		.amdhsa_exception_fp_ieee_underflow 0
		.amdhsa_exception_fp_ieee_inexact 0
		.amdhsa_exception_int_div_zero 0
	.end_amdhsa_kernel
	.section	.text._Z21exclusive_scan_kernelILj255ELN6hipcub18BlockScanAlgorithmE1EjEvPT1_S2_,"axG",@progbits,_Z21exclusive_scan_kernelILj255ELN6hipcub18BlockScanAlgorithmE1EjEvPT1_S2_,comdat
.Lfunc_end74:
	.size	_Z21exclusive_scan_kernelILj255ELN6hipcub18BlockScanAlgorithmE1EjEvPT1_S2_, .Lfunc_end74-_Z21exclusive_scan_kernelILj255ELN6hipcub18BlockScanAlgorithmE1EjEvPT1_S2_
                                        ; -- End function
	.section	.AMDGPU.csdata,"",@progbits
; Kernel info:
; codeLenInByte = 468
; NumSgprs: 11
; NumVgprs: 13
; NumAgprs: 0
; TotalNumVgprs: 13
; ScratchSize: 0
; MemoryBound: 0
; FloatMode: 240
; IeeeMode: 1
; LDSByteSize: 1056 bytes/workgroup (compile time only)
; SGPRBlocks: 1
; VGPRBlocks: 1
; NumSGPRsForWavesPerEU: 11
; NumVGPRsForWavesPerEU: 13
; AccumOffset: 16
; Occupancy: 8
; WaveLimiterHint : 0
; COMPUTE_PGM_RSRC2:SCRATCH_EN: 0
; COMPUTE_PGM_RSRC2:USER_SGPR: 6
; COMPUTE_PGM_RSRC2:TRAP_HANDLER: 0
; COMPUTE_PGM_RSRC2:TGID_X_EN: 1
; COMPUTE_PGM_RSRC2:TGID_Y_EN: 0
; COMPUTE_PGM_RSRC2:TGID_Z_EN: 0
; COMPUTE_PGM_RSRC2:TIDIG_COMP_CNT: 0
; COMPUTE_PGM_RSRC3_GFX90A:ACCUM_OFFSET: 3
; COMPUTE_PGM_RSRC3_GFX90A:TG_SPLIT: 0
	.section	.text._Z21exclusive_scan_kernelILj162ELN6hipcub18BlockScanAlgorithmE1EsEvPT1_S2_,"axG",@progbits,_Z21exclusive_scan_kernelILj162ELN6hipcub18BlockScanAlgorithmE1EsEvPT1_S2_,comdat
	.protected	_Z21exclusive_scan_kernelILj162ELN6hipcub18BlockScanAlgorithmE1EsEvPT1_S2_ ; -- Begin function _Z21exclusive_scan_kernelILj162ELN6hipcub18BlockScanAlgorithmE1EsEvPT1_S2_
	.globl	_Z21exclusive_scan_kernelILj162ELN6hipcub18BlockScanAlgorithmE1EsEvPT1_S2_
	.p2align	8
	.type	_Z21exclusive_scan_kernelILj162ELN6hipcub18BlockScanAlgorithmE1EsEvPT1_S2_,@function
_Z21exclusive_scan_kernelILj162ELN6hipcub18BlockScanAlgorithmE1EsEvPT1_S2_: ; @_Z21exclusive_scan_kernelILj162ELN6hipcub18BlockScanAlgorithmE1EsEvPT1_S2_
; %bb.0:
	s_load_dwordx2 s[0:1], s[4:5], 0x0
	s_mulk_i32 s6, 0xa2
	v_add_u32_e32 v2, s6, v0
	v_mov_b32_e32 v3, 0
	v_lshlrev_b64 v[2:3], 1, v[2:3]
	s_waitcnt lgkmcnt(0)
	v_mov_b32_e32 v1, s1
	v_add_co_u32_e32 v2, vcc, s0, v2
	v_addc_co_u32_e32 v3, vcc, v1, v3, vcc
	global_load_ushort v4, v[2:3], off
	v_lshlrev_b32_e32 v1, 1, v0
	v_cmp_gt_u32_e32 vcc, 64, v0
	s_waitcnt vmcnt(0)
	ds_write_b16 v1, v4
	s_waitcnt lgkmcnt(0)
	s_barrier
	s_and_saveexec_b64 s[0:1], vcc
	s_cbranch_execz .LBB75_2
; %bb.1:
	v_mul_u32_u24_e32 v5, 3, v0
	v_lshlrev_b32_e32 v5, 1, v5
	ds_read_u16 v6, v5
	ds_read_u16 v7, v5 offset:2
	ds_read_u16 v8, v5 offset:4
	v_mbcnt_lo_u32_b32 v9, -1, 0
	v_mbcnt_hi_u32_b32 v9, -1, v9
	v_and_b32_e32 v11, 15, v9
	s_waitcnt lgkmcnt(1)
	v_add_u16_e32 v10, v7, v6
	s_waitcnt lgkmcnt(0)
	v_add_u16_e32 v10, v10, v8
	v_cmp_ne_u32_e32 vcc, 0, v11
	s_nop 0
	v_mov_b32_dpp v12, v10 row_shr:1 row_mask:0xf bank_mask:0xf
	v_cndmask_b32_e32 v12, 0, v12, vcc
	v_add_u16_e32 v10, v12, v10
	v_cmp_lt_u32_e32 vcc, 1, v11
	s_nop 0
	v_mov_b32_dpp v12, v10 row_shr:2 row_mask:0xf bank_mask:0xf
	v_cndmask_b32_e32 v12, 0, v12, vcc
	v_add_u16_e32 v10, v10, v12
	v_cmp_lt_u32_e32 vcc, 3, v11
	;; [unrolled: 5-line block ×3, first 2 shown]
	s_nop 0
	v_mov_b32_dpp v12, v10 row_shr:8 row_mask:0xf bank_mask:0xf
	v_cndmask_b32_e32 v11, 0, v12, vcc
	v_add_u16_e32 v10, v10, v11
	v_and_b32_e32 v12, 16, v9
	v_cmp_ne_u32_e32 vcc, 0, v12
	v_mov_b32_dpp v11, v10 row_bcast:15 row_mask:0xf bank_mask:0xf
	v_cndmask_b32_e32 v11, 0, v11, vcc
	v_add_u16_e32 v10, v10, v11
	v_cmp_lt_u32_e32 vcc, 31, v9
	v_and_b32_e32 v12, 64, v9
	v_mov_b32_dpp v11, v10 row_bcast:31 row_mask:0xf bank_mask:0xf
	v_cndmask_b32_e32 v11, 0, v11, vcc
	v_add_u16_e32 v10, v10, v11
	v_add_u32_e32 v11, -1, v9
	v_cmp_lt_i32_e32 vcc, v11, v12
	v_cndmask_b32_e32 v9, v11, v9, vcc
	v_lshlrev_b32_e32 v9, 2, v9
	ds_bpermute_b32 v9, v9, v10
	v_cmp_eq_u32_e32 vcc, 0, v0
	s_waitcnt lgkmcnt(0)
	v_add_u16_e32 v6, v6, v9
	v_cndmask_b32_e32 v4, v6, v4, vcc
	ds_write_b16 v5, v4
	v_add_u16_e32 v4, v4, v7
	ds_write_b16 v5, v4 offset:2
	v_add_u16_e32 v4, v4, v8
	ds_write_b16 v5, v4 offset:4
.LBB75_2:
	s_or_b64 exec, exec, s[0:1]
	s_load_dword s2, s[4:5], 0x8
	v_cmp_ne_u32_e32 vcc, 0, v0
	s_waitcnt lgkmcnt(0)
	s_barrier
	v_mov_b32_e32 v0, s2
	s_and_saveexec_b64 s[0:1], vcc
	s_cbranch_execz .LBB75_4
; %bb.3:
	v_add_u32_e32 v0, -2, v1
	ds_read_u16 v0, v0
	s_waitcnt lgkmcnt(0)
	v_add_u16_e32 v0, s2, v0
.LBB75_4:
	s_or_b64 exec, exec, s[0:1]
	global_store_short v[2:3], v0, off
	s_endpgm
	.section	.rodata,"a",@progbits
	.p2align	6, 0x0
	.amdhsa_kernel _Z21exclusive_scan_kernelILj162ELN6hipcub18BlockScanAlgorithmE1EsEvPT1_S2_
		.amdhsa_group_segment_fixed_size 384
		.amdhsa_private_segment_fixed_size 0
		.amdhsa_kernarg_size 12
		.amdhsa_user_sgpr_count 6
		.amdhsa_user_sgpr_private_segment_buffer 1
		.amdhsa_user_sgpr_dispatch_ptr 0
		.amdhsa_user_sgpr_queue_ptr 0
		.amdhsa_user_sgpr_kernarg_segment_ptr 1
		.amdhsa_user_sgpr_dispatch_id 0
		.amdhsa_user_sgpr_flat_scratch_init 0
		.amdhsa_user_sgpr_kernarg_preload_length 0
		.amdhsa_user_sgpr_kernarg_preload_offset 0
		.amdhsa_user_sgpr_private_segment_size 0
		.amdhsa_uses_dynamic_stack 0
		.amdhsa_system_sgpr_private_segment_wavefront_offset 0
		.amdhsa_system_sgpr_workgroup_id_x 1
		.amdhsa_system_sgpr_workgroup_id_y 0
		.amdhsa_system_sgpr_workgroup_id_z 0
		.amdhsa_system_sgpr_workgroup_info 0
		.amdhsa_system_vgpr_workitem_id 0
		.amdhsa_next_free_vgpr 13
		.amdhsa_next_free_sgpr 7
		.amdhsa_accum_offset 16
		.amdhsa_reserve_vcc 1
		.amdhsa_reserve_flat_scratch 0
		.amdhsa_float_round_mode_32 0
		.amdhsa_float_round_mode_16_64 0
		.amdhsa_float_denorm_mode_32 3
		.amdhsa_float_denorm_mode_16_64 3
		.amdhsa_dx10_clamp 1
		.amdhsa_ieee_mode 1
		.amdhsa_fp16_overflow 0
		.amdhsa_tg_split 0
		.amdhsa_exception_fp_ieee_invalid_op 0
		.amdhsa_exception_fp_denorm_src 0
		.amdhsa_exception_fp_ieee_div_zero 0
		.amdhsa_exception_fp_ieee_overflow 0
		.amdhsa_exception_fp_ieee_underflow 0
		.amdhsa_exception_fp_ieee_inexact 0
		.amdhsa_exception_int_div_zero 0
	.end_amdhsa_kernel
	.section	.text._Z21exclusive_scan_kernelILj162ELN6hipcub18BlockScanAlgorithmE1EsEvPT1_S2_,"axG",@progbits,_Z21exclusive_scan_kernelILj162ELN6hipcub18BlockScanAlgorithmE1EsEvPT1_S2_,comdat
.Lfunc_end75:
	.size	_Z21exclusive_scan_kernelILj162ELN6hipcub18BlockScanAlgorithmE1EsEvPT1_S2_, .Lfunc_end75-_Z21exclusive_scan_kernelILj162ELN6hipcub18BlockScanAlgorithmE1EsEvPT1_S2_
                                        ; -- End function
	.section	.AMDGPU.csdata,"",@progbits
; Kernel info:
; codeLenInByte = 444
; NumSgprs: 11
; NumVgprs: 13
; NumAgprs: 0
; TotalNumVgprs: 13
; ScratchSize: 0
; MemoryBound: 0
; FloatMode: 240
; IeeeMode: 1
; LDSByteSize: 384 bytes/workgroup (compile time only)
; SGPRBlocks: 1
; VGPRBlocks: 1
; NumSGPRsForWavesPerEU: 11
; NumVGPRsForWavesPerEU: 13
; AccumOffset: 16
; Occupancy: 8
; WaveLimiterHint : 0
; COMPUTE_PGM_RSRC2:SCRATCH_EN: 0
; COMPUTE_PGM_RSRC2:USER_SGPR: 6
; COMPUTE_PGM_RSRC2:TRAP_HANDLER: 0
; COMPUTE_PGM_RSRC2:TGID_X_EN: 1
; COMPUTE_PGM_RSRC2:TGID_Y_EN: 0
; COMPUTE_PGM_RSRC2:TGID_Z_EN: 0
; COMPUTE_PGM_RSRC2:TIDIG_COMP_CNT: 0
; COMPUTE_PGM_RSRC3_GFX90A:ACCUM_OFFSET: 3
; COMPUTE_PGM_RSRC3_GFX90A:TG_SPLIT: 0
	.section	.text._Z21exclusive_scan_kernelILj37ELN6hipcub18BlockScanAlgorithmE1ElEvPT1_S2_,"axG",@progbits,_Z21exclusive_scan_kernelILj37ELN6hipcub18BlockScanAlgorithmE1ElEvPT1_S2_,comdat
	.protected	_Z21exclusive_scan_kernelILj37ELN6hipcub18BlockScanAlgorithmE1ElEvPT1_S2_ ; -- Begin function _Z21exclusive_scan_kernelILj37ELN6hipcub18BlockScanAlgorithmE1ElEvPT1_S2_
	.globl	_Z21exclusive_scan_kernelILj37ELN6hipcub18BlockScanAlgorithmE1ElEvPT1_S2_
	.p2align	8
	.type	_Z21exclusive_scan_kernelILj37ELN6hipcub18BlockScanAlgorithmE1ElEvPT1_S2_,@function
_Z21exclusive_scan_kernelILj37ELN6hipcub18BlockScanAlgorithmE1ElEvPT1_S2_: ; @_Z21exclusive_scan_kernelILj37ELN6hipcub18BlockScanAlgorithmE1ElEvPT1_S2_
; %bb.0:
	s_load_dwordx4 s[8:11], s[4:5], 0x0
	v_mad_u64_u32 v[2:3], s[0:1], s6, 37, v[0:1]
	v_mov_b32_e32 v3, 0
	v_lshlrev_b64 v[2:3], 3, v[2:3]
	s_waitcnt lgkmcnt(0)
	v_mov_b32_e32 v1, s9
	v_add_co_u32_e32 v2, vcc, s8, v2
	v_addc_co_u32_e32 v3, vcc, v1, v3, vcc
	global_load_dwordx2 v[4:5], v[2:3], off
	v_mbcnt_lo_u32_b32 v1, -1, 0
	v_mbcnt_hi_u32_b32 v7, -1, v1
	v_and_b32_e32 v1, 15, v7
	v_and_b32_e32 v9, 16, v7
	v_cmp_eq_u32_e32 vcc, 0, v7
	v_cmp_ne_u32_e64 s[2:3], 0, v7
	s_waitcnt vmcnt(0)
	v_mov_b32_dpp v6, v4 row_shr:1 row_mask:0xf bank_mask:0xf
	v_add_co_u32_e64 v6, s[0:1], v4, v6
	v_addc_co_u32_e64 v10, s[0:1], 0, v5, s[0:1]
	v_mov_b32_dpp v8, v5 row_shr:1 row_mask:0xf bank_mask:0xf
	v_add_co_u32_e64 v11, s[0:1], 0, v6
	v_addc_co_u32_e64 v8, s[0:1], v8, v10, s[0:1]
	v_cmp_eq_u32_e64 s[0:1], 0, v1
	v_cndmask_b32_e64 v6, v6, v4, s[0:1]
	v_cndmask_b32_e64 v8, v8, v5, s[0:1]
	v_cndmask_b32_e64 v10, v11, v4, s[0:1]
	v_mov_b32_dpp v11, v6 row_shr:2 row_mask:0xf bank_mask:0xf
	v_mov_b32_dpp v12, v8 row_shr:2 row_mask:0xf bank_mask:0xf
	v_add_co_u32_e64 v11, s[0:1], v11, v10
	v_addc_co_u32_e64 v12, s[0:1], v12, v8, s[0:1]
	v_cmp_lt_u32_e64 s[0:1], 1, v1
	v_cndmask_b32_e64 v6, v6, v11, s[0:1]
	v_cndmask_b32_e64 v8, v8, v12, s[0:1]
	v_cndmask_b32_e64 v10, v10, v11, s[0:1]
	v_mov_b32_dpp v11, v6 row_shr:4 row_mask:0xf bank_mask:0xf
	v_mov_b32_dpp v12, v8 row_shr:4 row_mask:0xf bank_mask:0xf
	v_add_co_u32_e64 v11, s[0:1], v11, v10
	v_addc_co_u32_e64 v12, s[0:1], v12, v8, s[0:1]
	v_cmp_lt_u32_e64 s[0:1], 3, v1
	v_cndmask_b32_e64 v6, v6, v11, s[0:1]
	v_cndmask_b32_e64 v8, v8, v12, s[0:1]
	v_cndmask_b32_e64 v10, v10, v11, s[0:1]
	v_mov_b32_dpp v11, v6 row_shr:8 row_mask:0xf bank_mask:0xf
	v_mov_b32_dpp v12, v8 row_shr:8 row_mask:0xf bank_mask:0xf
	v_add_co_u32_e64 v11, s[0:1], v11, v10
	v_addc_co_u32_e64 v12, s[0:1], v12, v8, s[0:1]
	v_cmp_lt_u32_e64 s[0:1], 7, v1
	v_cndmask_b32_e64 v13, v6, v11, s[0:1]
	v_cndmask_b32_e64 v1, v8, v12, s[0:1]
	;; [unrolled: 1-line block ×3, first 2 shown]
	v_mov_b32_dpp v8, v13 row_bcast:15 row_mask:0xf bank_mask:0xf
	v_mov_b32_dpp v10, v1 row_bcast:15 row_mask:0xf bank_mask:0xf
	v_add_co_u32_e64 v8, s[0:1], v8, v6
	v_addc_co_u32_e64 v10, s[0:1], v10, v1, s[0:1]
	v_cmp_eq_u32_e64 s[0:1], 0, v9
	v_cndmask_b32_e64 v11, v10, v1, s[0:1]
	v_cndmask_b32_e64 v9, v8, v13, s[0:1]
	s_nop 0
	v_mov_b32_dpp v11, v11 row_bcast:31 row_mask:0xf bank_mask:0xf
	v_mov_b32_dpp v9, v9 row_bcast:31 row_mask:0xf bank_mask:0xf
	s_and_saveexec_b64 s[4:5], s[2:3]
; %bb.1:
	v_cndmask_b32_e64 v1, v10, v1, s[0:1]
	v_cndmask_b32_e64 v4, v8, v6, s[0:1]
	v_cmp_lt_u32_e64 s[0:1], 31, v7
	v_cndmask_b32_e64 v6, 0, v9, s[0:1]
	v_cndmask_b32_e64 v5, 0, v11, s[0:1]
	v_add_co_u32_e64 v4, s[0:1], v6, v4
	v_addc_co_u32_e64 v5, s[0:1], v5, v1, s[0:1]
; %bb.2:
	s_or_b64 exec, exec, s[4:5]
	v_cmp_eq_u32_e64 s[0:1], 36, v0
	s_and_saveexec_b64 s[2:3], s[0:1]
	s_cbranch_execz .LBB76_4
; %bb.3:
	v_mov_b32_e32 v0, 0
	ds_write_b64 v0, v[4:5]
.LBB76_4:
	s_or_b64 exec, exec, s[2:3]
	v_mov_b32_e32 v0, s11
	v_add_co_u32_e64 v1, s[0:1], s10, v4
	v_addc_co_u32_e64 v0, s[0:1], v5, v0, s[0:1]
	v_add_u32_e32 v4, -1, v7
	v_and_b32_e32 v5, 64, v7
	v_cmp_lt_i32_e64 s[0:1], v4, v5
	v_cndmask_b32_e64 v4, v4, v7, s[0:1]
	v_lshlrev_b32_e32 v4, 2, v4
	ds_bpermute_b32 v0, v4, v0
	ds_bpermute_b32 v4, v4, v1
	v_mov_b32_e32 v1, s11
	s_waitcnt lgkmcnt(0)
	; wave barrier
	s_waitcnt lgkmcnt(0)
	v_cndmask_b32_e32 v1, v0, v1, vcc
	v_mov_b32_e32 v0, s10
	v_cndmask_b32_e32 v0, v4, v0, vcc
	global_store_dwordx2 v[2:3], v[0:1], off
	s_endpgm
	.section	.rodata,"a",@progbits
	.p2align	6, 0x0
	.amdhsa_kernel _Z21exclusive_scan_kernelILj37ELN6hipcub18BlockScanAlgorithmE1ElEvPT1_S2_
		.amdhsa_group_segment_fixed_size 8
		.amdhsa_private_segment_fixed_size 0
		.amdhsa_kernarg_size 16
		.amdhsa_user_sgpr_count 6
		.amdhsa_user_sgpr_private_segment_buffer 1
		.amdhsa_user_sgpr_dispatch_ptr 0
		.amdhsa_user_sgpr_queue_ptr 0
		.amdhsa_user_sgpr_kernarg_segment_ptr 1
		.amdhsa_user_sgpr_dispatch_id 0
		.amdhsa_user_sgpr_flat_scratch_init 0
		.amdhsa_user_sgpr_kernarg_preload_length 0
		.amdhsa_user_sgpr_kernarg_preload_offset 0
		.amdhsa_user_sgpr_private_segment_size 0
		.amdhsa_uses_dynamic_stack 0
		.amdhsa_system_sgpr_private_segment_wavefront_offset 0
		.amdhsa_system_sgpr_workgroup_id_x 1
		.amdhsa_system_sgpr_workgroup_id_y 0
		.amdhsa_system_sgpr_workgroup_id_z 0
		.amdhsa_system_sgpr_workgroup_info 0
		.amdhsa_system_vgpr_workitem_id 0
		.amdhsa_next_free_vgpr 14
		.amdhsa_next_free_sgpr 12
		.amdhsa_accum_offset 16
		.amdhsa_reserve_vcc 1
		.amdhsa_reserve_flat_scratch 0
		.amdhsa_float_round_mode_32 0
		.amdhsa_float_round_mode_16_64 0
		.amdhsa_float_denorm_mode_32 3
		.amdhsa_float_denorm_mode_16_64 3
		.amdhsa_dx10_clamp 1
		.amdhsa_ieee_mode 1
		.amdhsa_fp16_overflow 0
		.amdhsa_tg_split 0
		.amdhsa_exception_fp_ieee_invalid_op 0
		.amdhsa_exception_fp_denorm_src 0
		.amdhsa_exception_fp_ieee_div_zero 0
		.amdhsa_exception_fp_ieee_overflow 0
		.amdhsa_exception_fp_ieee_underflow 0
		.amdhsa_exception_fp_ieee_inexact 0
		.amdhsa_exception_int_div_zero 0
	.end_amdhsa_kernel
	.section	.text._Z21exclusive_scan_kernelILj37ELN6hipcub18BlockScanAlgorithmE1ElEvPT1_S2_,"axG",@progbits,_Z21exclusive_scan_kernelILj37ELN6hipcub18BlockScanAlgorithmE1ElEvPT1_S2_,comdat
.Lfunc_end76:
	.size	_Z21exclusive_scan_kernelILj37ELN6hipcub18BlockScanAlgorithmE1ElEvPT1_S2_, .Lfunc_end76-_Z21exclusive_scan_kernelILj37ELN6hipcub18BlockScanAlgorithmE1ElEvPT1_S2_
                                        ; -- End function
	.section	.AMDGPU.csdata,"",@progbits
; Kernel info:
; codeLenInByte = 636
; NumSgprs: 16
; NumVgprs: 14
; NumAgprs: 0
; TotalNumVgprs: 14
; ScratchSize: 0
; MemoryBound: 0
; FloatMode: 240
; IeeeMode: 1
; LDSByteSize: 8 bytes/workgroup (compile time only)
; SGPRBlocks: 1
; VGPRBlocks: 1
; NumSGPRsForWavesPerEU: 16
; NumVGPRsForWavesPerEU: 14
; AccumOffset: 16
; Occupancy: 8
; WaveLimiterHint : 0
; COMPUTE_PGM_RSRC2:SCRATCH_EN: 0
; COMPUTE_PGM_RSRC2:USER_SGPR: 6
; COMPUTE_PGM_RSRC2:TRAP_HANDLER: 0
; COMPUTE_PGM_RSRC2:TGID_X_EN: 1
; COMPUTE_PGM_RSRC2:TGID_Y_EN: 0
; COMPUTE_PGM_RSRC2:TGID_Z_EN: 0
; COMPUTE_PGM_RSRC2:TIDIG_COMP_CNT: 0
; COMPUTE_PGM_RSRC3_GFX90A:ACCUM_OFFSET: 3
; COMPUTE_PGM_RSRC3_GFX90A:TG_SPLIT: 0
	.section	.text._Z21exclusive_scan_kernelILj65ELN6hipcub18BlockScanAlgorithmE1EmEvPT1_S2_,"axG",@progbits,_Z21exclusive_scan_kernelILj65ELN6hipcub18BlockScanAlgorithmE1EmEvPT1_S2_,comdat
	.protected	_Z21exclusive_scan_kernelILj65ELN6hipcub18BlockScanAlgorithmE1EmEvPT1_S2_ ; -- Begin function _Z21exclusive_scan_kernelILj65ELN6hipcub18BlockScanAlgorithmE1EmEvPT1_S2_
	.globl	_Z21exclusive_scan_kernelILj65ELN6hipcub18BlockScanAlgorithmE1EmEvPT1_S2_
	.p2align	8
	.type	_Z21exclusive_scan_kernelILj65ELN6hipcub18BlockScanAlgorithmE1EmEvPT1_S2_,@function
_Z21exclusive_scan_kernelILj65ELN6hipcub18BlockScanAlgorithmE1EmEvPT1_S2_: ; @_Z21exclusive_scan_kernelILj65ELN6hipcub18BlockScanAlgorithmE1EmEvPT1_S2_
; %bb.0:
	s_load_dwordx4 s[0:3], s[4:5], 0x0
	s_mulk_i32 s6, 0x41
	v_add_u32_e32 v2, s6, v0
	v_mov_b32_e32 v3, 0
	v_lshlrev_b64 v[2:3], 3, v[2:3]
	s_waitcnt lgkmcnt(0)
	v_mov_b32_e32 v1, s1
	v_add_co_u32_e32 v2, vcc, s0, v2
	v_addc_co_u32_e32 v3, vcc, v1, v3, vcc
	global_load_dwordx2 v[4:5], v[2:3], off
	v_lshrrev_b32_e32 v1, 5, v0
	v_add_lshl_u32 v1, v1, v0, 3
	v_cmp_gt_u32_e32 vcc, 64, v0
	s_waitcnt vmcnt(0)
	ds_write_b64 v1, v[4:5]
	s_waitcnt lgkmcnt(0)
	s_barrier
	s_and_saveexec_b64 s[4:5], vcc
	s_cbranch_execz .LBB77_2
; %bb.1:
	v_lshlrev_b32_e32 v1, 1, v0
	v_lshrrev_b32_e32 v6, 4, v0
	v_add_lshl_u32 v1, v6, v1, 3
	ds_read2_b64 v[6:9], v1 offset1:1
	v_mbcnt_lo_u32_b32 v12, -1, 0
	v_mbcnt_hi_u32_b32 v12, -1, v12
	v_and_b32_e32 v13, 15, v12
	s_waitcnt lgkmcnt(0)
	v_add_co_u32_e32 v10, vcc, v8, v6
	v_addc_co_u32_e32 v11, vcc, v9, v7, vcc
	s_nop 0
	v_mov_b32_dpp v14, v10 row_shr:1 row_mask:0xf bank_mask:0xf
	v_add_co_u32_e32 v14, vcc, v10, v14
	v_addc_co_u32_e32 v16, vcc, 0, v11, vcc
	v_mov_b32_dpp v15, v11 row_shr:1 row_mask:0xf bank_mask:0xf
	v_add_co_u32_e32 v17, vcc, 0, v14
	v_addc_co_u32_e32 v15, vcc, v15, v16, vcc
	v_cmp_eq_u32_e32 vcc, 0, v13
	v_cndmask_b32_e32 v14, v14, v10, vcc
	v_cndmask_b32_e32 v11, v15, v11, vcc
	v_cndmask_b32_e32 v10, v17, v10, vcc
	v_mov_b32_dpp v15, v14 row_shr:2 row_mask:0xf bank_mask:0xf
	v_add_co_u32_e32 v15, vcc, v10, v15
	v_addc_co_u32_e32 v17, vcc, 0, v11, vcc
	v_mov_b32_dpp v16, v11 row_shr:2 row_mask:0xf bank_mask:0xf
	v_add_co_u32_e32 v18, vcc, 0, v15
	v_addc_co_u32_e32 v16, vcc, v17, v16, vcc
	v_cmp_lt_u32_e32 vcc, 1, v13
	v_cndmask_b32_e32 v14, v14, v15, vcc
	v_cndmask_b32_e32 v10, v10, v18, vcc
	v_cndmask_b32_e32 v11, v11, v16, vcc
	v_mov_b32_dpp v15, v14 row_shr:4 row_mask:0xf bank_mask:0xf
	v_add_co_u32_e32 v15, vcc, v10, v15
	v_addc_co_u32_e32 v17, vcc, 0, v11, vcc
	v_mov_b32_dpp v16, v11 row_shr:4 row_mask:0xf bank_mask:0xf
	v_add_co_u32_e32 v18, vcc, 0, v15
	v_addc_co_u32_e32 v16, vcc, v17, v16, vcc
	v_cmp_lt_u32_e32 vcc, 3, v13
	;; [unrolled: 10-line block ×3, first 2 shown]
	v_cndmask_b32_e32 v13, v14, v15, vcc
	v_cndmask_b32_e32 v10, v10, v18, vcc
	;; [unrolled: 1-line block ×3, first 2 shown]
	v_mov_b32_dpp v14, v13 row_bcast:15 row_mask:0xf bank_mask:0xf
	v_add_co_u32_e32 v14, vcc, v10, v14
	v_addc_co_u32_e32 v17, vcc, 0, v11, vcc
	v_mov_b32_dpp v15, v11 row_bcast:15 row_mask:0xf bank_mask:0xf
	v_add_co_u32_e32 v18, vcc, 0, v14
	v_and_b32_e32 v16, 16, v12
	v_addc_co_u32_e32 v15, vcc, v17, v15, vcc
	v_cmp_eq_u32_e32 vcc, 0, v16
	v_cndmask_b32_e32 v13, v14, v13, vcc
	v_cndmask_b32_e32 v10, v18, v10, vcc
	;; [unrolled: 1-line block ×3, first 2 shown]
	v_mov_b32_dpp v14, v13 row_bcast:31 row_mask:0xf bank_mask:0xf
	v_add_co_u32_e32 v10, vcc, v10, v14
	v_addc_co_u32_e32 v14, vcc, 0, v11, vcc
	v_cmp_lt_u32_e32 vcc, 31, v12
	v_cndmask_b32_e32 v10, v13, v10, vcc
	v_add_u32_e32 v13, -1, v12
	v_and_b32_e32 v16, 64, v12
	v_cmp_lt_i32_e64 s[0:1], v13, v16
	v_cndmask_b32_e64 v12, v13, v12, s[0:1]
	v_lshlrev_b32_e32 v12, 2, v12
	v_mov_b32_dpp v15, v11 row_bcast:31 row_mask:0xf bank_mask:0xf
	ds_bpermute_b32 v10, v12, v10
	v_add_u32_e32 v13, v15, v14
	v_cndmask_b32_e32 v11, v11, v13, vcc
	ds_bpermute_b32 v11, v12, v11
	s_waitcnt lgkmcnt(1)
	v_add_co_u32_e32 v6, vcc, v6, v10
	v_addc_co_u32_e32 v7, vcc, 0, v7, vcc
	v_add_co_u32_e32 v6, vcc, 0, v6
	s_waitcnt lgkmcnt(0)
	v_addc_co_u32_e32 v7, vcc, v7, v11, vcc
	v_cmp_eq_u32_e32 vcc, 0, v0
	v_cndmask_b32_e32 v4, v6, v4, vcc
	v_cndmask_b32_e32 v5, v7, v5, vcc
	v_add_co_u32_e32 v6, vcc, v4, v8
	v_addc_co_u32_e32 v7, vcc, v5, v9, vcc
	ds_write2_b64 v1, v[4:5], v[6:7] offset1:1
.LBB77_2:
	s_or_b64 exec, exec, s[4:5]
	v_cmp_ne_u32_e32 vcc, 0, v0
	v_pk_mov_b32 v[4:5], s[2:3], s[2:3] op_sel:[0,1]
	s_waitcnt lgkmcnt(0)
	s_barrier
	s_and_saveexec_b64 s[0:1], vcc
	s_cbranch_execz .LBB77_4
; %bb.3:
	v_add_u32_e32 v0, -1, v0
	v_lshrrev_b32_e32 v1, 5, v0
	v_add_lshl_u32 v0, v1, v0, 3
	ds_read_b64 v[0:1], v0
	v_mov_b32_e32 v5, s3
	s_waitcnt lgkmcnt(0)
	v_add_co_u32_e32 v4, vcc, s2, v0
	v_addc_co_u32_e32 v5, vcc, v1, v5, vcc
.LBB77_4:
	s_or_b64 exec, exec, s[0:1]
	global_store_dwordx2 v[2:3], v[4:5], off
	s_endpgm
	.section	.rodata,"a",@progbits
	.p2align	6, 0x0
	.amdhsa_kernel _Z21exclusive_scan_kernelILj65ELN6hipcub18BlockScanAlgorithmE1EmEvPT1_S2_
		.amdhsa_group_segment_fixed_size 1056
		.amdhsa_private_segment_fixed_size 0
		.amdhsa_kernarg_size 16
		.amdhsa_user_sgpr_count 6
		.amdhsa_user_sgpr_private_segment_buffer 1
		.amdhsa_user_sgpr_dispatch_ptr 0
		.amdhsa_user_sgpr_queue_ptr 0
		.amdhsa_user_sgpr_kernarg_segment_ptr 1
		.amdhsa_user_sgpr_dispatch_id 0
		.amdhsa_user_sgpr_flat_scratch_init 0
		.amdhsa_user_sgpr_kernarg_preload_length 0
		.amdhsa_user_sgpr_kernarg_preload_offset 0
		.amdhsa_user_sgpr_private_segment_size 0
		.amdhsa_uses_dynamic_stack 0
		.amdhsa_system_sgpr_private_segment_wavefront_offset 0
		.amdhsa_system_sgpr_workgroup_id_x 1
		.amdhsa_system_sgpr_workgroup_id_y 0
		.amdhsa_system_sgpr_workgroup_id_z 0
		.amdhsa_system_sgpr_workgroup_info 0
		.amdhsa_system_vgpr_workitem_id 0
		.amdhsa_next_free_vgpr 19
		.amdhsa_next_free_sgpr 7
		.amdhsa_accum_offset 20
		.amdhsa_reserve_vcc 1
		.amdhsa_reserve_flat_scratch 0
		.amdhsa_float_round_mode_32 0
		.amdhsa_float_round_mode_16_64 0
		.amdhsa_float_denorm_mode_32 3
		.amdhsa_float_denorm_mode_16_64 3
		.amdhsa_dx10_clamp 1
		.amdhsa_ieee_mode 1
		.amdhsa_fp16_overflow 0
		.amdhsa_tg_split 0
		.amdhsa_exception_fp_ieee_invalid_op 0
		.amdhsa_exception_fp_denorm_src 0
		.amdhsa_exception_fp_ieee_div_zero 0
		.amdhsa_exception_fp_ieee_overflow 0
		.amdhsa_exception_fp_ieee_underflow 0
		.amdhsa_exception_fp_ieee_inexact 0
		.amdhsa_exception_int_div_zero 0
	.end_amdhsa_kernel
	.section	.text._Z21exclusive_scan_kernelILj65ELN6hipcub18BlockScanAlgorithmE1EmEvPT1_S2_,"axG",@progbits,_Z21exclusive_scan_kernelILj65ELN6hipcub18BlockScanAlgorithmE1EmEvPT1_S2_,comdat
.Lfunc_end77:
	.size	_Z21exclusive_scan_kernelILj65ELN6hipcub18BlockScanAlgorithmE1EmEvPT1_S2_, .Lfunc_end77-_Z21exclusive_scan_kernelILj65ELN6hipcub18BlockScanAlgorithmE1EmEvPT1_S2_
                                        ; -- End function
	.section	.AMDGPU.csdata,"",@progbits
; Kernel info:
; codeLenInByte = 624
; NumSgprs: 11
; NumVgprs: 19
; NumAgprs: 0
; TotalNumVgprs: 19
; ScratchSize: 0
; MemoryBound: 0
; FloatMode: 240
; IeeeMode: 1
; LDSByteSize: 1056 bytes/workgroup (compile time only)
; SGPRBlocks: 1
; VGPRBlocks: 2
; NumSGPRsForWavesPerEU: 11
; NumVGPRsForWavesPerEU: 19
; AccumOffset: 20
; Occupancy: 8
; WaveLimiterHint : 0
; COMPUTE_PGM_RSRC2:SCRATCH_EN: 0
; COMPUTE_PGM_RSRC2:USER_SGPR: 6
; COMPUTE_PGM_RSRC2:TRAP_HANDLER: 0
; COMPUTE_PGM_RSRC2:TGID_X_EN: 1
; COMPUTE_PGM_RSRC2:TGID_Y_EN: 0
; COMPUTE_PGM_RSRC2:TGID_Z_EN: 0
; COMPUTE_PGM_RSRC2:TIDIG_COMP_CNT: 0
; COMPUTE_PGM_RSRC3_GFX90A:ACCUM_OFFSET: 4
; COMPUTE_PGM_RSRC3_GFX90A:TG_SPLIT: 0
	.section	.text._Z21exclusive_scan_kernelILj512ELN6hipcub18BlockScanAlgorithmE1EiEvPT1_S2_,"axG",@progbits,_Z21exclusive_scan_kernelILj512ELN6hipcub18BlockScanAlgorithmE1EiEvPT1_S2_,comdat
	.protected	_Z21exclusive_scan_kernelILj512ELN6hipcub18BlockScanAlgorithmE1EiEvPT1_S2_ ; -- Begin function _Z21exclusive_scan_kernelILj512ELN6hipcub18BlockScanAlgorithmE1EiEvPT1_S2_
	.globl	_Z21exclusive_scan_kernelILj512ELN6hipcub18BlockScanAlgorithmE1EiEvPT1_S2_
	.p2align	8
	.type	_Z21exclusive_scan_kernelILj512ELN6hipcub18BlockScanAlgorithmE1EiEvPT1_S2_,@function
_Z21exclusive_scan_kernelILj512ELN6hipcub18BlockScanAlgorithmE1EiEvPT1_S2_: ; @_Z21exclusive_scan_kernelILj512ELN6hipcub18BlockScanAlgorithmE1EiEvPT1_S2_
; %bb.0:
	s_load_dwordx2 s[0:1], s[4:5], 0x0
	v_lshl_or_b32 v2, s6, 9, v0
	v_mov_b32_e32 v3, 0
	v_lshlrev_b64 v[2:3], 2, v[2:3]
	v_lshrrev_b32_e32 v4, 5, v0
	s_waitcnt lgkmcnt(0)
	v_mov_b32_e32 v1, s1
	v_add_co_u32_e32 v2, vcc, s0, v2
	v_addc_co_u32_e32 v3, vcc, v1, v3, vcc
	global_load_dword v1, v[2:3], off
	v_add_lshl_u32 v4, v4, v0, 2
	v_cmp_gt_u32_e32 vcc, 64, v0
	s_waitcnt vmcnt(0)
	ds_write_b32 v4, v1
	s_waitcnt lgkmcnt(0)
	s_barrier
	s_and_saveexec_b64 s[0:1], vcc
	s_cbranch_execz .LBB78_2
; %bb.1:
	v_lshlrev_b32_e32 v4, 3, v0
	v_lshrrev_b32_e32 v5, 2, v0
	v_add_lshl_u32 v12, v5, v4, 2
	ds_read2_b32 v[4:5], v12 offset1:1
	ds_read2_b32 v[6:7], v12 offset0:2 offset1:3
	ds_read2_b32 v[8:9], v12 offset0:4 offset1:5
	;; [unrolled: 1-line block ×3, first 2 shown]
	v_mbcnt_lo_u32_b32 v14, -1, 0
	s_waitcnt lgkmcnt(3)
	v_add_u32_e32 v13, v5, v4
	s_waitcnt lgkmcnt(2)
	v_add3_u32 v13, v13, v6, v7
	s_waitcnt lgkmcnt(1)
	v_add3_u32 v13, v13, v8, v9
	v_mbcnt_hi_u32_b32 v14, -1, v14
	s_waitcnt lgkmcnt(0)
	v_add3_u32 v13, v13, v10, v11
	v_and_b32_e32 v15, 15, v14
	v_cmp_ne_u32_e32 vcc, 0, v15
	v_mov_b32_dpp v16, v13 row_shr:1 row_mask:0xf bank_mask:0xf
	v_cndmask_b32_e32 v16, 0, v16, vcc
	v_add_u32_e32 v13, v16, v13
	v_cmp_lt_u32_e32 vcc, 1, v15
	s_nop 0
	v_mov_b32_dpp v16, v13 row_shr:2 row_mask:0xf bank_mask:0xf
	v_cndmask_b32_e32 v16, 0, v16, vcc
	v_add_u32_e32 v13, v13, v16
	v_cmp_lt_u32_e32 vcc, 3, v15
	s_nop 0
	;; [unrolled: 5-line block ×3, first 2 shown]
	v_mov_b32_dpp v16, v13 row_shr:8 row_mask:0xf bank_mask:0xf
	v_cndmask_b32_e32 v15, 0, v16, vcc
	v_add_u32_e32 v13, v13, v15
	v_bfe_i32 v16, v14, 4, 1
	v_cmp_lt_u32_e32 vcc, 31, v14
	v_mov_b32_dpp v15, v13 row_bcast:15 row_mask:0xf bank_mask:0xf
	v_and_b32_e32 v15, v16, v15
	v_add_u32_e32 v13, v13, v15
	v_and_b32_e32 v16, 64, v14
	s_nop 0
	v_mov_b32_dpp v15, v13 row_bcast:31 row_mask:0xf bank_mask:0xf
	v_cndmask_b32_e32 v15, 0, v15, vcc
	v_add_u32_e32 v13, v13, v15
	v_add_u32_e32 v15, -1, v14
	v_cmp_lt_i32_e32 vcc, v15, v16
	v_cndmask_b32_e32 v14, v15, v14, vcc
	v_lshlrev_b32_e32 v14, 2, v14
	ds_bpermute_b32 v13, v14, v13
	v_cmp_eq_u32_e32 vcc, 0, v0
	s_waitcnt lgkmcnt(0)
	v_add_u32_e32 v4, v13, v4
	v_cndmask_b32_e32 v1, v4, v1, vcc
	v_add_u32_e32 v4, v1, v5
	ds_write2_b32 v12, v1, v4 offset1:1
	v_add_u32_e32 v1, v4, v6
	v_add_u32_e32 v4, v1, v7
	ds_write2_b32 v12, v1, v4 offset0:2 offset1:3
	v_add_u32_e32 v1, v4, v8
	v_add_u32_e32 v4, v1, v9
	ds_write2_b32 v12, v1, v4 offset0:4 offset1:5
	v_add_u32_e32 v1, v4, v10
	v_add_u32_e32 v4, v1, v11
	ds_write2_b32 v12, v1, v4 offset0:6 offset1:7
.LBB78_2:
	s_or_b64 exec, exec, s[0:1]
	s_load_dword s2, s[4:5], 0x8
	v_cmp_ne_u32_e32 vcc, 0, v0
	s_waitcnt lgkmcnt(0)
	s_barrier
	v_mov_b32_e32 v1, s2
	s_and_saveexec_b64 s[0:1], vcc
	s_cbranch_execz .LBB78_4
; %bb.3:
	v_add_u32_e32 v0, -1, v0
	v_lshrrev_b32_e32 v1, 5, v0
	v_add_lshl_u32 v0, v1, v0, 2
	ds_read_b32 v0, v0
	s_waitcnt lgkmcnt(0)
	v_add_u32_e32 v1, s2, v0
.LBB78_4:
	s_or_b64 exec, exec, s[0:1]
	global_store_dword v[2:3], v1, off
	s_endpgm
	.section	.rodata,"a",@progbits
	.p2align	6, 0x0
	.amdhsa_kernel _Z21exclusive_scan_kernelILj512ELN6hipcub18BlockScanAlgorithmE1EiEvPT1_S2_
		.amdhsa_group_segment_fixed_size 2112
		.amdhsa_private_segment_fixed_size 0
		.amdhsa_kernarg_size 12
		.amdhsa_user_sgpr_count 6
		.amdhsa_user_sgpr_private_segment_buffer 1
		.amdhsa_user_sgpr_dispatch_ptr 0
		.amdhsa_user_sgpr_queue_ptr 0
		.amdhsa_user_sgpr_kernarg_segment_ptr 1
		.amdhsa_user_sgpr_dispatch_id 0
		.amdhsa_user_sgpr_flat_scratch_init 0
		.amdhsa_user_sgpr_kernarg_preload_length 0
		.amdhsa_user_sgpr_kernarg_preload_offset 0
		.amdhsa_user_sgpr_private_segment_size 0
		.amdhsa_uses_dynamic_stack 0
		.amdhsa_system_sgpr_private_segment_wavefront_offset 0
		.amdhsa_system_sgpr_workgroup_id_x 1
		.amdhsa_system_sgpr_workgroup_id_y 0
		.amdhsa_system_sgpr_workgroup_id_z 0
		.amdhsa_system_sgpr_workgroup_info 0
		.amdhsa_system_vgpr_workitem_id 0
		.amdhsa_next_free_vgpr 17
		.amdhsa_next_free_sgpr 7
		.amdhsa_accum_offset 20
		.amdhsa_reserve_vcc 1
		.amdhsa_reserve_flat_scratch 0
		.amdhsa_float_round_mode_32 0
		.amdhsa_float_round_mode_16_64 0
		.amdhsa_float_denorm_mode_32 3
		.amdhsa_float_denorm_mode_16_64 3
		.amdhsa_dx10_clamp 1
		.amdhsa_ieee_mode 1
		.amdhsa_fp16_overflow 0
		.amdhsa_tg_split 0
		.amdhsa_exception_fp_ieee_invalid_op 0
		.amdhsa_exception_fp_denorm_src 0
		.amdhsa_exception_fp_ieee_div_zero 0
		.amdhsa_exception_fp_ieee_overflow 0
		.amdhsa_exception_fp_ieee_underflow 0
		.amdhsa_exception_fp_ieee_inexact 0
		.amdhsa_exception_int_div_zero 0
	.end_amdhsa_kernel
	.section	.text._Z21exclusive_scan_kernelILj512ELN6hipcub18BlockScanAlgorithmE1EiEvPT1_S2_,"axG",@progbits,_Z21exclusive_scan_kernelILj512ELN6hipcub18BlockScanAlgorithmE1EiEvPT1_S2_,comdat
.Lfunc_end78:
	.size	_Z21exclusive_scan_kernelILj512ELN6hipcub18BlockScanAlgorithmE1EiEvPT1_S2_, .Lfunc_end78-_Z21exclusive_scan_kernelILj512ELN6hipcub18BlockScanAlgorithmE1EiEvPT1_S2_
                                        ; -- End function
	.section	.AMDGPU.csdata,"",@progbits
; Kernel info:
; codeLenInByte = 536
; NumSgprs: 11
; NumVgprs: 17
; NumAgprs: 0
; TotalNumVgprs: 17
; ScratchSize: 0
; MemoryBound: 0
; FloatMode: 240
; IeeeMode: 1
; LDSByteSize: 2112 bytes/workgroup (compile time only)
; SGPRBlocks: 1
; VGPRBlocks: 2
; NumSGPRsForWavesPerEU: 11
; NumVGPRsForWavesPerEU: 17
; AccumOffset: 20
; Occupancy: 8
; WaveLimiterHint : 0
; COMPUTE_PGM_RSRC2:SCRATCH_EN: 0
; COMPUTE_PGM_RSRC2:USER_SGPR: 6
; COMPUTE_PGM_RSRC2:TRAP_HANDLER: 0
; COMPUTE_PGM_RSRC2:TGID_X_EN: 1
; COMPUTE_PGM_RSRC2:TGID_Y_EN: 0
; COMPUTE_PGM_RSRC2:TGID_Z_EN: 0
; COMPUTE_PGM_RSRC2:TIDIG_COMP_CNT: 0
; COMPUTE_PGM_RSRC3_GFX90A:ACCUM_OFFSET: 4
; COMPUTE_PGM_RSRC3_GFX90A:TG_SPLIT: 0
	.section	.text._Z21exclusive_scan_kernelILj256ELN6hipcub18BlockScanAlgorithmE1EiEvPT1_S2_,"axG",@progbits,_Z21exclusive_scan_kernelILj256ELN6hipcub18BlockScanAlgorithmE1EiEvPT1_S2_,comdat
	.protected	_Z21exclusive_scan_kernelILj256ELN6hipcub18BlockScanAlgorithmE1EiEvPT1_S2_ ; -- Begin function _Z21exclusive_scan_kernelILj256ELN6hipcub18BlockScanAlgorithmE1EiEvPT1_S2_
	.globl	_Z21exclusive_scan_kernelILj256ELN6hipcub18BlockScanAlgorithmE1EiEvPT1_S2_
	.p2align	8
	.type	_Z21exclusive_scan_kernelILj256ELN6hipcub18BlockScanAlgorithmE1EiEvPT1_S2_,@function
_Z21exclusive_scan_kernelILj256ELN6hipcub18BlockScanAlgorithmE1EiEvPT1_S2_: ; @_Z21exclusive_scan_kernelILj256ELN6hipcub18BlockScanAlgorithmE1EiEvPT1_S2_
; %bb.0:
	s_load_dwordx2 s[0:1], s[4:5], 0x0
	v_lshl_or_b32 v2, s6, 8, v0
	v_mov_b32_e32 v3, 0
	v_lshlrev_b64 v[2:3], 2, v[2:3]
	v_lshrrev_b32_e32 v4, 5, v0
	s_waitcnt lgkmcnt(0)
	v_mov_b32_e32 v1, s1
	v_add_co_u32_e32 v2, vcc, s0, v2
	v_addc_co_u32_e32 v3, vcc, v1, v3, vcc
	global_load_dword v1, v[2:3], off
	v_add_lshl_u32 v4, v4, v0, 2
	v_cmp_gt_u32_e32 vcc, 64, v0
	s_waitcnt vmcnt(0)
	ds_write_b32 v4, v1
	s_waitcnt lgkmcnt(0)
	s_barrier
	s_and_saveexec_b64 s[0:1], vcc
	s_cbranch_execz .LBB79_2
; %bb.1:
	v_lshlrev_b32_e32 v4, 2, v0
	v_lshrrev_b32_e32 v5, 3, v0
	v_add_lshl_u32 v8, v5, v4, 2
	ds_read2_b32 v[4:5], v8 offset1:1
	ds_read2_b32 v[6:7], v8 offset0:2 offset1:3
	v_mbcnt_lo_u32_b32 v9, -1, 0
	v_mbcnt_hi_u32_b32 v9, -1, v9
	v_and_b32_e32 v11, 15, v9
	s_waitcnt lgkmcnt(1)
	v_add_u32_e32 v10, v5, v4
	s_waitcnt lgkmcnt(0)
	v_add3_u32 v10, v10, v6, v7
	v_cmp_ne_u32_e32 vcc, 0, v11
	s_nop 0
	v_mov_b32_dpp v12, v10 row_shr:1 row_mask:0xf bank_mask:0xf
	v_cndmask_b32_e32 v12, 0, v12, vcc
	v_add_u32_e32 v10, v12, v10
	v_cmp_lt_u32_e32 vcc, 1, v11
	s_nop 0
	v_mov_b32_dpp v12, v10 row_shr:2 row_mask:0xf bank_mask:0xf
	v_cndmask_b32_e32 v12, 0, v12, vcc
	v_add_u32_e32 v10, v10, v12
	v_cmp_lt_u32_e32 vcc, 3, v11
	;; [unrolled: 5-line block ×3, first 2 shown]
	s_nop 0
	v_mov_b32_dpp v12, v10 row_shr:8 row_mask:0xf bank_mask:0xf
	v_cndmask_b32_e32 v11, 0, v12, vcc
	v_add_u32_e32 v10, v10, v11
	v_bfe_i32 v12, v9, 4, 1
	v_cmp_lt_u32_e32 vcc, 31, v9
	v_mov_b32_dpp v11, v10 row_bcast:15 row_mask:0xf bank_mask:0xf
	v_and_b32_e32 v11, v12, v11
	v_add_u32_e32 v10, v10, v11
	v_and_b32_e32 v12, 64, v9
	s_nop 0
	v_mov_b32_dpp v11, v10 row_bcast:31 row_mask:0xf bank_mask:0xf
	v_cndmask_b32_e32 v11, 0, v11, vcc
	v_add_u32_e32 v10, v10, v11
	v_add_u32_e32 v11, -1, v9
	v_cmp_lt_i32_e32 vcc, v11, v12
	v_cndmask_b32_e32 v9, v11, v9, vcc
	v_lshlrev_b32_e32 v9, 2, v9
	ds_bpermute_b32 v9, v9, v10
	v_cmp_eq_u32_e32 vcc, 0, v0
	s_waitcnt lgkmcnt(0)
	v_add_u32_e32 v4, v9, v4
	v_cndmask_b32_e32 v1, v4, v1, vcc
	v_add_u32_e32 v4, v1, v5
	ds_write2_b32 v8, v1, v4 offset1:1
	v_add_u32_e32 v1, v4, v6
	v_add_u32_e32 v4, v1, v7
	ds_write2_b32 v8, v1, v4 offset0:2 offset1:3
.LBB79_2:
	s_or_b64 exec, exec, s[0:1]
	s_load_dword s2, s[4:5], 0x8
	v_cmp_ne_u32_e32 vcc, 0, v0
	s_waitcnt lgkmcnt(0)
	s_barrier
	v_mov_b32_e32 v1, s2
	s_and_saveexec_b64 s[0:1], vcc
	s_cbranch_execz .LBB79_4
; %bb.3:
	v_add_u32_e32 v0, -1, v0
	v_lshrrev_b32_e32 v1, 5, v0
	v_add_lshl_u32 v0, v1, v0, 2
	ds_read_b32 v0, v0
	s_waitcnt lgkmcnt(0)
	v_add_u32_e32 v1, s2, v0
.LBB79_4:
	s_or_b64 exec, exec, s[0:1]
	global_store_dword v[2:3], v1, off
	s_endpgm
	.section	.rodata,"a",@progbits
	.p2align	6, 0x0
	.amdhsa_kernel _Z21exclusive_scan_kernelILj256ELN6hipcub18BlockScanAlgorithmE1EiEvPT1_S2_
		.amdhsa_group_segment_fixed_size 1056
		.amdhsa_private_segment_fixed_size 0
		.amdhsa_kernarg_size 12
		.amdhsa_user_sgpr_count 6
		.amdhsa_user_sgpr_private_segment_buffer 1
		.amdhsa_user_sgpr_dispatch_ptr 0
		.amdhsa_user_sgpr_queue_ptr 0
		.amdhsa_user_sgpr_kernarg_segment_ptr 1
		.amdhsa_user_sgpr_dispatch_id 0
		.amdhsa_user_sgpr_flat_scratch_init 0
		.amdhsa_user_sgpr_kernarg_preload_length 0
		.amdhsa_user_sgpr_kernarg_preload_offset 0
		.amdhsa_user_sgpr_private_segment_size 0
		.amdhsa_uses_dynamic_stack 0
		.amdhsa_system_sgpr_private_segment_wavefront_offset 0
		.amdhsa_system_sgpr_workgroup_id_x 1
		.amdhsa_system_sgpr_workgroup_id_y 0
		.amdhsa_system_sgpr_workgroup_id_z 0
		.amdhsa_system_sgpr_workgroup_info 0
		.amdhsa_system_vgpr_workitem_id 0
		.amdhsa_next_free_vgpr 13
		.amdhsa_next_free_sgpr 7
		.amdhsa_accum_offset 16
		.amdhsa_reserve_vcc 1
		.amdhsa_reserve_flat_scratch 0
		.amdhsa_float_round_mode_32 0
		.amdhsa_float_round_mode_16_64 0
		.amdhsa_float_denorm_mode_32 3
		.amdhsa_float_denorm_mode_16_64 3
		.amdhsa_dx10_clamp 1
		.amdhsa_ieee_mode 1
		.amdhsa_fp16_overflow 0
		.amdhsa_tg_split 0
		.amdhsa_exception_fp_ieee_invalid_op 0
		.amdhsa_exception_fp_denorm_src 0
		.amdhsa_exception_fp_ieee_div_zero 0
		.amdhsa_exception_fp_ieee_overflow 0
		.amdhsa_exception_fp_ieee_underflow 0
		.amdhsa_exception_fp_ieee_inexact 0
		.amdhsa_exception_int_div_zero 0
	.end_amdhsa_kernel
	.section	.text._Z21exclusive_scan_kernelILj256ELN6hipcub18BlockScanAlgorithmE1EiEvPT1_S2_,"axG",@progbits,_Z21exclusive_scan_kernelILj256ELN6hipcub18BlockScanAlgorithmE1EiEvPT1_S2_,comdat
.Lfunc_end79:
	.size	_Z21exclusive_scan_kernelILj256ELN6hipcub18BlockScanAlgorithmE1EiEvPT1_S2_, .Lfunc_end79-_Z21exclusive_scan_kernelILj256ELN6hipcub18BlockScanAlgorithmE1EiEvPT1_S2_
                                        ; -- End function
	.section	.AMDGPU.csdata,"",@progbits
; Kernel info:
; codeLenInByte = 468
; NumSgprs: 11
; NumVgprs: 13
; NumAgprs: 0
; TotalNumVgprs: 13
; ScratchSize: 0
; MemoryBound: 0
; FloatMode: 240
; IeeeMode: 1
; LDSByteSize: 1056 bytes/workgroup (compile time only)
; SGPRBlocks: 1
; VGPRBlocks: 1
; NumSGPRsForWavesPerEU: 11
; NumVGPRsForWavesPerEU: 13
; AccumOffset: 16
; Occupancy: 8
; WaveLimiterHint : 0
; COMPUTE_PGM_RSRC2:SCRATCH_EN: 0
; COMPUTE_PGM_RSRC2:USER_SGPR: 6
; COMPUTE_PGM_RSRC2:TRAP_HANDLER: 0
; COMPUTE_PGM_RSRC2:TGID_X_EN: 1
; COMPUTE_PGM_RSRC2:TGID_Y_EN: 0
; COMPUTE_PGM_RSRC2:TGID_Z_EN: 0
; COMPUTE_PGM_RSRC2:TIDIG_COMP_CNT: 0
; COMPUTE_PGM_RSRC3_GFX90A:ACCUM_OFFSET: 3
; COMPUTE_PGM_RSRC3_GFX90A:TG_SPLIT: 0
	.section	.text._Z21exclusive_scan_kernelILj128ELN6hipcub18BlockScanAlgorithmE1EiEvPT1_S2_,"axG",@progbits,_Z21exclusive_scan_kernelILj128ELN6hipcub18BlockScanAlgorithmE1EiEvPT1_S2_,comdat
	.protected	_Z21exclusive_scan_kernelILj128ELN6hipcub18BlockScanAlgorithmE1EiEvPT1_S2_ ; -- Begin function _Z21exclusive_scan_kernelILj128ELN6hipcub18BlockScanAlgorithmE1EiEvPT1_S2_
	.globl	_Z21exclusive_scan_kernelILj128ELN6hipcub18BlockScanAlgorithmE1EiEvPT1_S2_
	.p2align	8
	.type	_Z21exclusive_scan_kernelILj128ELN6hipcub18BlockScanAlgorithmE1EiEvPT1_S2_,@function
_Z21exclusive_scan_kernelILj128ELN6hipcub18BlockScanAlgorithmE1EiEvPT1_S2_: ; @_Z21exclusive_scan_kernelILj128ELN6hipcub18BlockScanAlgorithmE1EiEvPT1_S2_
; %bb.0:
	s_load_dwordx2 s[0:1], s[4:5], 0x0
	v_lshl_or_b32 v2, s6, 7, v0
	v_mov_b32_e32 v3, 0
	v_lshlrev_b64 v[2:3], 2, v[2:3]
	v_lshrrev_b32_e32 v4, 5, v0
	s_waitcnt lgkmcnt(0)
	v_mov_b32_e32 v1, s1
	v_add_co_u32_e32 v2, vcc, s0, v2
	v_addc_co_u32_e32 v3, vcc, v1, v3, vcc
	global_load_dword v1, v[2:3], off
	v_add_lshl_u32 v4, v4, v0, 2
	v_cmp_gt_u32_e32 vcc, 64, v0
	s_waitcnt vmcnt(0)
	ds_write_b32 v4, v1
	s_waitcnt lgkmcnt(0)
	s_barrier
	s_and_saveexec_b64 s[0:1], vcc
	s_cbranch_execz .LBB80_2
; %bb.1:
	v_lshlrev_b32_e32 v4, 1, v0
	v_lshrrev_b32_e32 v5, 4, v0
	v_add_lshl_u32 v6, v5, v4, 2
	ds_read2_b32 v[4:5], v6 offset1:1
	v_mbcnt_lo_u32_b32 v7, -1, 0
	v_mbcnt_hi_u32_b32 v7, -1, v7
	v_and_b32_e32 v8, 15, v7
	v_cmp_ne_u32_e32 vcc, 0, v8
	s_waitcnt lgkmcnt(0)
	v_add_u32_e32 v9, v5, v4
	s_nop 1
	v_mov_b32_dpp v10, v9 row_shr:1 row_mask:0xf bank_mask:0xf
	v_cndmask_b32_e32 v10, 0, v10, vcc
	v_add_u32_e32 v9, v10, v9
	v_cmp_lt_u32_e32 vcc, 1, v8
	s_nop 0
	v_mov_b32_dpp v10, v9 row_shr:2 row_mask:0xf bank_mask:0xf
	v_cndmask_b32_e32 v10, 0, v10, vcc
	v_add_u32_e32 v9, v9, v10
	v_cmp_lt_u32_e32 vcc, 3, v8
	;; [unrolled: 5-line block ×3, first 2 shown]
	s_nop 0
	v_mov_b32_dpp v10, v9 row_shr:8 row_mask:0xf bank_mask:0xf
	v_cndmask_b32_e32 v8, 0, v10, vcc
	v_add_u32_e32 v8, v9, v8
	v_bfe_i32 v10, v7, 4, 1
	v_cmp_lt_u32_e32 vcc, 31, v7
	v_mov_b32_dpp v9, v8 row_bcast:15 row_mask:0xf bank_mask:0xf
	v_and_b32_e32 v9, v10, v9
	v_add_u32_e32 v8, v8, v9
	v_and_b32_e32 v10, 64, v7
	s_nop 0
	v_mov_b32_dpp v9, v8 row_bcast:31 row_mask:0xf bank_mask:0xf
	v_cndmask_b32_e32 v9, 0, v9, vcc
	v_add_u32_e32 v8, v8, v9
	v_add_u32_e32 v9, -1, v7
	v_cmp_lt_i32_e32 vcc, v9, v10
	v_cndmask_b32_e32 v7, v9, v7, vcc
	v_lshlrev_b32_e32 v7, 2, v7
	ds_bpermute_b32 v7, v7, v8
	v_cmp_eq_u32_e32 vcc, 0, v0
	s_waitcnt lgkmcnt(0)
	v_add_u32_e32 v4, v7, v4
	v_cndmask_b32_e32 v1, v4, v1, vcc
	v_add_u32_e32 v4, v1, v5
	ds_write2_b32 v6, v1, v4 offset1:1
.LBB80_2:
	s_or_b64 exec, exec, s[0:1]
	s_load_dword s2, s[4:5], 0x8
	v_cmp_ne_u32_e32 vcc, 0, v0
	s_waitcnt lgkmcnt(0)
	s_barrier
	v_mov_b32_e32 v1, s2
	s_and_saveexec_b64 s[0:1], vcc
	s_cbranch_execz .LBB80_4
; %bb.3:
	v_add_u32_e32 v0, -1, v0
	v_lshrrev_b32_e32 v1, 5, v0
	v_add_lshl_u32 v0, v1, v0, 2
	ds_read_b32 v0, v0
	s_waitcnt lgkmcnt(0)
	v_add_u32_e32 v1, s2, v0
.LBB80_4:
	s_or_b64 exec, exec, s[0:1]
	global_store_dword v[2:3], v1, off
	s_endpgm
	.section	.rodata,"a",@progbits
	.p2align	6, 0x0
	.amdhsa_kernel _Z21exclusive_scan_kernelILj128ELN6hipcub18BlockScanAlgorithmE1EiEvPT1_S2_
		.amdhsa_group_segment_fixed_size 528
		.amdhsa_private_segment_fixed_size 0
		.amdhsa_kernarg_size 12
		.amdhsa_user_sgpr_count 6
		.amdhsa_user_sgpr_private_segment_buffer 1
		.amdhsa_user_sgpr_dispatch_ptr 0
		.amdhsa_user_sgpr_queue_ptr 0
		.amdhsa_user_sgpr_kernarg_segment_ptr 1
		.amdhsa_user_sgpr_dispatch_id 0
		.amdhsa_user_sgpr_flat_scratch_init 0
		.amdhsa_user_sgpr_kernarg_preload_length 0
		.amdhsa_user_sgpr_kernarg_preload_offset 0
		.amdhsa_user_sgpr_private_segment_size 0
		.amdhsa_uses_dynamic_stack 0
		.amdhsa_system_sgpr_private_segment_wavefront_offset 0
		.amdhsa_system_sgpr_workgroup_id_x 1
		.amdhsa_system_sgpr_workgroup_id_y 0
		.amdhsa_system_sgpr_workgroup_id_z 0
		.amdhsa_system_sgpr_workgroup_info 0
		.amdhsa_system_vgpr_workitem_id 0
		.amdhsa_next_free_vgpr 11
		.amdhsa_next_free_sgpr 7
		.amdhsa_accum_offset 12
		.amdhsa_reserve_vcc 1
		.amdhsa_reserve_flat_scratch 0
		.amdhsa_float_round_mode_32 0
		.amdhsa_float_round_mode_16_64 0
		.amdhsa_float_denorm_mode_32 3
		.amdhsa_float_denorm_mode_16_64 3
		.amdhsa_dx10_clamp 1
		.amdhsa_ieee_mode 1
		.amdhsa_fp16_overflow 0
		.amdhsa_tg_split 0
		.amdhsa_exception_fp_ieee_invalid_op 0
		.amdhsa_exception_fp_denorm_src 0
		.amdhsa_exception_fp_ieee_div_zero 0
		.amdhsa_exception_fp_ieee_overflow 0
		.amdhsa_exception_fp_ieee_underflow 0
		.amdhsa_exception_fp_ieee_inexact 0
		.amdhsa_exception_int_div_zero 0
	.end_amdhsa_kernel
	.section	.text._Z21exclusive_scan_kernelILj128ELN6hipcub18BlockScanAlgorithmE1EiEvPT1_S2_,"axG",@progbits,_Z21exclusive_scan_kernelILj128ELN6hipcub18BlockScanAlgorithmE1EiEvPT1_S2_,comdat
.Lfunc_end80:
	.size	_Z21exclusive_scan_kernelILj128ELN6hipcub18BlockScanAlgorithmE1EiEvPT1_S2_, .Lfunc_end80-_Z21exclusive_scan_kernelILj128ELN6hipcub18BlockScanAlgorithmE1EiEvPT1_S2_
                                        ; -- End function
	.section	.AMDGPU.csdata,"",@progbits
; Kernel info:
; codeLenInByte = 432
; NumSgprs: 11
; NumVgprs: 11
; NumAgprs: 0
; TotalNumVgprs: 11
; ScratchSize: 0
; MemoryBound: 0
; FloatMode: 240
; IeeeMode: 1
; LDSByteSize: 528 bytes/workgroup (compile time only)
; SGPRBlocks: 1
; VGPRBlocks: 1
; NumSGPRsForWavesPerEU: 11
; NumVGPRsForWavesPerEU: 11
; AccumOffset: 12
; Occupancy: 8
; WaveLimiterHint : 0
; COMPUTE_PGM_RSRC2:SCRATCH_EN: 0
; COMPUTE_PGM_RSRC2:USER_SGPR: 6
; COMPUTE_PGM_RSRC2:TRAP_HANDLER: 0
; COMPUTE_PGM_RSRC2:TGID_X_EN: 1
; COMPUTE_PGM_RSRC2:TGID_Y_EN: 0
; COMPUTE_PGM_RSRC2:TGID_Z_EN: 0
; COMPUTE_PGM_RSRC2:TIDIG_COMP_CNT: 0
; COMPUTE_PGM_RSRC3_GFX90A:ACCUM_OFFSET: 2
; COMPUTE_PGM_RSRC3_GFX90A:TG_SPLIT: 0
	.section	.text._Z21exclusive_scan_kernelILj64ELN6hipcub18BlockScanAlgorithmE1EiEvPT1_S2_,"axG",@progbits,_Z21exclusive_scan_kernelILj64ELN6hipcub18BlockScanAlgorithmE1EiEvPT1_S2_,comdat
	.protected	_Z21exclusive_scan_kernelILj64ELN6hipcub18BlockScanAlgorithmE1EiEvPT1_S2_ ; -- Begin function _Z21exclusive_scan_kernelILj64ELN6hipcub18BlockScanAlgorithmE1EiEvPT1_S2_
	.globl	_Z21exclusive_scan_kernelILj64ELN6hipcub18BlockScanAlgorithmE1EiEvPT1_S2_
	.p2align	8
	.type	_Z21exclusive_scan_kernelILj64ELN6hipcub18BlockScanAlgorithmE1EiEvPT1_S2_,@function
_Z21exclusive_scan_kernelILj64ELN6hipcub18BlockScanAlgorithmE1EiEvPT1_S2_: ; @_Z21exclusive_scan_kernelILj64ELN6hipcub18BlockScanAlgorithmE1EiEvPT1_S2_
; %bb.0:
	s_load_dwordx2 s[0:1], s[4:5], 0x0
	v_lshl_or_b32 v4, s6, 6, v0
	v_mov_b32_e32 v5, 0
	v_lshlrev_b64 v[2:3], 2, v[4:5]
	s_waitcnt lgkmcnt(0)
	v_mov_b32_e32 v1, s1
	v_add_co_u32_e32 v2, vcc, s0, v2
	v_addc_co_u32_e32 v3, vcc, v1, v3, vcc
	global_load_dword v4, v[2:3], off
	v_mbcnt_lo_u32_b32 v1, -1, 0
	v_mbcnt_hi_u32_b32 v1, -1, v1
	v_and_b32_e32 v6, 15, v1
	v_cmp_ne_u32_e32 vcc, 0, v6
	v_bfe_i32 v7, v1, 4, 1
	s_waitcnt vmcnt(0)
	v_mov_b32_dpp v8, v4 row_shr:1 row_mask:0xf bank_mask:0xf
	v_cndmask_b32_e32 v8, 0, v8, vcc
	v_add_u32_e32 v4, v8, v4
	v_cmp_lt_u32_e32 vcc, 1, v6
	s_nop 0
	v_mov_b32_dpp v8, v4 row_shr:2 row_mask:0xf bank_mask:0xf
	v_cndmask_b32_e32 v8, 0, v8, vcc
	v_add_u32_e32 v4, v4, v8
	v_cmp_lt_u32_e32 vcc, 3, v6
	s_nop 0
	;; [unrolled: 5-line block ×4, first 2 shown]
	v_mov_b32_dpp v6, v4 row_bcast:15 row_mask:0xf bank_mask:0xf
	v_and_b32_e32 v6, v7, v6
	v_add_u32_e32 v4, v4, v6
	s_nop 1
	v_mov_b32_dpp v6, v4 row_bcast:31 row_mask:0xf bank_mask:0xf
	v_cndmask_b32_e32 v6, 0, v6, vcc
	v_add_u32_e32 v4, v4, v6
	v_cmp_eq_u32_e32 vcc, 63, v0
	s_and_saveexec_b64 s[0:1], vcc
	s_cbranch_execz .LBB81_2
; %bb.1:
	ds_write_b32 v5, v4
.LBB81_2:
	s_or_b64 exec, exec, s[0:1]
	s_load_dword s0, s[4:5], 0x8
	v_add_u32_e32 v0, -1, v1
	v_and_b32_e32 v5, 64, v1
	v_cmp_lt_i32_e32 vcc, v0, v5
	v_cndmask_b32_e32 v0, v0, v1, vcc
	s_waitcnt lgkmcnt(0)
	v_add_u32_e32 v4, s0, v4
	v_lshlrev_b32_e32 v0, 2, v0
	ds_bpermute_b32 v0, v0, v4
	v_mov_b32_e32 v4, s0
	v_cmp_eq_u32_e32 vcc, 0, v1
	s_waitcnt lgkmcnt(0)
	; wave barrier
	s_waitcnt lgkmcnt(0)
	v_cndmask_b32_e32 v0, v0, v4, vcc
	global_store_dword v[2:3], v0, off
	s_endpgm
	.section	.rodata,"a",@progbits
	.p2align	6, 0x0
	.amdhsa_kernel _Z21exclusive_scan_kernelILj64ELN6hipcub18BlockScanAlgorithmE1EiEvPT1_S2_
		.amdhsa_group_segment_fixed_size 4
		.amdhsa_private_segment_fixed_size 0
		.amdhsa_kernarg_size 12
		.amdhsa_user_sgpr_count 6
		.amdhsa_user_sgpr_private_segment_buffer 1
		.amdhsa_user_sgpr_dispatch_ptr 0
		.amdhsa_user_sgpr_queue_ptr 0
		.amdhsa_user_sgpr_kernarg_segment_ptr 1
		.amdhsa_user_sgpr_dispatch_id 0
		.amdhsa_user_sgpr_flat_scratch_init 0
		.amdhsa_user_sgpr_kernarg_preload_length 0
		.amdhsa_user_sgpr_kernarg_preload_offset 0
		.amdhsa_user_sgpr_private_segment_size 0
		.amdhsa_uses_dynamic_stack 0
		.amdhsa_system_sgpr_private_segment_wavefront_offset 0
		.amdhsa_system_sgpr_workgroup_id_x 1
		.amdhsa_system_sgpr_workgroup_id_y 0
		.amdhsa_system_sgpr_workgroup_id_z 0
		.amdhsa_system_sgpr_workgroup_info 0
		.amdhsa_system_vgpr_workitem_id 0
		.amdhsa_next_free_vgpr 9
		.amdhsa_next_free_sgpr 7
		.amdhsa_accum_offset 12
		.amdhsa_reserve_vcc 1
		.amdhsa_reserve_flat_scratch 0
		.amdhsa_float_round_mode_32 0
		.amdhsa_float_round_mode_16_64 0
		.amdhsa_float_denorm_mode_32 3
		.amdhsa_float_denorm_mode_16_64 3
		.amdhsa_dx10_clamp 1
		.amdhsa_ieee_mode 1
		.amdhsa_fp16_overflow 0
		.amdhsa_tg_split 0
		.amdhsa_exception_fp_ieee_invalid_op 0
		.amdhsa_exception_fp_denorm_src 0
		.amdhsa_exception_fp_ieee_div_zero 0
		.amdhsa_exception_fp_ieee_overflow 0
		.amdhsa_exception_fp_ieee_underflow 0
		.amdhsa_exception_fp_ieee_inexact 0
		.amdhsa_exception_int_div_zero 0
	.end_amdhsa_kernel
	.section	.text._Z21exclusive_scan_kernelILj64ELN6hipcub18BlockScanAlgorithmE1EiEvPT1_S2_,"axG",@progbits,_Z21exclusive_scan_kernelILj64ELN6hipcub18BlockScanAlgorithmE1EiEvPT1_S2_,comdat
.Lfunc_end81:
	.size	_Z21exclusive_scan_kernelILj64ELN6hipcub18BlockScanAlgorithmE1EiEvPT1_S2_, .Lfunc_end81-_Z21exclusive_scan_kernelILj64ELN6hipcub18BlockScanAlgorithmE1EiEvPT1_S2_
                                        ; -- End function
	.section	.AMDGPU.csdata,"",@progbits
; Kernel info:
; codeLenInByte = 320
; NumSgprs: 11
; NumVgprs: 9
; NumAgprs: 0
; TotalNumVgprs: 9
; ScratchSize: 0
; MemoryBound: 0
; FloatMode: 240
; IeeeMode: 1
; LDSByteSize: 4 bytes/workgroup (compile time only)
; SGPRBlocks: 1
; VGPRBlocks: 1
; NumSGPRsForWavesPerEU: 11
; NumVGPRsForWavesPerEU: 9
; AccumOffset: 12
; Occupancy: 8
; WaveLimiterHint : 0
; COMPUTE_PGM_RSRC2:SCRATCH_EN: 0
; COMPUTE_PGM_RSRC2:USER_SGPR: 6
; COMPUTE_PGM_RSRC2:TRAP_HANDLER: 0
; COMPUTE_PGM_RSRC2:TGID_X_EN: 1
; COMPUTE_PGM_RSRC2:TGID_Y_EN: 0
; COMPUTE_PGM_RSRC2:TGID_Z_EN: 0
; COMPUTE_PGM_RSRC2:TIDIG_COMP_CNT: 0
; COMPUTE_PGM_RSRC3_GFX90A:ACCUM_OFFSET: 2
; COMPUTE_PGM_RSRC3_GFX90A:TG_SPLIT: 0
	.section	.text._Z21exclusive_scan_kernelILj377ELN6hipcub18BlockScanAlgorithmE0ElEvPT1_S2_,"axG",@progbits,_Z21exclusive_scan_kernelILj377ELN6hipcub18BlockScanAlgorithmE0ElEvPT1_S2_,comdat
	.protected	_Z21exclusive_scan_kernelILj377ELN6hipcub18BlockScanAlgorithmE0ElEvPT1_S2_ ; -- Begin function _Z21exclusive_scan_kernelILj377ELN6hipcub18BlockScanAlgorithmE0ElEvPT1_S2_
	.globl	_Z21exclusive_scan_kernelILj377ELN6hipcub18BlockScanAlgorithmE0ElEvPT1_S2_
	.p2align	8
	.type	_Z21exclusive_scan_kernelILj377ELN6hipcub18BlockScanAlgorithmE0ElEvPT1_S2_,@function
_Z21exclusive_scan_kernelILj377ELN6hipcub18BlockScanAlgorithmE0ElEvPT1_S2_: ; @_Z21exclusive_scan_kernelILj377ELN6hipcub18BlockScanAlgorithmE0ElEvPT1_S2_
; %bb.0:
	s_load_dwordx4 s[8:11], s[4:5], 0x0
	s_mulk_i32 s6, 0x179
	v_add_u32_e32 v2, s6, v0
	v_mov_b32_e32 v3, 0
	v_lshlrev_b64 v[2:3], 3, v[2:3]
	s_waitcnt lgkmcnt(0)
	v_mov_b32_e32 v1, s9
	v_add_co_u32_e32 v2, vcc, s8, v2
	v_addc_co_u32_e32 v3, vcc, v1, v3, vcc
	global_load_dwordx2 v[4:5], v[2:3], off
	v_mbcnt_lo_u32_b32 v1, -1, 0
	v_mbcnt_hi_u32_b32 v7, -1, v1
	v_and_b32_e32 v1, 15, v7
	v_and_b32_e32 v9, 16, v7
	v_cmp_eq_u32_e32 vcc, 0, v7
	v_cmp_ne_u32_e64 s[2:3], 0, v7
	s_waitcnt vmcnt(0)
	v_mov_b32_dpp v6, v4 row_shr:1 row_mask:0xf bank_mask:0xf
	v_add_co_u32_e64 v6, s[0:1], v4, v6
	v_addc_co_u32_e64 v10, s[0:1], 0, v5, s[0:1]
	v_mov_b32_dpp v8, v5 row_shr:1 row_mask:0xf bank_mask:0xf
	v_add_co_u32_e64 v11, s[0:1], 0, v6
	v_addc_co_u32_e64 v8, s[0:1], v8, v10, s[0:1]
	v_cmp_eq_u32_e64 s[0:1], 0, v1
	v_cndmask_b32_e64 v6, v6, v4, s[0:1]
	v_cndmask_b32_e64 v8, v8, v5, s[0:1]
	v_cndmask_b32_e64 v10, v11, v4, s[0:1]
	v_mov_b32_dpp v11, v6 row_shr:2 row_mask:0xf bank_mask:0xf
	v_mov_b32_dpp v12, v8 row_shr:2 row_mask:0xf bank_mask:0xf
	v_add_co_u32_e64 v11, s[0:1], v11, v10
	v_addc_co_u32_e64 v12, s[0:1], v12, v8, s[0:1]
	v_cmp_lt_u32_e64 s[0:1], 1, v1
	v_cndmask_b32_e64 v6, v6, v11, s[0:1]
	v_cndmask_b32_e64 v8, v8, v12, s[0:1]
	v_cndmask_b32_e64 v10, v10, v11, s[0:1]
	v_mov_b32_dpp v11, v6 row_shr:4 row_mask:0xf bank_mask:0xf
	v_mov_b32_dpp v12, v8 row_shr:4 row_mask:0xf bank_mask:0xf
	v_add_co_u32_e64 v11, s[0:1], v11, v10
	v_addc_co_u32_e64 v12, s[0:1], v12, v8, s[0:1]
	v_cmp_lt_u32_e64 s[0:1], 3, v1
	;; [unrolled: 8-line block ×3, first 2 shown]
	v_cndmask_b32_e64 v13, v6, v11, s[0:1]
	v_cndmask_b32_e64 v1, v8, v12, s[0:1]
	;; [unrolled: 1-line block ×3, first 2 shown]
	v_mov_b32_dpp v8, v13 row_bcast:15 row_mask:0xf bank_mask:0xf
	v_mov_b32_dpp v10, v1 row_bcast:15 row_mask:0xf bank_mask:0xf
	v_add_co_u32_e64 v8, s[0:1], v8, v6
	v_addc_co_u32_e64 v10, s[0:1], v10, v1, s[0:1]
	v_cmp_eq_u32_e64 s[0:1], 0, v9
	v_cndmask_b32_e64 v11, v10, v1, s[0:1]
	v_cndmask_b32_e64 v9, v8, v13, s[0:1]
	s_nop 0
	v_mov_b32_dpp v11, v11 row_bcast:31 row_mask:0xf bank_mask:0xf
	v_mov_b32_dpp v9, v9 row_bcast:31 row_mask:0xf bank_mask:0xf
	s_and_saveexec_b64 s[4:5], s[2:3]
; %bb.1:
	v_cndmask_b32_e64 v1, v10, v1, s[0:1]
	v_cndmask_b32_e64 v4, v8, v6, s[0:1]
	v_cmp_lt_u32_e64 s[0:1], 31, v7
	v_cndmask_b32_e64 v6, 0, v9, s[0:1]
	v_cndmask_b32_e64 v5, 0, v11, s[0:1]
	v_add_co_u32_e64 v4, s[0:1], v6, v4
	v_addc_co_u32_e64 v5, s[0:1], v5, v1, s[0:1]
; %bb.2:
	s_or_b64 exec, exec, s[4:5]
	v_and_b32_e32 v1, 0x1c0, v0
	v_min_u32_e32 v1, 0x139, v1
	v_add_u32_e32 v1, 63, v1
	v_lshrrev_b32_e32 v6, 6, v0
	v_cmp_eq_u32_e64 s[0:1], v1, v0
	s_and_saveexec_b64 s[2:3], s[0:1]
	s_cbranch_execz .LBB82_4
; %bb.3:
	v_lshlrev_b32_e32 v1, 3, v6
	ds_write_b64 v1, v[4:5]
.LBB82_4:
	s_or_b64 exec, exec, s[2:3]
	v_cmp_gt_u32_e64 s[0:1], 6, v0
	s_waitcnt lgkmcnt(0)
	s_barrier
	s_and_saveexec_b64 s[2:3], s[0:1]
	s_cbranch_execz .LBB82_6
; %bb.5:
	v_lshlrev_b32_e32 v1, 3, v0
	ds_read_b64 v[8:9], v1
	v_and_b32_e32 v10, 7, v7
	s_waitcnt lgkmcnt(0)
	v_mov_b32_dpp v11, v8 row_shr:1 row_mask:0xf bank_mask:0xf
	v_add_co_u32_e64 v11, s[0:1], v8, v11
	v_addc_co_u32_e64 v13, s[0:1], 0, v9, s[0:1]
	v_mov_b32_dpp v12, v9 row_shr:1 row_mask:0xf bank_mask:0xf
	v_add_co_u32_e64 v14, s[0:1], 0, v11
	v_addc_co_u32_e64 v12, s[0:1], v12, v13, s[0:1]
	v_cmp_eq_u32_e64 s[0:1], 0, v10
	v_cndmask_b32_e64 v9, v12, v9, s[0:1]
	v_cndmask_b32_e64 v12, v14, v8, s[0:1]
	;; [unrolled: 1-line block ×3, first 2 shown]
	v_mov_b32_dpp v13, v9 row_shr:2 row_mask:0xf bank_mask:0xf
	s_nop 0
	v_mov_b32_dpp v11, v8 row_shr:2 row_mask:0xf bank_mask:0xf
	v_add_co_u32_e64 v11, s[0:1], v12, v11
	v_addc_co_u32_e64 v14, s[0:1], 0, v9, s[0:1]
	v_add_co_u32_e64 v15, s[0:1], 0, v11
	v_addc_co_u32_e64 v13, s[0:1], v14, v13, s[0:1]
	v_cmp_lt_u32_e64 s[0:1], 1, v10
	v_cndmask_b32_e64 v8, v8, v11, s[0:1]
	v_cndmask_b32_e64 v9, v9, v13, s[0:1]
	;; [unrolled: 1-line block ×3, first 2 shown]
	v_mov_b32_dpp v8, v8 row_shr:4 row_mask:0xf bank_mask:0xf
	v_cmp_lt_u32_e64 s[0:1], 3, v10
	v_mov_b32_dpp v11, v9 row_shr:4 row_mask:0xf bank_mask:0xf
	v_cndmask_b32_e64 v8, 0, v8, s[0:1]
	v_cndmask_b32_e64 v10, 0, v11, s[0:1]
	v_add_co_u32_e64 v8, s[0:1], v8, v12
	v_addc_co_u32_e64 v9, s[0:1], v10, v9, s[0:1]
	ds_write_b64 v1, v[8:9]
.LBB82_6:
	s_or_b64 exec, exec, s[2:3]
	v_cmp_lt_u32_e64 s[0:1], 63, v0
	v_pk_mov_b32 v[0:1], s[10:11], s[10:11] op_sel:[0,1]
	s_waitcnt lgkmcnt(0)
	s_barrier
	s_and_saveexec_b64 s[2:3], s[0:1]
	s_cbranch_execz .LBB82_8
; %bb.7:
	v_lshl_add_u32 v0, v6, 3, -8
	ds_read_b64 v[0:1], v0
	v_mov_b32_e32 v6, s11
	s_waitcnt lgkmcnt(0)
	v_add_co_u32_e64 v0, s[0:1], s10, v0
	v_addc_co_u32_e64 v1, s[0:1], v1, v6, s[0:1]
.LBB82_8:
	s_or_b64 exec, exec, s[2:3]
	v_add_co_u32_e64 v4, s[0:1], v0, v4
	v_addc_co_u32_e64 v5, s[0:1], v1, v5, s[0:1]
	v_add_u32_e32 v6, -1, v7
	v_and_b32_e32 v8, 64, v7
	v_cmp_lt_i32_e64 s[0:1], v6, v8
	v_cndmask_b32_e64 v6, v6, v7, s[0:1]
	v_lshlrev_b32_e32 v6, 2, v6
	ds_bpermute_b32 v5, v6, v5
	ds_bpermute_b32 v4, v6, v4
	s_waitcnt lgkmcnt(1)
	v_cndmask_b32_e32 v1, v5, v1, vcc
	s_waitcnt lgkmcnt(0)
	v_cndmask_b32_e32 v0, v4, v0, vcc
	global_store_dwordx2 v[2:3], v[0:1], off
	s_endpgm
	.section	.rodata,"a",@progbits
	.p2align	6, 0x0
	.amdhsa_kernel _Z21exclusive_scan_kernelILj377ELN6hipcub18BlockScanAlgorithmE0ElEvPT1_S2_
		.amdhsa_group_segment_fixed_size 48
		.amdhsa_private_segment_fixed_size 0
		.amdhsa_kernarg_size 16
		.amdhsa_user_sgpr_count 6
		.amdhsa_user_sgpr_private_segment_buffer 1
		.amdhsa_user_sgpr_dispatch_ptr 0
		.amdhsa_user_sgpr_queue_ptr 0
		.amdhsa_user_sgpr_kernarg_segment_ptr 1
		.amdhsa_user_sgpr_dispatch_id 0
		.amdhsa_user_sgpr_flat_scratch_init 0
		.amdhsa_user_sgpr_kernarg_preload_length 0
		.amdhsa_user_sgpr_kernarg_preload_offset 0
		.amdhsa_user_sgpr_private_segment_size 0
		.amdhsa_uses_dynamic_stack 0
		.amdhsa_system_sgpr_private_segment_wavefront_offset 0
		.amdhsa_system_sgpr_workgroup_id_x 1
		.amdhsa_system_sgpr_workgroup_id_y 0
		.amdhsa_system_sgpr_workgroup_id_z 0
		.amdhsa_system_sgpr_workgroup_info 0
		.amdhsa_system_vgpr_workitem_id 0
		.amdhsa_next_free_vgpr 16
		.amdhsa_next_free_sgpr 12
		.amdhsa_accum_offset 16
		.amdhsa_reserve_vcc 1
		.amdhsa_reserve_flat_scratch 0
		.amdhsa_float_round_mode_32 0
		.amdhsa_float_round_mode_16_64 0
		.amdhsa_float_denorm_mode_32 3
		.amdhsa_float_denorm_mode_16_64 3
		.amdhsa_dx10_clamp 1
		.amdhsa_ieee_mode 1
		.amdhsa_fp16_overflow 0
		.amdhsa_tg_split 0
		.amdhsa_exception_fp_ieee_invalid_op 0
		.amdhsa_exception_fp_denorm_src 0
		.amdhsa_exception_fp_ieee_div_zero 0
		.amdhsa_exception_fp_ieee_overflow 0
		.amdhsa_exception_fp_ieee_underflow 0
		.amdhsa_exception_fp_ieee_inexact 0
		.amdhsa_exception_int_div_zero 0
	.end_amdhsa_kernel
	.section	.text._Z21exclusive_scan_kernelILj377ELN6hipcub18BlockScanAlgorithmE0ElEvPT1_S2_,"axG",@progbits,_Z21exclusive_scan_kernelILj377ELN6hipcub18BlockScanAlgorithmE0ElEvPT1_S2_,comdat
.Lfunc_end82:
	.size	_Z21exclusive_scan_kernelILj377ELN6hipcub18BlockScanAlgorithmE0ElEvPT1_S2_, .Lfunc_end82-_Z21exclusive_scan_kernelILj377ELN6hipcub18BlockScanAlgorithmE0ElEvPT1_S2_
                                        ; -- End function
	.section	.AMDGPU.csdata,"",@progbits
; Kernel info:
; codeLenInByte = 1000
; NumSgprs: 16
; NumVgprs: 16
; NumAgprs: 0
; TotalNumVgprs: 16
; ScratchSize: 0
; MemoryBound: 0
; FloatMode: 240
; IeeeMode: 1
; LDSByteSize: 48 bytes/workgroup (compile time only)
; SGPRBlocks: 1
; VGPRBlocks: 1
; NumSGPRsForWavesPerEU: 16
; NumVGPRsForWavesPerEU: 16
; AccumOffset: 16
; Occupancy: 8
; WaveLimiterHint : 0
; COMPUTE_PGM_RSRC2:SCRATCH_EN: 0
; COMPUTE_PGM_RSRC2:USER_SGPR: 6
; COMPUTE_PGM_RSRC2:TRAP_HANDLER: 0
; COMPUTE_PGM_RSRC2:TGID_X_EN: 1
; COMPUTE_PGM_RSRC2:TGID_Y_EN: 0
; COMPUTE_PGM_RSRC2:TGID_Z_EN: 0
; COMPUTE_PGM_RSRC2:TIDIG_COMP_CNT: 0
; COMPUTE_PGM_RSRC3_GFX90A:ACCUM_OFFSET: 3
; COMPUTE_PGM_RSRC3_GFX90A:TG_SPLIT: 0
	.section	.text._Z21exclusive_scan_kernelILj256ELN6hipcub18BlockScanAlgorithmE0ElEvPT1_S2_,"axG",@progbits,_Z21exclusive_scan_kernelILj256ELN6hipcub18BlockScanAlgorithmE0ElEvPT1_S2_,comdat
	.protected	_Z21exclusive_scan_kernelILj256ELN6hipcub18BlockScanAlgorithmE0ElEvPT1_S2_ ; -- Begin function _Z21exclusive_scan_kernelILj256ELN6hipcub18BlockScanAlgorithmE0ElEvPT1_S2_
	.globl	_Z21exclusive_scan_kernelILj256ELN6hipcub18BlockScanAlgorithmE0ElEvPT1_S2_
	.p2align	8
	.type	_Z21exclusive_scan_kernelILj256ELN6hipcub18BlockScanAlgorithmE0ElEvPT1_S2_,@function
_Z21exclusive_scan_kernelILj256ELN6hipcub18BlockScanAlgorithmE0ElEvPT1_S2_: ; @_Z21exclusive_scan_kernelILj256ELN6hipcub18BlockScanAlgorithmE0ElEvPT1_S2_
; %bb.0:
	s_load_dwordx4 s[8:11], s[4:5], 0x0
	v_lshl_or_b32 v2, s6, 8, v0
	v_mov_b32_e32 v3, 0
	v_lshlrev_b64 v[2:3], 3, v[2:3]
	s_waitcnt lgkmcnt(0)
	v_mov_b32_e32 v1, s9
	v_add_co_u32_e32 v2, vcc, s8, v2
	v_addc_co_u32_e32 v3, vcc, v1, v3, vcc
	global_load_dwordx2 v[4:5], v[2:3], off
	v_mbcnt_lo_u32_b32 v1, -1, 0
	v_mbcnt_hi_u32_b32 v7, -1, v1
	v_and_b32_e32 v1, 15, v7
	v_and_b32_e32 v9, 16, v7
	v_cmp_eq_u32_e32 vcc, 0, v7
	v_cmp_ne_u32_e64 s[2:3], 0, v7
	s_waitcnt vmcnt(0)
	v_mov_b32_dpp v6, v4 row_shr:1 row_mask:0xf bank_mask:0xf
	v_add_co_u32_e64 v6, s[0:1], v4, v6
	v_addc_co_u32_e64 v10, s[0:1], 0, v5, s[0:1]
	v_mov_b32_dpp v8, v5 row_shr:1 row_mask:0xf bank_mask:0xf
	v_add_co_u32_e64 v11, s[0:1], 0, v6
	v_addc_co_u32_e64 v8, s[0:1], v8, v10, s[0:1]
	v_cmp_eq_u32_e64 s[0:1], 0, v1
	v_cndmask_b32_e64 v6, v6, v4, s[0:1]
	v_cndmask_b32_e64 v8, v8, v5, s[0:1]
	v_cndmask_b32_e64 v10, v11, v4, s[0:1]
	v_mov_b32_dpp v11, v6 row_shr:2 row_mask:0xf bank_mask:0xf
	v_mov_b32_dpp v12, v8 row_shr:2 row_mask:0xf bank_mask:0xf
	v_add_co_u32_e64 v11, s[0:1], v11, v10
	v_addc_co_u32_e64 v12, s[0:1], v12, v8, s[0:1]
	v_cmp_lt_u32_e64 s[0:1], 1, v1
	v_cndmask_b32_e64 v6, v6, v11, s[0:1]
	v_cndmask_b32_e64 v8, v8, v12, s[0:1]
	v_cndmask_b32_e64 v10, v10, v11, s[0:1]
	v_mov_b32_dpp v11, v6 row_shr:4 row_mask:0xf bank_mask:0xf
	v_mov_b32_dpp v12, v8 row_shr:4 row_mask:0xf bank_mask:0xf
	v_add_co_u32_e64 v11, s[0:1], v11, v10
	v_addc_co_u32_e64 v12, s[0:1], v12, v8, s[0:1]
	v_cmp_lt_u32_e64 s[0:1], 3, v1
	;; [unrolled: 8-line block ×3, first 2 shown]
	v_cndmask_b32_e64 v13, v6, v11, s[0:1]
	v_cndmask_b32_e64 v1, v8, v12, s[0:1]
	;; [unrolled: 1-line block ×3, first 2 shown]
	v_mov_b32_dpp v8, v13 row_bcast:15 row_mask:0xf bank_mask:0xf
	v_mov_b32_dpp v10, v1 row_bcast:15 row_mask:0xf bank_mask:0xf
	v_add_co_u32_e64 v8, s[0:1], v8, v6
	v_addc_co_u32_e64 v10, s[0:1], v10, v1, s[0:1]
	v_cmp_eq_u32_e64 s[0:1], 0, v9
	v_cndmask_b32_e64 v11, v10, v1, s[0:1]
	v_cndmask_b32_e64 v9, v8, v13, s[0:1]
	s_nop 0
	v_mov_b32_dpp v11, v11 row_bcast:31 row_mask:0xf bank_mask:0xf
	v_mov_b32_dpp v9, v9 row_bcast:31 row_mask:0xf bank_mask:0xf
	s_and_saveexec_b64 s[4:5], s[2:3]
; %bb.1:
	v_cndmask_b32_e64 v1, v10, v1, s[0:1]
	v_cndmask_b32_e64 v4, v8, v6, s[0:1]
	v_cmp_lt_u32_e64 s[0:1], 31, v7
	v_cndmask_b32_e64 v6, 0, v9, s[0:1]
	v_cndmask_b32_e64 v5, 0, v11, s[0:1]
	v_add_co_u32_e64 v4, s[0:1], v6, v4
	v_addc_co_u32_e64 v5, s[0:1], v5, v1, s[0:1]
; %bb.2:
	s_or_b64 exec, exec, s[4:5]
	v_or_b32_e32 v1, 63, v0
	v_lshrrev_b32_e32 v6, 6, v0
	v_cmp_eq_u32_e64 s[0:1], v1, v0
	s_and_saveexec_b64 s[2:3], s[0:1]
	s_cbranch_execz .LBB83_4
; %bb.3:
	v_lshlrev_b32_e32 v1, 3, v6
	ds_write_b64 v1, v[4:5]
.LBB83_4:
	s_or_b64 exec, exec, s[2:3]
	v_cmp_gt_u32_e64 s[0:1], 4, v0
	s_waitcnt lgkmcnt(0)
	s_barrier
	s_and_saveexec_b64 s[2:3], s[0:1]
	s_cbranch_execz .LBB83_6
; %bb.5:
	v_lshlrev_b32_e32 v1, 3, v0
	ds_read_b64 v[8:9], v1
	v_and_b32_e32 v10, 3, v7
	s_waitcnt lgkmcnt(0)
	v_mov_b32_dpp v11, v8 row_shr:1 row_mask:0xf bank_mask:0xf
	v_add_co_u32_e64 v11, s[0:1], v8, v11
	v_addc_co_u32_e64 v13, s[0:1], 0, v9, s[0:1]
	v_mov_b32_dpp v12, v9 row_shr:1 row_mask:0xf bank_mask:0xf
	v_add_co_u32_e64 v14, s[0:1], 0, v11
	v_addc_co_u32_e64 v12, s[0:1], v12, v13, s[0:1]
	v_cmp_eq_u32_e64 s[0:1], 0, v10
	v_cndmask_b32_e64 v9, v12, v9, s[0:1]
	v_cndmask_b32_e64 v12, v14, v8, s[0:1]
	;; [unrolled: 1-line block ×3, first 2 shown]
	v_cmp_lt_u32_e64 s[0:1], 1, v10
	v_mov_b32_dpp v11, v9 row_shr:2 row_mask:0xf bank_mask:0xf
	v_mov_b32_dpp v8, v8 row_shr:2 row_mask:0xf bank_mask:0xf
	v_cndmask_b32_e64 v8, 0, v8, s[0:1]
	v_cndmask_b32_e64 v10, 0, v11, s[0:1]
	v_add_co_u32_e64 v8, s[0:1], v8, v12
	v_addc_co_u32_e64 v9, s[0:1], v10, v9, s[0:1]
	ds_write_b64 v1, v[8:9]
.LBB83_6:
	s_or_b64 exec, exec, s[2:3]
	v_cmp_lt_u32_e64 s[0:1], 63, v0
	v_pk_mov_b32 v[0:1], s[10:11], s[10:11] op_sel:[0,1]
	s_waitcnt lgkmcnt(0)
	s_barrier
	s_and_saveexec_b64 s[2:3], s[0:1]
	s_cbranch_execz .LBB83_8
; %bb.7:
	v_lshl_add_u32 v0, v6, 3, -8
	ds_read_b64 v[0:1], v0
	v_mov_b32_e32 v6, s11
	s_waitcnt lgkmcnt(0)
	v_add_co_u32_e64 v0, s[0:1], s10, v0
	v_addc_co_u32_e64 v1, s[0:1], v1, v6, s[0:1]
.LBB83_8:
	s_or_b64 exec, exec, s[2:3]
	v_add_co_u32_e64 v4, s[0:1], v0, v4
	v_addc_co_u32_e64 v5, s[0:1], v1, v5, s[0:1]
	v_add_u32_e32 v6, -1, v7
	v_and_b32_e32 v8, 64, v7
	v_cmp_lt_i32_e64 s[0:1], v6, v8
	v_cndmask_b32_e64 v6, v6, v7, s[0:1]
	v_lshlrev_b32_e32 v6, 2, v6
	ds_bpermute_b32 v5, v6, v5
	ds_bpermute_b32 v4, v6, v4
	s_waitcnt lgkmcnt(1)
	v_cndmask_b32_e32 v1, v5, v1, vcc
	s_waitcnt lgkmcnt(0)
	v_cndmask_b32_e32 v0, v4, v0, vcc
	global_store_dwordx2 v[2:3], v[0:1], off
	s_endpgm
	.section	.rodata,"a",@progbits
	.p2align	6, 0x0
	.amdhsa_kernel _Z21exclusive_scan_kernelILj256ELN6hipcub18BlockScanAlgorithmE0ElEvPT1_S2_
		.amdhsa_group_segment_fixed_size 32
		.amdhsa_private_segment_fixed_size 0
		.amdhsa_kernarg_size 16
		.amdhsa_user_sgpr_count 6
		.amdhsa_user_sgpr_private_segment_buffer 1
		.amdhsa_user_sgpr_dispatch_ptr 0
		.amdhsa_user_sgpr_queue_ptr 0
		.amdhsa_user_sgpr_kernarg_segment_ptr 1
		.amdhsa_user_sgpr_dispatch_id 0
		.amdhsa_user_sgpr_flat_scratch_init 0
		.amdhsa_user_sgpr_kernarg_preload_length 0
		.amdhsa_user_sgpr_kernarg_preload_offset 0
		.amdhsa_user_sgpr_private_segment_size 0
		.amdhsa_uses_dynamic_stack 0
		.amdhsa_system_sgpr_private_segment_wavefront_offset 0
		.amdhsa_system_sgpr_workgroup_id_x 1
		.amdhsa_system_sgpr_workgroup_id_y 0
		.amdhsa_system_sgpr_workgroup_id_z 0
		.amdhsa_system_sgpr_workgroup_info 0
		.amdhsa_system_vgpr_workitem_id 0
		.amdhsa_next_free_vgpr 15
		.amdhsa_next_free_sgpr 12
		.amdhsa_accum_offset 16
		.amdhsa_reserve_vcc 1
		.amdhsa_reserve_flat_scratch 0
		.amdhsa_float_round_mode_32 0
		.amdhsa_float_round_mode_16_64 0
		.amdhsa_float_denorm_mode_32 3
		.amdhsa_float_denorm_mode_16_64 3
		.amdhsa_dx10_clamp 1
		.amdhsa_ieee_mode 1
		.amdhsa_fp16_overflow 0
		.amdhsa_tg_split 0
		.amdhsa_exception_fp_ieee_invalid_op 0
		.amdhsa_exception_fp_denorm_src 0
		.amdhsa_exception_fp_ieee_div_zero 0
		.amdhsa_exception_fp_ieee_overflow 0
		.amdhsa_exception_fp_ieee_underflow 0
		.amdhsa_exception_fp_ieee_inexact 0
		.amdhsa_exception_int_div_zero 0
	.end_amdhsa_kernel
	.section	.text._Z21exclusive_scan_kernelILj256ELN6hipcub18BlockScanAlgorithmE0ElEvPT1_S2_,"axG",@progbits,_Z21exclusive_scan_kernelILj256ELN6hipcub18BlockScanAlgorithmE0ElEvPT1_S2_,comdat
.Lfunc_end83:
	.size	_Z21exclusive_scan_kernelILj256ELN6hipcub18BlockScanAlgorithmE0ElEvPT1_S2_, .Lfunc_end83-_Z21exclusive_scan_kernelILj256ELN6hipcub18BlockScanAlgorithmE0ElEvPT1_S2_
                                        ; -- End function
	.section	.AMDGPU.csdata,"",@progbits
; Kernel info:
; codeLenInByte = 900
; NumSgprs: 16
; NumVgprs: 15
; NumAgprs: 0
; TotalNumVgprs: 15
; ScratchSize: 0
; MemoryBound: 0
; FloatMode: 240
; IeeeMode: 1
; LDSByteSize: 32 bytes/workgroup (compile time only)
; SGPRBlocks: 1
; VGPRBlocks: 1
; NumSGPRsForWavesPerEU: 16
; NumVGPRsForWavesPerEU: 15
; AccumOffset: 16
; Occupancy: 8
; WaveLimiterHint : 0
; COMPUTE_PGM_RSRC2:SCRATCH_EN: 0
; COMPUTE_PGM_RSRC2:USER_SGPR: 6
; COMPUTE_PGM_RSRC2:TRAP_HANDLER: 0
; COMPUTE_PGM_RSRC2:TGID_X_EN: 1
; COMPUTE_PGM_RSRC2:TGID_Y_EN: 0
; COMPUTE_PGM_RSRC2:TGID_Z_EN: 0
; COMPUTE_PGM_RSRC2:TIDIG_COMP_CNT: 0
; COMPUTE_PGM_RSRC3_GFX90A:ACCUM_OFFSET: 3
; COMPUTE_PGM_RSRC3_GFX90A:TG_SPLIT: 0
	.section	.text._Z21exclusive_scan_kernelILj64ELN6hipcub18BlockScanAlgorithmE0ElEvPT1_S2_,"axG",@progbits,_Z21exclusive_scan_kernelILj64ELN6hipcub18BlockScanAlgorithmE0ElEvPT1_S2_,comdat
	.protected	_Z21exclusive_scan_kernelILj64ELN6hipcub18BlockScanAlgorithmE0ElEvPT1_S2_ ; -- Begin function _Z21exclusive_scan_kernelILj64ELN6hipcub18BlockScanAlgorithmE0ElEvPT1_S2_
	.globl	_Z21exclusive_scan_kernelILj64ELN6hipcub18BlockScanAlgorithmE0ElEvPT1_S2_
	.p2align	8
	.type	_Z21exclusive_scan_kernelILj64ELN6hipcub18BlockScanAlgorithmE0ElEvPT1_S2_,@function
_Z21exclusive_scan_kernelILj64ELN6hipcub18BlockScanAlgorithmE0ElEvPT1_S2_: ; @_Z21exclusive_scan_kernelILj64ELN6hipcub18BlockScanAlgorithmE0ElEvPT1_S2_
; %bb.0:
	s_load_dwordx4 s[8:11], s[4:5], 0x0
	v_lshl_or_b32 v2, s6, 6, v0
	v_mov_b32_e32 v3, 0
	v_lshlrev_b64 v[2:3], 3, v[2:3]
	s_waitcnt lgkmcnt(0)
	v_mov_b32_e32 v1, s9
	v_add_co_u32_e32 v2, vcc, s8, v2
	v_addc_co_u32_e32 v3, vcc, v1, v3, vcc
	global_load_dwordx2 v[4:5], v[2:3], off
	v_mbcnt_lo_u32_b32 v1, -1, 0
	v_mbcnt_hi_u32_b32 v7, -1, v1
	v_and_b32_e32 v1, 15, v7
	v_and_b32_e32 v9, 16, v7
	v_cmp_eq_u32_e32 vcc, 0, v7
	v_cmp_ne_u32_e64 s[2:3], 0, v7
	s_waitcnt vmcnt(0)
	v_mov_b32_dpp v6, v4 row_shr:1 row_mask:0xf bank_mask:0xf
	v_add_co_u32_e64 v6, s[0:1], v4, v6
	v_addc_co_u32_e64 v10, s[0:1], 0, v5, s[0:1]
	v_mov_b32_dpp v8, v5 row_shr:1 row_mask:0xf bank_mask:0xf
	v_add_co_u32_e64 v11, s[0:1], 0, v6
	v_addc_co_u32_e64 v8, s[0:1], v8, v10, s[0:1]
	v_cmp_eq_u32_e64 s[0:1], 0, v1
	v_cndmask_b32_e64 v6, v6, v4, s[0:1]
	v_cndmask_b32_e64 v8, v8, v5, s[0:1]
	v_cndmask_b32_e64 v10, v11, v4, s[0:1]
	v_mov_b32_dpp v11, v6 row_shr:2 row_mask:0xf bank_mask:0xf
	v_mov_b32_dpp v12, v8 row_shr:2 row_mask:0xf bank_mask:0xf
	v_add_co_u32_e64 v11, s[0:1], v11, v10
	v_addc_co_u32_e64 v12, s[0:1], v12, v8, s[0:1]
	v_cmp_lt_u32_e64 s[0:1], 1, v1
	v_cndmask_b32_e64 v6, v6, v11, s[0:1]
	v_cndmask_b32_e64 v8, v8, v12, s[0:1]
	v_cndmask_b32_e64 v10, v10, v11, s[0:1]
	v_mov_b32_dpp v11, v6 row_shr:4 row_mask:0xf bank_mask:0xf
	v_mov_b32_dpp v12, v8 row_shr:4 row_mask:0xf bank_mask:0xf
	v_add_co_u32_e64 v11, s[0:1], v11, v10
	v_addc_co_u32_e64 v12, s[0:1], v12, v8, s[0:1]
	v_cmp_lt_u32_e64 s[0:1], 3, v1
	;; [unrolled: 8-line block ×3, first 2 shown]
	v_cndmask_b32_e64 v13, v6, v11, s[0:1]
	v_cndmask_b32_e64 v1, v8, v12, s[0:1]
	;; [unrolled: 1-line block ×3, first 2 shown]
	v_mov_b32_dpp v8, v13 row_bcast:15 row_mask:0xf bank_mask:0xf
	v_mov_b32_dpp v10, v1 row_bcast:15 row_mask:0xf bank_mask:0xf
	v_add_co_u32_e64 v8, s[0:1], v8, v6
	v_addc_co_u32_e64 v10, s[0:1], v10, v1, s[0:1]
	v_cmp_eq_u32_e64 s[0:1], 0, v9
	v_cndmask_b32_e64 v11, v10, v1, s[0:1]
	v_cndmask_b32_e64 v9, v8, v13, s[0:1]
	s_nop 0
	v_mov_b32_dpp v11, v11 row_bcast:31 row_mask:0xf bank_mask:0xf
	v_mov_b32_dpp v9, v9 row_bcast:31 row_mask:0xf bank_mask:0xf
	s_and_saveexec_b64 s[4:5], s[2:3]
; %bb.1:
	v_cndmask_b32_e64 v1, v10, v1, s[0:1]
	v_cndmask_b32_e64 v4, v8, v6, s[0:1]
	v_cmp_lt_u32_e64 s[0:1], 31, v7
	v_cndmask_b32_e64 v6, 0, v9, s[0:1]
	v_cndmask_b32_e64 v5, 0, v11, s[0:1]
	v_add_co_u32_e64 v4, s[0:1], v6, v4
	v_addc_co_u32_e64 v5, s[0:1], v5, v1, s[0:1]
; %bb.2:
	s_or_b64 exec, exec, s[4:5]
	v_cmp_eq_u32_e64 s[0:1], 63, v0
	s_and_saveexec_b64 s[2:3], s[0:1]
	s_cbranch_execz .LBB84_4
; %bb.3:
	v_mov_b32_e32 v0, 0
	ds_write_b64 v0, v[4:5]
.LBB84_4:
	s_or_b64 exec, exec, s[2:3]
	v_mov_b32_e32 v0, s11
	v_add_co_u32_e64 v1, s[0:1], s10, v4
	v_addc_co_u32_e64 v0, s[0:1], v5, v0, s[0:1]
	v_add_u32_e32 v4, -1, v7
	v_and_b32_e32 v5, 64, v7
	v_cmp_lt_i32_e64 s[0:1], v4, v5
	v_cndmask_b32_e64 v4, v4, v7, s[0:1]
	v_lshlrev_b32_e32 v4, 2, v4
	ds_bpermute_b32 v0, v4, v0
	ds_bpermute_b32 v4, v4, v1
	v_mov_b32_e32 v1, s11
	s_waitcnt lgkmcnt(0)
	; wave barrier
	s_waitcnt lgkmcnt(0)
	v_cndmask_b32_e32 v1, v0, v1, vcc
	v_mov_b32_e32 v0, s10
	v_cndmask_b32_e32 v0, v4, v0, vcc
	global_store_dwordx2 v[2:3], v[0:1], off
	s_endpgm
	.section	.rodata,"a",@progbits
	.p2align	6, 0x0
	.amdhsa_kernel _Z21exclusive_scan_kernelILj64ELN6hipcub18BlockScanAlgorithmE0ElEvPT1_S2_
		.amdhsa_group_segment_fixed_size 8
		.amdhsa_private_segment_fixed_size 0
		.amdhsa_kernarg_size 16
		.amdhsa_user_sgpr_count 6
		.amdhsa_user_sgpr_private_segment_buffer 1
		.amdhsa_user_sgpr_dispatch_ptr 0
		.amdhsa_user_sgpr_queue_ptr 0
		.amdhsa_user_sgpr_kernarg_segment_ptr 1
		.amdhsa_user_sgpr_dispatch_id 0
		.amdhsa_user_sgpr_flat_scratch_init 0
		.amdhsa_user_sgpr_kernarg_preload_length 0
		.amdhsa_user_sgpr_kernarg_preload_offset 0
		.amdhsa_user_sgpr_private_segment_size 0
		.amdhsa_uses_dynamic_stack 0
		.amdhsa_system_sgpr_private_segment_wavefront_offset 0
		.amdhsa_system_sgpr_workgroup_id_x 1
		.amdhsa_system_sgpr_workgroup_id_y 0
		.amdhsa_system_sgpr_workgroup_id_z 0
		.amdhsa_system_sgpr_workgroup_info 0
		.amdhsa_system_vgpr_workitem_id 0
		.amdhsa_next_free_vgpr 14
		.amdhsa_next_free_sgpr 12
		.amdhsa_accum_offset 16
		.amdhsa_reserve_vcc 1
		.amdhsa_reserve_flat_scratch 0
		.amdhsa_float_round_mode_32 0
		.amdhsa_float_round_mode_16_64 0
		.amdhsa_float_denorm_mode_32 3
		.amdhsa_float_denorm_mode_16_64 3
		.amdhsa_dx10_clamp 1
		.amdhsa_ieee_mode 1
		.amdhsa_fp16_overflow 0
		.amdhsa_tg_split 0
		.amdhsa_exception_fp_ieee_invalid_op 0
		.amdhsa_exception_fp_denorm_src 0
		.amdhsa_exception_fp_ieee_div_zero 0
		.amdhsa_exception_fp_ieee_overflow 0
		.amdhsa_exception_fp_ieee_underflow 0
		.amdhsa_exception_fp_ieee_inexact 0
		.amdhsa_exception_int_div_zero 0
	.end_amdhsa_kernel
	.section	.text._Z21exclusive_scan_kernelILj64ELN6hipcub18BlockScanAlgorithmE0ElEvPT1_S2_,"axG",@progbits,_Z21exclusive_scan_kernelILj64ELN6hipcub18BlockScanAlgorithmE0ElEvPT1_S2_,comdat
.Lfunc_end84:
	.size	_Z21exclusive_scan_kernelILj64ELN6hipcub18BlockScanAlgorithmE0ElEvPT1_S2_, .Lfunc_end84-_Z21exclusive_scan_kernelILj64ELN6hipcub18BlockScanAlgorithmE0ElEvPT1_S2_
                                        ; -- End function
	.section	.AMDGPU.csdata,"",@progbits
; Kernel info:
; codeLenInByte = 636
; NumSgprs: 16
; NumVgprs: 14
; NumAgprs: 0
; TotalNumVgprs: 14
; ScratchSize: 0
; MemoryBound: 0
; FloatMode: 240
; IeeeMode: 1
; LDSByteSize: 8 bytes/workgroup (compile time only)
; SGPRBlocks: 1
; VGPRBlocks: 1
; NumSGPRsForWavesPerEU: 16
; NumVGPRsForWavesPerEU: 14
; AccumOffset: 16
; Occupancy: 8
; WaveLimiterHint : 0
; COMPUTE_PGM_RSRC2:SCRATCH_EN: 0
; COMPUTE_PGM_RSRC2:USER_SGPR: 6
; COMPUTE_PGM_RSRC2:TRAP_HANDLER: 0
; COMPUTE_PGM_RSRC2:TGID_X_EN: 1
; COMPUTE_PGM_RSRC2:TGID_Y_EN: 0
; COMPUTE_PGM_RSRC2:TGID_Z_EN: 0
; COMPUTE_PGM_RSRC2:TIDIG_COMP_CNT: 0
; COMPUTE_PGM_RSRC3_GFX90A:ACCUM_OFFSET: 3
; COMPUTE_PGM_RSRC3_GFX90A:TG_SPLIT: 0
	.section	.text._Z21exclusive_scan_kernelILj377ELN6hipcub18BlockScanAlgorithmE0EjEvPT1_S2_,"axG",@progbits,_Z21exclusive_scan_kernelILj377ELN6hipcub18BlockScanAlgorithmE0EjEvPT1_S2_,comdat
	.protected	_Z21exclusive_scan_kernelILj377ELN6hipcub18BlockScanAlgorithmE0EjEvPT1_S2_ ; -- Begin function _Z21exclusive_scan_kernelILj377ELN6hipcub18BlockScanAlgorithmE0EjEvPT1_S2_
	.globl	_Z21exclusive_scan_kernelILj377ELN6hipcub18BlockScanAlgorithmE0EjEvPT1_S2_
	.p2align	8
	.type	_Z21exclusive_scan_kernelILj377ELN6hipcub18BlockScanAlgorithmE0EjEvPT1_S2_,@function
_Z21exclusive_scan_kernelILj377ELN6hipcub18BlockScanAlgorithmE0EjEvPT1_S2_: ; @_Z21exclusive_scan_kernelILj377ELN6hipcub18BlockScanAlgorithmE0EjEvPT1_S2_
; %bb.0:
	s_load_dwordx2 s[0:1], s[4:5], 0x0
	s_mulk_i32 s6, 0x179
	v_add_u32_e32 v2, s6, v0
	v_mov_b32_e32 v3, 0
	v_lshlrev_b64 v[2:3], 2, v[2:3]
	s_waitcnt lgkmcnt(0)
	v_mov_b32_e32 v1, s1
	v_add_co_u32_e32 v2, vcc, s0, v2
	v_addc_co_u32_e32 v3, vcc, v1, v3, vcc
	global_load_dword v5, v[2:3], off
	v_mbcnt_lo_u32_b32 v1, -1, 0
	v_mbcnt_hi_u32_b32 v1, -1, v1
	v_and_b32_e32 v7, 15, v1
	v_cmp_ne_u32_e32 vcc, 0, v7
	v_bfe_i32 v8, v1, 4, 1
	v_and_b32_e32 v6, 0x1c0, v0
	v_min_u32_e32 v6, 0x139, v6
	v_add_u32_e32 v6, 63, v6
	v_lshrrev_b32_e32 v4, 6, v0
	s_waitcnt vmcnt(0)
	v_mov_b32_dpp v9, v5 row_shr:1 row_mask:0xf bank_mask:0xf
	v_cndmask_b32_e32 v9, 0, v9, vcc
	v_add_u32_e32 v5, v9, v5
	v_cmp_lt_u32_e32 vcc, 1, v7
	s_nop 0
	v_mov_b32_dpp v9, v5 row_shr:2 row_mask:0xf bank_mask:0xf
	v_cndmask_b32_e32 v9, 0, v9, vcc
	v_add_u32_e32 v5, v5, v9
	v_cmp_lt_u32_e32 vcc, 3, v7
	s_nop 0
	;; [unrolled: 5-line block ×4, first 2 shown]
	v_mov_b32_dpp v7, v5 row_bcast:15 row_mask:0xf bank_mask:0xf
	v_and_b32_e32 v7, v8, v7
	v_add_u32_e32 v5, v5, v7
	s_nop 1
	v_mov_b32_dpp v7, v5 row_bcast:31 row_mask:0xf bank_mask:0xf
	v_cndmask_b32_e32 v7, 0, v7, vcc
	v_add_u32_e32 v5, v5, v7
	v_cmp_eq_u32_e32 vcc, v6, v0
	s_and_saveexec_b64 s[0:1], vcc
	s_cbranch_execz .LBB85_2
; %bb.1:
	v_lshlrev_b32_e32 v6, 2, v4
	ds_write_b32 v6, v5
.LBB85_2:
	s_or_b64 exec, exec, s[0:1]
	v_cmp_gt_u32_e32 vcc, 6, v0
	s_waitcnt lgkmcnt(0)
	s_barrier
	s_and_saveexec_b64 s[0:1], vcc
	s_cbranch_execz .LBB85_4
; %bb.3:
	v_lshlrev_b32_e32 v6, 2, v0
	ds_read_b32 v7, v6
	v_and_b32_e32 v8, 7, v1
	v_cmp_ne_u32_e32 vcc, 0, v8
	s_waitcnt lgkmcnt(0)
	v_mov_b32_dpp v9, v7 row_shr:1 row_mask:0xf bank_mask:0xf
	v_cndmask_b32_e32 v9, 0, v9, vcc
	v_add_u32_e32 v7, v9, v7
	v_cmp_lt_u32_e32 vcc, 1, v8
	s_nop 0
	v_mov_b32_dpp v9, v7 row_shr:2 row_mask:0xf bank_mask:0xf
	v_cndmask_b32_e32 v9, 0, v9, vcc
	v_add_u32_e32 v7, v7, v9
	v_cmp_lt_u32_e32 vcc, 3, v8
	s_nop 0
	v_mov_b32_dpp v9, v7 row_shr:4 row_mask:0xf bank_mask:0xf
	v_cndmask_b32_e32 v8, 0, v9, vcc
	v_add_u32_e32 v7, v7, v8
	ds_write_b32 v6, v7
.LBB85_4:
	s_or_b64 exec, exec, s[0:1]
	s_load_dword s2, s[4:5], 0x8
	v_cmp_lt_u32_e32 vcc, 63, v0
	s_waitcnt lgkmcnt(0)
	s_barrier
	v_mov_b32_e32 v0, s2
	s_and_saveexec_b64 s[0:1], vcc
	s_cbranch_execz .LBB85_6
; %bb.5:
	v_lshl_add_u32 v0, v4, 2, -4
	ds_read_b32 v0, v0
	s_waitcnt lgkmcnt(0)
	v_add_u32_e32 v0, s2, v0
.LBB85_6:
	s_or_b64 exec, exec, s[0:1]
	v_add_u32_e32 v4, v0, v5
	v_add_u32_e32 v5, -1, v1
	v_and_b32_e32 v6, 64, v1
	v_cmp_lt_i32_e32 vcc, v5, v6
	v_cndmask_b32_e32 v5, v5, v1, vcc
	v_lshlrev_b32_e32 v5, 2, v5
	ds_bpermute_b32 v4, v5, v4
	v_cmp_eq_u32_e32 vcc, 0, v1
	s_waitcnt lgkmcnt(0)
	v_cndmask_b32_e32 v0, v4, v0, vcc
	global_store_dword v[2:3], v0, off
	s_endpgm
	.section	.rodata,"a",@progbits
	.p2align	6, 0x0
	.amdhsa_kernel _Z21exclusive_scan_kernelILj377ELN6hipcub18BlockScanAlgorithmE0EjEvPT1_S2_
		.amdhsa_group_segment_fixed_size 24
		.amdhsa_private_segment_fixed_size 0
		.amdhsa_kernarg_size 12
		.amdhsa_user_sgpr_count 6
		.amdhsa_user_sgpr_private_segment_buffer 1
		.amdhsa_user_sgpr_dispatch_ptr 0
		.amdhsa_user_sgpr_queue_ptr 0
		.amdhsa_user_sgpr_kernarg_segment_ptr 1
		.amdhsa_user_sgpr_dispatch_id 0
		.amdhsa_user_sgpr_flat_scratch_init 0
		.amdhsa_user_sgpr_kernarg_preload_length 0
		.amdhsa_user_sgpr_kernarg_preload_offset 0
		.amdhsa_user_sgpr_private_segment_size 0
		.amdhsa_uses_dynamic_stack 0
		.amdhsa_system_sgpr_private_segment_wavefront_offset 0
		.amdhsa_system_sgpr_workgroup_id_x 1
		.amdhsa_system_sgpr_workgroup_id_y 0
		.amdhsa_system_sgpr_workgroup_id_z 0
		.amdhsa_system_sgpr_workgroup_info 0
		.amdhsa_system_vgpr_workitem_id 0
		.amdhsa_next_free_vgpr 10
		.amdhsa_next_free_sgpr 7
		.amdhsa_accum_offset 12
		.amdhsa_reserve_vcc 1
		.amdhsa_reserve_flat_scratch 0
		.amdhsa_float_round_mode_32 0
		.amdhsa_float_round_mode_16_64 0
		.amdhsa_float_denorm_mode_32 3
		.amdhsa_float_denorm_mode_16_64 3
		.amdhsa_dx10_clamp 1
		.amdhsa_ieee_mode 1
		.amdhsa_fp16_overflow 0
		.amdhsa_tg_split 0
		.amdhsa_exception_fp_ieee_invalid_op 0
		.amdhsa_exception_fp_denorm_src 0
		.amdhsa_exception_fp_ieee_div_zero 0
		.amdhsa_exception_fp_ieee_overflow 0
		.amdhsa_exception_fp_ieee_underflow 0
		.amdhsa_exception_fp_ieee_inexact 0
		.amdhsa_exception_int_div_zero 0
	.end_amdhsa_kernel
	.section	.text._Z21exclusive_scan_kernelILj377ELN6hipcub18BlockScanAlgorithmE0EjEvPT1_S2_,"axG",@progbits,_Z21exclusive_scan_kernelILj377ELN6hipcub18BlockScanAlgorithmE0EjEvPT1_S2_,comdat
.Lfunc_end85:
	.size	_Z21exclusive_scan_kernelILj377ELN6hipcub18BlockScanAlgorithmE0EjEvPT1_S2_, .Lfunc_end85-_Z21exclusive_scan_kernelILj377ELN6hipcub18BlockScanAlgorithmE0EjEvPT1_S2_
                                        ; -- End function
	.section	.AMDGPU.csdata,"",@progbits
; Kernel info:
; codeLenInByte = 508
; NumSgprs: 11
; NumVgprs: 10
; NumAgprs: 0
; TotalNumVgprs: 10
; ScratchSize: 0
; MemoryBound: 0
; FloatMode: 240
; IeeeMode: 1
; LDSByteSize: 24 bytes/workgroup (compile time only)
; SGPRBlocks: 1
; VGPRBlocks: 1
; NumSGPRsForWavesPerEU: 11
; NumVGPRsForWavesPerEU: 10
; AccumOffset: 12
; Occupancy: 8
; WaveLimiterHint : 0
; COMPUTE_PGM_RSRC2:SCRATCH_EN: 0
; COMPUTE_PGM_RSRC2:USER_SGPR: 6
; COMPUTE_PGM_RSRC2:TRAP_HANDLER: 0
; COMPUTE_PGM_RSRC2:TGID_X_EN: 1
; COMPUTE_PGM_RSRC2:TGID_Y_EN: 0
; COMPUTE_PGM_RSRC2:TGID_Z_EN: 0
; COMPUTE_PGM_RSRC2:TIDIG_COMP_CNT: 0
; COMPUTE_PGM_RSRC3_GFX90A:ACCUM_OFFSET: 2
; COMPUTE_PGM_RSRC3_GFX90A:TG_SPLIT: 0
	.section	.text._Z21exclusive_scan_kernelILj256ELN6hipcub18BlockScanAlgorithmE0EjEvPT1_S2_,"axG",@progbits,_Z21exclusive_scan_kernelILj256ELN6hipcub18BlockScanAlgorithmE0EjEvPT1_S2_,comdat
	.protected	_Z21exclusive_scan_kernelILj256ELN6hipcub18BlockScanAlgorithmE0EjEvPT1_S2_ ; -- Begin function _Z21exclusive_scan_kernelILj256ELN6hipcub18BlockScanAlgorithmE0EjEvPT1_S2_
	.globl	_Z21exclusive_scan_kernelILj256ELN6hipcub18BlockScanAlgorithmE0EjEvPT1_S2_
	.p2align	8
	.type	_Z21exclusive_scan_kernelILj256ELN6hipcub18BlockScanAlgorithmE0EjEvPT1_S2_,@function
_Z21exclusive_scan_kernelILj256ELN6hipcub18BlockScanAlgorithmE0EjEvPT1_S2_: ; @_Z21exclusive_scan_kernelILj256ELN6hipcub18BlockScanAlgorithmE0EjEvPT1_S2_
; %bb.0:
	s_load_dwordx2 s[0:1], s[4:5], 0x0
	v_lshl_or_b32 v2, s6, 8, v0
	v_mov_b32_e32 v3, 0
	v_lshlrev_b64 v[2:3], 2, v[2:3]
	v_or_b32_e32 v6, 63, v0
	s_waitcnt lgkmcnt(0)
	v_mov_b32_e32 v1, s1
	v_add_co_u32_e32 v2, vcc, s0, v2
	v_addc_co_u32_e32 v3, vcc, v1, v3, vcc
	global_load_dword v5, v[2:3], off
	v_mbcnt_lo_u32_b32 v1, -1, 0
	v_mbcnt_hi_u32_b32 v1, -1, v1
	v_and_b32_e32 v7, 15, v1
	v_cmp_ne_u32_e32 vcc, 0, v7
	v_bfe_i32 v8, v1, 4, 1
	v_lshrrev_b32_e32 v4, 6, v0
	s_waitcnt vmcnt(0)
	v_mov_b32_dpp v9, v5 row_shr:1 row_mask:0xf bank_mask:0xf
	v_cndmask_b32_e32 v9, 0, v9, vcc
	v_add_u32_e32 v5, v9, v5
	v_cmp_lt_u32_e32 vcc, 1, v7
	s_nop 0
	v_mov_b32_dpp v9, v5 row_shr:2 row_mask:0xf bank_mask:0xf
	v_cndmask_b32_e32 v9, 0, v9, vcc
	v_add_u32_e32 v5, v5, v9
	v_cmp_lt_u32_e32 vcc, 3, v7
	s_nop 0
	;; [unrolled: 5-line block ×4, first 2 shown]
	v_mov_b32_dpp v7, v5 row_bcast:15 row_mask:0xf bank_mask:0xf
	v_and_b32_e32 v7, v8, v7
	v_add_u32_e32 v5, v5, v7
	s_nop 1
	v_mov_b32_dpp v7, v5 row_bcast:31 row_mask:0xf bank_mask:0xf
	v_cndmask_b32_e32 v7, 0, v7, vcc
	v_add_u32_e32 v5, v5, v7
	v_cmp_eq_u32_e32 vcc, v6, v0
	s_and_saveexec_b64 s[0:1], vcc
	s_cbranch_execz .LBB86_2
; %bb.1:
	v_lshlrev_b32_e32 v6, 2, v4
	ds_write_b32 v6, v5
.LBB86_2:
	s_or_b64 exec, exec, s[0:1]
	v_cmp_gt_u32_e32 vcc, 4, v0
	s_waitcnt lgkmcnt(0)
	s_barrier
	s_and_saveexec_b64 s[0:1], vcc
	s_cbranch_execz .LBB86_4
; %bb.3:
	v_lshlrev_b32_e32 v6, 2, v0
	ds_read_b32 v7, v6
	v_and_b32_e32 v8, 3, v1
	v_cmp_ne_u32_e32 vcc, 0, v8
	s_waitcnt lgkmcnt(0)
	v_mov_b32_dpp v9, v7 row_shr:1 row_mask:0xf bank_mask:0xf
	v_cndmask_b32_e32 v9, 0, v9, vcc
	v_add_u32_e32 v7, v9, v7
	v_cmp_lt_u32_e32 vcc, 1, v8
	s_nop 0
	v_mov_b32_dpp v9, v7 row_shr:2 row_mask:0xf bank_mask:0xf
	v_cndmask_b32_e32 v8, 0, v9, vcc
	v_add_u32_e32 v7, v7, v8
	ds_write_b32 v6, v7
.LBB86_4:
	s_or_b64 exec, exec, s[0:1]
	s_load_dword s2, s[4:5], 0x8
	v_cmp_lt_u32_e32 vcc, 63, v0
	s_waitcnt lgkmcnt(0)
	s_barrier
	v_mov_b32_e32 v0, s2
	s_and_saveexec_b64 s[0:1], vcc
	s_cbranch_execz .LBB86_6
; %bb.5:
	v_lshl_add_u32 v0, v4, 2, -4
	ds_read_b32 v0, v0
	s_waitcnt lgkmcnt(0)
	v_add_u32_e32 v0, s2, v0
.LBB86_6:
	s_or_b64 exec, exec, s[0:1]
	v_add_u32_e32 v4, v0, v5
	v_add_u32_e32 v5, -1, v1
	v_and_b32_e32 v6, 64, v1
	v_cmp_lt_i32_e32 vcc, v5, v6
	v_cndmask_b32_e32 v5, v5, v1, vcc
	v_lshlrev_b32_e32 v5, 2, v5
	ds_bpermute_b32 v4, v5, v4
	v_cmp_eq_u32_e32 vcc, 0, v1
	s_waitcnt lgkmcnt(0)
	v_cndmask_b32_e32 v0, v4, v0, vcc
	global_store_dword v[2:3], v0, off
	s_endpgm
	.section	.rodata,"a",@progbits
	.p2align	6, 0x0
	.amdhsa_kernel _Z21exclusive_scan_kernelILj256ELN6hipcub18BlockScanAlgorithmE0EjEvPT1_S2_
		.amdhsa_group_segment_fixed_size 16
		.amdhsa_private_segment_fixed_size 0
		.amdhsa_kernarg_size 12
		.amdhsa_user_sgpr_count 6
		.amdhsa_user_sgpr_private_segment_buffer 1
		.amdhsa_user_sgpr_dispatch_ptr 0
		.amdhsa_user_sgpr_queue_ptr 0
		.amdhsa_user_sgpr_kernarg_segment_ptr 1
		.amdhsa_user_sgpr_dispatch_id 0
		.amdhsa_user_sgpr_flat_scratch_init 0
		.amdhsa_user_sgpr_kernarg_preload_length 0
		.amdhsa_user_sgpr_kernarg_preload_offset 0
		.amdhsa_user_sgpr_private_segment_size 0
		.amdhsa_uses_dynamic_stack 0
		.amdhsa_system_sgpr_private_segment_wavefront_offset 0
		.amdhsa_system_sgpr_workgroup_id_x 1
		.amdhsa_system_sgpr_workgroup_id_y 0
		.amdhsa_system_sgpr_workgroup_id_z 0
		.amdhsa_system_sgpr_workgroup_info 0
		.amdhsa_system_vgpr_workitem_id 0
		.amdhsa_next_free_vgpr 10
		.amdhsa_next_free_sgpr 7
		.amdhsa_accum_offset 12
		.amdhsa_reserve_vcc 1
		.amdhsa_reserve_flat_scratch 0
		.amdhsa_float_round_mode_32 0
		.amdhsa_float_round_mode_16_64 0
		.amdhsa_float_denorm_mode_32 3
		.amdhsa_float_denorm_mode_16_64 3
		.amdhsa_dx10_clamp 1
		.amdhsa_ieee_mode 1
		.amdhsa_fp16_overflow 0
		.amdhsa_tg_split 0
		.amdhsa_exception_fp_ieee_invalid_op 0
		.amdhsa_exception_fp_denorm_src 0
		.amdhsa_exception_fp_ieee_div_zero 0
		.amdhsa_exception_fp_ieee_overflow 0
		.amdhsa_exception_fp_ieee_underflow 0
		.amdhsa_exception_fp_ieee_inexact 0
		.amdhsa_exception_int_div_zero 0
	.end_amdhsa_kernel
	.section	.text._Z21exclusive_scan_kernelILj256ELN6hipcub18BlockScanAlgorithmE0EjEvPT1_S2_,"axG",@progbits,_Z21exclusive_scan_kernelILj256ELN6hipcub18BlockScanAlgorithmE0EjEvPT1_S2_,comdat
.Lfunc_end86:
	.size	_Z21exclusive_scan_kernelILj256ELN6hipcub18BlockScanAlgorithmE0EjEvPT1_S2_, .Lfunc_end86-_Z21exclusive_scan_kernelILj256ELN6hipcub18BlockScanAlgorithmE0EjEvPT1_S2_
                                        ; -- End function
	.section	.AMDGPU.csdata,"",@progbits
; Kernel info:
; codeLenInByte = 468
; NumSgprs: 11
; NumVgprs: 10
; NumAgprs: 0
; TotalNumVgprs: 10
; ScratchSize: 0
; MemoryBound: 0
; FloatMode: 240
; IeeeMode: 1
; LDSByteSize: 16 bytes/workgroup (compile time only)
; SGPRBlocks: 1
; VGPRBlocks: 1
; NumSGPRsForWavesPerEU: 11
; NumVGPRsForWavesPerEU: 10
; AccumOffset: 12
; Occupancy: 8
; WaveLimiterHint : 0
; COMPUTE_PGM_RSRC2:SCRATCH_EN: 0
; COMPUTE_PGM_RSRC2:USER_SGPR: 6
; COMPUTE_PGM_RSRC2:TRAP_HANDLER: 0
; COMPUTE_PGM_RSRC2:TGID_X_EN: 1
; COMPUTE_PGM_RSRC2:TGID_Y_EN: 0
; COMPUTE_PGM_RSRC2:TGID_Z_EN: 0
; COMPUTE_PGM_RSRC2:TIDIG_COMP_CNT: 0
; COMPUTE_PGM_RSRC3_GFX90A:ACCUM_OFFSET: 2
; COMPUTE_PGM_RSRC3_GFX90A:TG_SPLIT: 0
	.section	.text._Z21exclusive_scan_kernelILj64ELN6hipcub18BlockScanAlgorithmE0EjEvPT1_S2_,"axG",@progbits,_Z21exclusive_scan_kernelILj64ELN6hipcub18BlockScanAlgorithmE0EjEvPT1_S2_,comdat
	.protected	_Z21exclusive_scan_kernelILj64ELN6hipcub18BlockScanAlgorithmE0EjEvPT1_S2_ ; -- Begin function _Z21exclusive_scan_kernelILj64ELN6hipcub18BlockScanAlgorithmE0EjEvPT1_S2_
	.globl	_Z21exclusive_scan_kernelILj64ELN6hipcub18BlockScanAlgorithmE0EjEvPT1_S2_
	.p2align	8
	.type	_Z21exclusive_scan_kernelILj64ELN6hipcub18BlockScanAlgorithmE0EjEvPT1_S2_,@function
_Z21exclusive_scan_kernelILj64ELN6hipcub18BlockScanAlgorithmE0EjEvPT1_S2_: ; @_Z21exclusive_scan_kernelILj64ELN6hipcub18BlockScanAlgorithmE0EjEvPT1_S2_
; %bb.0:
	s_load_dwordx2 s[0:1], s[4:5], 0x0
	v_lshl_or_b32 v4, s6, 6, v0
	v_mov_b32_e32 v5, 0
	v_lshlrev_b64 v[2:3], 2, v[4:5]
	s_waitcnt lgkmcnt(0)
	v_mov_b32_e32 v1, s1
	v_add_co_u32_e32 v2, vcc, s0, v2
	v_addc_co_u32_e32 v3, vcc, v1, v3, vcc
	global_load_dword v4, v[2:3], off
	v_mbcnt_lo_u32_b32 v1, -1, 0
	v_mbcnt_hi_u32_b32 v1, -1, v1
	v_and_b32_e32 v6, 15, v1
	v_cmp_ne_u32_e32 vcc, 0, v6
	v_bfe_i32 v7, v1, 4, 1
	s_waitcnt vmcnt(0)
	v_mov_b32_dpp v8, v4 row_shr:1 row_mask:0xf bank_mask:0xf
	v_cndmask_b32_e32 v8, 0, v8, vcc
	v_add_u32_e32 v4, v8, v4
	v_cmp_lt_u32_e32 vcc, 1, v6
	s_nop 0
	v_mov_b32_dpp v8, v4 row_shr:2 row_mask:0xf bank_mask:0xf
	v_cndmask_b32_e32 v8, 0, v8, vcc
	v_add_u32_e32 v4, v4, v8
	v_cmp_lt_u32_e32 vcc, 3, v6
	s_nop 0
	;; [unrolled: 5-line block ×4, first 2 shown]
	v_mov_b32_dpp v6, v4 row_bcast:15 row_mask:0xf bank_mask:0xf
	v_and_b32_e32 v6, v7, v6
	v_add_u32_e32 v4, v4, v6
	s_nop 1
	v_mov_b32_dpp v6, v4 row_bcast:31 row_mask:0xf bank_mask:0xf
	v_cndmask_b32_e32 v6, 0, v6, vcc
	v_add_u32_e32 v4, v4, v6
	v_cmp_eq_u32_e32 vcc, 63, v0
	s_and_saveexec_b64 s[0:1], vcc
	s_cbranch_execz .LBB87_2
; %bb.1:
	ds_write_b32 v5, v4
.LBB87_2:
	s_or_b64 exec, exec, s[0:1]
	s_load_dword s0, s[4:5], 0x8
	v_add_u32_e32 v0, -1, v1
	v_and_b32_e32 v5, 64, v1
	v_cmp_lt_i32_e32 vcc, v0, v5
	v_cndmask_b32_e32 v0, v0, v1, vcc
	s_waitcnt lgkmcnt(0)
	v_add_u32_e32 v4, s0, v4
	v_lshlrev_b32_e32 v0, 2, v0
	ds_bpermute_b32 v0, v0, v4
	v_mov_b32_e32 v4, s0
	v_cmp_eq_u32_e32 vcc, 0, v1
	s_waitcnt lgkmcnt(0)
	; wave barrier
	s_waitcnt lgkmcnt(0)
	v_cndmask_b32_e32 v0, v0, v4, vcc
	global_store_dword v[2:3], v0, off
	s_endpgm
	.section	.rodata,"a",@progbits
	.p2align	6, 0x0
	.amdhsa_kernel _Z21exclusive_scan_kernelILj64ELN6hipcub18BlockScanAlgorithmE0EjEvPT1_S2_
		.amdhsa_group_segment_fixed_size 4
		.amdhsa_private_segment_fixed_size 0
		.amdhsa_kernarg_size 12
		.amdhsa_user_sgpr_count 6
		.amdhsa_user_sgpr_private_segment_buffer 1
		.amdhsa_user_sgpr_dispatch_ptr 0
		.amdhsa_user_sgpr_queue_ptr 0
		.amdhsa_user_sgpr_kernarg_segment_ptr 1
		.amdhsa_user_sgpr_dispatch_id 0
		.amdhsa_user_sgpr_flat_scratch_init 0
		.amdhsa_user_sgpr_kernarg_preload_length 0
		.amdhsa_user_sgpr_kernarg_preload_offset 0
		.amdhsa_user_sgpr_private_segment_size 0
		.amdhsa_uses_dynamic_stack 0
		.amdhsa_system_sgpr_private_segment_wavefront_offset 0
		.amdhsa_system_sgpr_workgroup_id_x 1
		.amdhsa_system_sgpr_workgroup_id_y 0
		.amdhsa_system_sgpr_workgroup_id_z 0
		.amdhsa_system_sgpr_workgroup_info 0
		.amdhsa_system_vgpr_workitem_id 0
		.amdhsa_next_free_vgpr 9
		.amdhsa_next_free_sgpr 7
		.amdhsa_accum_offset 12
		.amdhsa_reserve_vcc 1
		.amdhsa_reserve_flat_scratch 0
		.amdhsa_float_round_mode_32 0
		.amdhsa_float_round_mode_16_64 0
		.amdhsa_float_denorm_mode_32 3
		.amdhsa_float_denorm_mode_16_64 3
		.amdhsa_dx10_clamp 1
		.amdhsa_ieee_mode 1
		.amdhsa_fp16_overflow 0
		.amdhsa_tg_split 0
		.amdhsa_exception_fp_ieee_invalid_op 0
		.amdhsa_exception_fp_denorm_src 0
		.amdhsa_exception_fp_ieee_div_zero 0
		.amdhsa_exception_fp_ieee_overflow 0
		.amdhsa_exception_fp_ieee_underflow 0
		.amdhsa_exception_fp_ieee_inexact 0
		.amdhsa_exception_int_div_zero 0
	.end_amdhsa_kernel
	.section	.text._Z21exclusive_scan_kernelILj64ELN6hipcub18BlockScanAlgorithmE0EjEvPT1_S2_,"axG",@progbits,_Z21exclusive_scan_kernelILj64ELN6hipcub18BlockScanAlgorithmE0EjEvPT1_S2_,comdat
.Lfunc_end87:
	.size	_Z21exclusive_scan_kernelILj64ELN6hipcub18BlockScanAlgorithmE0EjEvPT1_S2_, .Lfunc_end87-_Z21exclusive_scan_kernelILj64ELN6hipcub18BlockScanAlgorithmE0EjEvPT1_S2_
                                        ; -- End function
	.section	.AMDGPU.csdata,"",@progbits
; Kernel info:
; codeLenInByte = 320
; NumSgprs: 11
; NumVgprs: 9
; NumAgprs: 0
; TotalNumVgprs: 9
; ScratchSize: 0
; MemoryBound: 0
; FloatMode: 240
; IeeeMode: 1
; LDSByteSize: 4 bytes/workgroup (compile time only)
; SGPRBlocks: 1
; VGPRBlocks: 1
; NumSGPRsForWavesPerEU: 11
; NumVGPRsForWavesPerEU: 9
; AccumOffset: 12
; Occupancy: 8
; WaveLimiterHint : 0
; COMPUTE_PGM_RSRC2:SCRATCH_EN: 0
; COMPUTE_PGM_RSRC2:USER_SGPR: 6
; COMPUTE_PGM_RSRC2:TRAP_HANDLER: 0
; COMPUTE_PGM_RSRC2:TGID_X_EN: 1
; COMPUTE_PGM_RSRC2:TGID_Y_EN: 0
; COMPUTE_PGM_RSRC2:TGID_Z_EN: 0
; COMPUTE_PGM_RSRC2:TIDIG_COMP_CNT: 0
; COMPUTE_PGM_RSRC3_GFX90A:ACCUM_OFFSET: 2
; COMPUTE_PGM_RSRC3_GFX90A:TG_SPLIT: 0
	.section	.text._Z21exclusive_scan_kernelILj255ELN6hipcub18BlockScanAlgorithmE0EiEvPT1_S2_,"axG",@progbits,_Z21exclusive_scan_kernelILj255ELN6hipcub18BlockScanAlgorithmE0EiEvPT1_S2_,comdat
	.protected	_Z21exclusive_scan_kernelILj255ELN6hipcub18BlockScanAlgorithmE0EiEvPT1_S2_ ; -- Begin function _Z21exclusive_scan_kernelILj255ELN6hipcub18BlockScanAlgorithmE0EiEvPT1_S2_
	.globl	_Z21exclusive_scan_kernelILj255ELN6hipcub18BlockScanAlgorithmE0EiEvPT1_S2_
	.p2align	8
	.type	_Z21exclusive_scan_kernelILj255ELN6hipcub18BlockScanAlgorithmE0EiEvPT1_S2_,@function
_Z21exclusive_scan_kernelILj255ELN6hipcub18BlockScanAlgorithmE0EiEvPT1_S2_: ; @_Z21exclusive_scan_kernelILj255ELN6hipcub18BlockScanAlgorithmE0EiEvPT1_S2_
; %bb.0:
	s_load_dwordx2 s[0:1], s[4:5], 0x0
	s_mulk_i32 s6, 0xff
	v_add_u32_e32 v2, s6, v0
	v_mov_b32_e32 v3, 0
	v_lshlrev_b64 v[2:3], 2, v[2:3]
	s_waitcnt lgkmcnt(0)
	v_mov_b32_e32 v1, s1
	v_add_co_u32_e32 v2, vcc, s0, v2
	v_addc_co_u32_e32 v3, vcc, v1, v3, vcc
	global_load_dword v5, v[2:3], off
	v_mbcnt_lo_u32_b32 v1, -1, 0
	v_mbcnt_hi_u32_b32 v1, -1, v1
	v_and_b32_e32 v7, 15, v1
	v_cmp_ne_u32_e32 vcc, 0, v7
	v_bfe_i32 v8, v1, 4, 1
	v_and_b32_e32 v6, 0xc0, v0
	v_min_u32_e32 v6, 0xbf, v6
	v_add_u32_e32 v6, 63, v6
	v_lshrrev_b32_e32 v4, 6, v0
	s_waitcnt vmcnt(0)
	v_mov_b32_dpp v9, v5 row_shr:1 row_mask:0xf bank_mask:0xf
	v_cndmask_b32_e32 v9, 0, v9, vcc
	v_add_u32_e32 v5, v9, v5
	v_cmp_lt_u32_e32 vcc, 1, v7
	s_nop 0
	v_mov_b32_dpp v9, v5 row_shr:2 row_mask:0xf bank_mask:0xf
	v_cndmask_b32_e32 v9, 0, v9, vcc
	v_add_u32_e32 v5, v5, v9
	v_cmp_lt_u32_e32 vcc, 3, v7
	s_nop 0
	;; [unrolled: 5-line block ×4, first 2 shown]
	v_mov_b32_dpp v7, v5 row_bcast:15 row_mask:0xf bank_mask:0xf
	v_and_b32_e32 v7, v8, v7
	v_add_u32_e32 v5, v5, v7
	s_nop 1
	v_mov_b32_dpp v7, v5 row_bcast:31 row_mask:0xf bank_mask:0xf
	v_cndmask_b32_e32 v7, 0, v7, vcc
	v_add_u32_e32 v5, v5, v7
	v_cmp_eq_u32_e32 vcc, v6, v0
	s_and_saveexec_b64 s[0:1], vcc
	s_cbranch_execz .LBB88_2
; %bb.1:
	v_lshlrev_b32_e32 v6, 2, v4
	ds_write_b32 v6, v5
.LBB88_2:
	s_or_b64 exec, exec, s[0:1]
	v_cmp_gt_u32_e32 vcc, 4, v0
	s_waitcnt lgkmcnt(0)
	s_barrier
	s_and_saveexec_b64 s[0:1], vcc
	s_cbranch_execz .LBB88_4
; %bb.3:
	v_lshlrev_b32_e32 v6, 2, v0
	ds_read_b32 v7, v6
	v_and_b32_e32 v8, 3, v1
	v_cmp_ne_u32_e32 vcc, 0, v8
	s_waitcnt lgkmcnt(0)
	v_mov_b32_dpp v9, v7 row_shr:1 row_mask:0xf bank_mask:0xf
	v_cndmask_b32_e32 v9, 0, v9, vcc
	v_add_u32_e32 v7, v9, v7
	v_cmp_lt_u32_e32 vcc, 1, v8
	s_nop 0
	v_mov_b32_dpp v9, v7 row_shr:2 row_mask:0xf bank_mask:0xf
	v_cndmask_b32_e32 v8, 0, v9, vcc
	v_add_u32_e32 v7, v7, v8
	ds_write_b32 v6, v7
.LBB88_4:
	s_or_b64 exec, exec, s[0:1]
	s_load_dword s2, s[4:5], 0x8
	v_cmp_lt_u32_e32 vcc, 63, v0
	s_waitcnt lgkmcnt(0)
	s_barrier
	v_mov_b32_e32 v0, s2
	s_and_saveexec_b64 s[0:1], vcc
	s_cbranch_execz .LBB88_6
; %bb.5:
	v_lshl_add_u32 v0, v4, 2, -4
	ds_read_b32 v0, v0
	s_waitcnt lgkmcnt(0)
	v_add_u32_e32 v0, s2, v0
.LBB88_6:
	s_or_b64 exec, exec, s[0:1]
	v_add_u32_e32 v4, v0, v5
	v_add_u32_e32 v5, -1, v1
	v_and_b32_e32 v6, 64, v1
	v_cmp_lt_i32_e32 vcc, v5, v6
	v_cndmask_b32_e32 v5, v5, v1, vcc
	v_lshlrev_b32_e32 v5, 2, v5
	ds_bpermute_b32 v4, v5, v4
	v_cmp_eq_u32_e32 vcc, 0, v1
	s_waitcnt lgkmcnt(0)
	v_cndmask_b32_e32 v0, v4, v0, vcc
	global_store_dword v[2:3], v0, off
	s_endpgm
	.section	.rodata,"a",@progbits
	.p2align	6, 0x0
	.amdhsa_kernel _Z21exclusive_scan_kernelILj255ELN6hipcub18BlockScanAlgorithmE0EiEvPT1_S2_
		.amdhsa_group_segment_fixed_size 16
		.amdhsa_private_segment_fixed_size 0
		.amdhsa_kernarg_size 12
		.amdhsa_user_sgpr_count 6
		.amdhsa_user_sgpr_private_segment_buffer 1
		.amdhsa_user_sgpr_dispatch_ptr 0
		.amdhsa_user_sgpr_queue_ptr 0
		.amdhsa_user_sgpr_kernarg_segment_ptr 1
		.amdhsa_user_sgpr_dispatch_id 0
		.amdhsa_user_sgpr_flat_scratch_init 0
		.amdhsa_user_sgpr_kernarg_preload_length 0
		.amdhsa_user_sgpr_kernarg_preload_offset 0
		.amdhsa_user_sgpr_private_segment_size 0
		.amdhsa_uses_dynamic_stack 0
		.amdhsa_system_sgpr_private_segment_wavefront_offset 0
		.amdhsa_system_sgpr_workgroup_id_x 1
		.amdhsa_system_sgpr_workgroup_id_y 0
		.amdhsa_system_sgpr_workgroup_id_z 0
		.amdhsa_system_sgpr_workgroup_info 0
		.amdhsa_system_vgpr_workitem_id 0
		.amdhsa_next_free_vgpr 10
		.amdhsa_next_free_sgpr 7
		.amdhsa_accum_offset 12
		.amdhsa_reserve_vcc 1
		.amdhsa_reserve_flat_scratch 0
		.amdhsa_float_round_mode_32 0
		.amdhsa_float_round_mode_16_64 0
		.amdhsa_float_denorm_mode_32 3
		.amdhsa_float_denorm_mode_16_64 3
		.amdhsa_dx10_clamp 1
		.amdhsa_ieee_mode 1
		.amdhsa_fp16_overflow 0
		.amdhsa_tg_split 0
		.amdhsa_exception_fp_ieee_invalid_op 0
		.amdhsa_exception_fp_denorm_src 0
		.amdhsa_exception_fp_ieee_div_zero 0
		.amdhsa_exception_fp_ieee_overflow 0
		.amdhsa_exception_fp_ieee_underflow 0
		.amdhsa_exception_fp_ieee_inexact 0
		.amdhsa_exception_int_div_zero 0
	.end_amdhsa_kernel
	.section	.text._Z21exclusive_scan_kernelILj255ELN6hipcub18BlockScanAlgorithmE0EiEvPT1_S2_,"axG",@progbits,_Z21exclusive_scan_kernelILj255ELN6hipcub18BlockScanAlgorithmE0EiEvPT1_S2_,comdat
.Lfunc_end88:
	.size	_Z21exclusive_scan_kernelILj255ELN6hipcub18BlockScanAlgorithmE0EiEvPT1_S2_, .Lfunc_end88-_Z21exclusive_scan_kernelILj255ELN6hipcub18BlockScanAlgorithmE0EiEvPT1_S2_
                                        ; -- End function
	.section	.AMDGPU.csdata,"",@progbits
; Kernel info:
; codeLenInByte = 484
; NumSgprs: 11
; NumVgprs: 10
; NumAgprs: 0
; TotalNumVgprs: 10
; ScratchSize: 0
; MemoryBound: 0
; FloatMode: 240
; IeeeMode: 1
; LDSByteSize: 16 bytes/workgroup (compile time only)
; SGPRBlocks: 1
; VGPRBlocks: 1
; NumSGPRsForWavesPerEU: 11
; NumVGPRsForWavesPerEU: 10
; AccumOffset: 12
; Occupancy: 8
; WaveLimiterHint : 0
; COMPUTE_PGM_RSRC2:SCRATCH_EN: 0
; COMPUTE_PGM_RSRC2:USER_SGPR: 6
; COMPUTE_PGM_RSRC2:TRAP_HANDLER: 0
; COMPUTE_PGM_RSRC2:TGID_X_EN: 1
; COMPUTE_PGM_RSRC2:TGID_Y_EN: 0
; COMPUTE_PGM_RSRC2:TGID_Z_EN: 0
; COMPUTE_PGM_RSRC2:TIDIG_COMP_CNT: 0
; COMPUTE_PGM_RSRC3_GFX90A:ACCUM_OFFSET: 2
; COMPUTE_PGM_RSRC3_GFX90A:TG_SPLIT: 0
	.section	.text._Z21exclusive_scan_kernelILj162ELN6hipcub18BlockScanAlgorithmE0EiEvPT1_S2_,"axG",@progbits,_Z21exclusive_scan_kernelILj162ELN6hipcub18BlockScanAlgorithmE0EiEvPT1_S2_,comdat
	.protected	_Z21exclusive_scan_kernelILj162ELN6hipcub18BlockScanAlgorithmE0EiEvPT1_S2_ ; -- Begin function _Z21exclusive_scan_kernelILj162ELN6hipcub18BlockScanAlgorithmE0EiEvPT1_S2_
	.globl	_Z21exclusive_scan_kernelILj162ELN6hipcub18BlockScanAlgorithmE0EiEvPT1_S2_
	.p2align	8
	.type	_Z21exclusive_scan_kernelILj162ELN6hipcub18BlockScanAlgorithmE0EiEvPT1_S2_,@function
_Z21exclusive_scan_kernelILj162ELN6hipcub18BlockScanAlgorithmE0EiEvPT1_S2_: ; @_Z21exclusive_scan_kernelILj162ELN6hipcub18BlockScanAlgorithmE0EiEvPT1_S2_
; %bb.0:
	s_load_dwordx2 s[0:1], s[4:5], 0x0
	s_mulk_i32 s6, 0xa2
	v_add_u32_e32 v2, s6, v0
	v_mov_b32_e32 v3, 0
	v_lshlrev_b64 v[2:3], 2, v[2:3]
	s_waitcnt lgkmcnt(0)
	v_mov_b32_e32 v1, s1
	v_add_co_u32_e32 v2, vcc, s0, v2
	v_addc_co_u32_e32 v3, vcc, v1, v3, vcc
	global_load_dword v5, v[2:3], off
	v_mbcnt_lo_u32_b32 v1, -1, 0
	v_mbcnt_hi_u32_b32 v1, -1, v1
	v_and_b32_e32 v7, 15, v1
	v_cmp_ne_u32_e32 vcc, 0, v7
	v_bfe_i32 v8, v1, 4, 1
	v_and_b32_e32 v6, 0xc0, v0
	v_min_u32_e32 v6, 0x62, v6
	v_add_u32_e32 v6, 63, v6
	v_lshrrev_b32_e32 v4, 6, v0
	s_waitcnt vmcnt(0)
	v_mov_b32_dpp v9, v5 row_shr:1 row_mask:0xf bank_mask:0xf
	v_cndmask_b32_e32 v9, 0, v9, vcc
	v_add_u32_e32 v5, v9, v5
	v_cmp_lt_u32_e32 vcc, 1, v7
	s_nop 0
	v_mov_b32_dpp v9, v5 row_shr:2 row_mask:0xf bank_mask:0xf
	v_cndmask_b32_e32 v9, 0, v9, vcc
	v_add_u32_e32 v5, v5, v9
	v_cmp_lt_u32_e32 vcc, 3, v7
	s_nop 0
	v_mov_b32_dpp v9, v5 row_shr:4 row_mask:0xf bank_mask:0xf
	v_cndmask_b32_e32 v9, 0, v9, vcc
	v_add_u32_e32 v5, v5, v9
	v_cmp_lt_u32_e32 vcc, 7, v7
	s_nop 0
	v_mov_b32_dpp v9, v5 row_shr:8 row_mask:0xf bank_mask:0xf
	v_cndmask_b32_e32 v7, 0, v9, vcc
	v_add_u32_e32 v5, v5, v7
	v_cmp_lt_u32_e32 vcc, 31, v1
	s_nop 0
	v_mov_b32_dpp v7, v5 row_bcast:15 row_mask:0xf bank_mask:0xf
	v_and_b32_e32 v7, v8, v7
	v_add_u32_e32 v5, v5, v7
	s_nop 1
	v_mov_b32_dpp v7, v5 row_bcast:31 row_mask:0xf bank_mask:0xf
	v_cndmask_b32_e32 v7, 0, v7, vcc
	v_add_u32_e32 v5, v5, v7
	v_cmp_eq_u32_e32 vcc, v6, v0
	s_and_saveexec_b64 s[0:1], vcc
	s_cbranch_execz .LBB89_2
; %bb.1:
	v_lshlrev_b32_e32 v6, 2, v4
	ds_write_b32 v6, v5
.LBB89_2:
	s_or_b64 exec, exec, s[0:1]
	v_cmp_gt_u32_e32 vcc, 3, v0
	s_waitcnt lgkmcnt(0)
	s_barrier
	s_and_saveexec_b64 s[0:1], vcc
	s_cbranch_execz .LBB89_4
; %bb.3:
	v_lshlrev_b32_e32 v6, 2, v0
	ds_read_b32 v7, v6
	v_and_b32_e32 v8, 3, v1
	v_cmp_ne_u32_e32 vcc, 0, v8
	s_waitcnt lgkmcnt(0)
	v_mov_b32_dpp v9, v7 row_shr:1 row_mask:0xf bank_mask:0xf
	v_cndmask_b32_e32 v9, 0, v9, vcc
	v_add_u32_e32 v7, v9, v7
	v_cmp_lt_u32_e32 vcc, 1, v8
	s_nop 0
	v_mov_b32_dpp v9, v7 row_shr:2 row_mask:0xf bank_mask:0xf
	v_cndmask_b32_e32 v8, 0, v9, vcc
	v_add_u32_e32 v7, v7, v8
	ds_write_b32 v6, v7
.LBB89_4:
	s_or_b64 exec, exec, s[0:1]
	s_load_dword s2, s[4:5], 0x8
	v_cmp_lt_u32_e32 vcc, 63, v0
	s_waitcnt lgkmcnt(0)
	s_barrier
	v_mov_b32_e32 v0, s2
	s_and_saveexec_b64 s[0:1], vcc
	s_cbranch_execz .LBB89_6
; %bb.5:
	v_lshl_add_u32 v0, v4, 2, -4
	ds_read_b32 v0, v0
	s_waitcnt lgkmcnt(0)
	v_add_u32_e32 v0, s2, v0
.LBB89_6:
	s_or_b64 exec, exec, s[0:1]
	v_add_u32_e32 v4, v0, v5
	v_add_u32_e32 v5, -1, v1
	v_and_b32_e32 v6, 64, v1
	v_cmp_lt_i32_e32 vcc, v5, v6
	v_cndmask_b32_e32 v5, v5, v1, vcc
	v_lshlrev_b32_e32 v5, 2, v5
	ds_bpermute_b32 v4, v5, v4
	v_cmp_eq_u32_e32 vcc, 0, v1
	s_waitcnt lgkmcnt(0)
	v_cndmask_b32_e32 v0, v4, v0, vcc
	global_store_dword v[2:3], v0, off
	s_endpgm
	.section	.rodata,"a",@progbits
	.p2align	6, 0x0
	.amdhsa_kernel _Z21exclusive_scan_kernelILj162ELN6hipcub18BlockScanAlgorithmE0EiEvPT1_S2_
		.amdhsa_group_segment_fixed_size 12
		.amdhsa_private_segment_fixed_size 0
		.amdhsa_kernarg_size 12
		.amdhsa_user_sgpr_count 6
		.amdhsa_user_sgpr_private_segment_buffer 1
		.amdhsa_user_sgpr_dispatch_ptr 0
		.amdhsa_user_sgpr_queue_ptr 0
		.amdhsa_user_sgpr_kernarg_segment_ptr 1
		.amdhsa_user_sgpr_dispatch_id 0
		.amdhsa_user_sgpr_flat_scratch_init 0
		.amdhsa_user_sgpr_kernarg_preload_length 0
		.amdhsa_user_sgpr_kernarg_preload_offset 0
		.amdhsa_user_sgpr_private_segment_size 0
		.amdhsa_uses_dynamic_stack 0
		.amdhsa_system_sgpr_private_segment_wavefront_offset 0
		.amdhsa_system_sgpr_workgroup_id_x 1
		.amdhsa_system_sgpr_workgroup_id_y 0
		.amdhsa_system_sgpr_workgroup_id_z 0
		.amdhsa_system_sgpr_workgroup_info 0
		.amdhsa_system_vgpr_workitem_id 0
		.amdhsa_next_free_vgpr 10
		.amdhsa_next_free_sgpr 7
		.amdhsa_accum_offset 12
		.amdhsa_reserve_vcc 1
		.amdhsa_reserve_flat_scratch 0
		.amdhsa_float_round_mode_32 0
		.amdhsa_float_round_mode_16_64 0
		.amdhsa_float_denorm_mode_32 3
		.amdhsa_float_denorm_mode_16_64 3
		.amdhsa_dx10_clamp 1
		.amdhsa_ieee_mode 1
		.amdhsa_fp16_overflow 0
		.amdhsa_tg_split 0
		.amdhsa_exception_fp_ieee_invalid_op 0
		.amdhsa_exception_fp_denorm_src 0
		.amdhsa_exception_fp_ieee_div_zero 0
		.amdhsa_exception_fp_ieee_overflow 0
		.amdhsa_exception_fp_ieee_underflow 0
		.amdhsa_exception_fp_ieee_inexact 0
		.amdhsa_exception_int_div_zero 0
	.end_amdhsa_kernel
	.section	.text._Z21exclusive_scan_kernelILj162ELN6hipcub18BlockScanAlgorithmE0EiEvPT1_S2_,"axG",@progbits,_Z21exclusive_scan_kernelILj162ELN6hipcub18BlockScanAlgorithmE0EiEvPT1_S2_,comdat
.Lfunc_end89:
	.size	_Z21exclusive_scan_kernelILj162ELN6hipcub18BlockScanAlgorithmE0EiEvPT1_S2_, .Lfunc_end89-_Z21exclusive_scan_kernelILj162ELN6hipcub18BlockScanAlgorithmE0EiEvPT1_S2_
                                        ; -- End function
	.section	.AMDGPU.csdata,"",@progbits
; Kernel info:
; codeLenInByte = 484
; NumSgprs: 11
; NumVgprs: 10
; NumAgprs: 0
; TotalNumVgprs: 10
; ScratchSize: 0
; MemoryBound: 0
; FloatMode: 240
; IeeeMode: 1
; LDSByteSize: 12 bytes/workgroup (compile time only)
; SGPRBlocks: 1
; VGPRBlocks: 1
; NumSGPRsForWavesPerEU: 11
; NumVGPRsForWavesPerEU: 10
; AccumOffset: 12
; Occupancy: 8
; WaveLimiterHint : 0
; COMPUTE_PGM_RSRC2:SCRATCH_EN: 0
; COMPUTE_PGM_RSRC2:USER_SGPR: 6
; COMPUTE_PGM_RSRC2:TRAP_HANDLER: 0
; COMPUTE_PGM_RSRC2:TGID_X_EN: 1
; COMPUTE_PGM_RSRC2:TGID_Y_EN: 0
; COMPUTE_PGM_RSRC2:TGID_Z_EN: 0
; COMPUTE_PGM_RSRC2:TIDIG_COMP_CNT: 0
; COMPUTE_PGM_RSRC3_GFX90A:ACCUM_OFFSET: 2
; COMPUTE_PGM_RSRC3_GFX90A:TG_SPLIT: 0
	.section	.text._Z21exclusive_scan_kernelILj37ELN6hipcub18BlockScanAlgorithmE0EiEvPT1_S2_,"axG",@progbits,_Z21exclusive_scan_kernelILj37ELN6hipcub18BlockScanAlgorithmE0EiEvPT1_S2_,comdat
	.protected	_Z21exclusive_scan_kernelILj37ELN6hipcub18BlockScanAlgorithmE0EiEvPT1_S2_ ; -- Begin function _Z21exclusive_scan_kernelILj37ELN6hipcub18BlockScanAlgorithmE0EiEvPT1_S2_
	.globl	_Z21exclusive_scan_kernelILj37ELN6hipcub18BlockScanAlgorithmE0EiEvPT1_S2_
	.p2align	8
	.type	_Z21exclusive_scan_kernelILj37ELN6hipcub18BlockScanAlgorithmE0EiEvPT1_S2_,@function
_Z21exclusive_scan_kernelILj37ELN6hipcub18BlockScanAlgorithmE0EiEvPT1_S2_: ; @_Z21exclusive_scan_kernelILj37ELN6hipcub18BlockScanAlgorithmE0EiEvPT1_S2_
; %bb.0:
	s_load_dwordx2 s[0:1], s[4:5], 0x0
	v_mad_u64_u32 v[4:5], s[2:3], s6, 37, v[0:1]
	v_mov_b32_e32 v5, 0
	v_lshlrev_b64 v[2:3], 2, v[4:5]
	s_waitcnt lgkmcnt(0)
	v_mov_b32_e32 v1, s1
	v_add_co_u32_e32 v2, vcc, s0, v2
	v_addc_co_u32_e32 v3, vcc, v1, v3, vcc
	global_load_dword v4, v[2:3], off
	v_mbcnt_lo_u32_b32 v1, -1, 0
	v_mbcnt_hi_u32_b32 v1, -1, v1
	v_and_b32_e32 v6, 15, v1
	v_cmp_ne_u32_e32 vcc, 0, v6
	v_bfe_i32 v7, v1, 4, 1
	s_waitcnt vmcnt(0)
	v_mov_b32_dpp v8, v4 row_shr:1 row_mask:0xf bank_mask:0xf
	v_cndmask_b32_e32 v8, 0, v8, vcc
	v_add_u32_e32 v4, v8, v4
	v_cmp_lt_u32_e32 vcc, 1, v6
	s_nop 0
	v_mov_b32_dpp v8, v4 row_shr:2 row_mask:0xf bank_mask:0xf
	v_cndmask_b32_e32 v8, 0, v8, vcc
	v_add_u32_e32 v4, v4, v8
	v_cmp_lt_u32_e32 vcc, 3, v6
	s_nop 0
	;; [unrolled: 5-line block ×4, first 2 shown]
	v_mov_b32_dpp v6, v4 row_bcast:15 row_mask:0xf bank_mask:0xf
	v_and_b32_e32 v6, v7, v6
	v_add_u32_e32 v4, v4, v6
	s_nop 1
	v_mov_b32_dpp v6, v4 row_bcast:31 row_mask:0xf bank_mask:0xf
	v_cndmask_b32_e32 v6, 0, v6, vcc
	v_add_u32_e32 v4, v4, v6
	v_cmp_eq_u32_e32 vcc, 36, v0
	s_and_saveexec_b64 s[0:1], vcc
	s_cbranch_execz .LBB90_2
; %bb.1:
	ds_write_b32 v5, v4
.LBB90_2:
	s_or_b64 exec, exec, s[0:1]
	s_load_dword s0, s[4:5], 0x8
	v_add_u32_e32 v0, -1, v1
	v_and_b32_e32 v5, 64, v1
	v_cmp_lt_i32_e32 vcc, v0, v5
	v_cndmask_b32_e32 v0, v0, v1, vcc
	s_waitcnt lgkmcnt(0)
	v_add_u32_e32 v4, s0, v4
	v_lshlrev_b32_e32 v0, 2, v0
	ds_bpermute_b32 v0, v0, v4
	v_mov_b32_e32 v4, s0
	v_cmp_eq_u32_e32 vcc, 0, v1
	s_waitcnt lgkmcnt(0)
	; wave barrier
	s_waitcnt lgkmcnt(0)
	v_cndmask_b32_e32 v0, v0, v4, vcc
	global_store_dword v[2:3], v0, off
	s_endpgm
	.section	.rodata,"a",@progbits
	.p2align	6, 0x0
	.amdhsa_kernel _Z21exclusive_scan_kernelILj37ELN6hipcub18BlockScanAlgorithmE0EiEvPT1_S2_
		.amdhsa_group_segment_fixed_size 4
		.amdhsa_private_segment_fixed_size 0
		.amdhsa_kernarg_size 12
		.amdhsa_user_sgpr_count 6
		.amdhsa_user_sgpr_private_segment_buffer 1
		.amdhsa_user_sgpr_dispatch_ptr 0
		.amdhsa_user_sgpr_queue_ptr 0
		.amdhsa_user_sgpr_kernarg_segment_ptr 1
		.amdhsa_user_sgpr_dispatch_id 0
		.amdhsa_user_sgpr_flat_scratch_init 0
		.amdhsa_user_sgpr_kernarg_preload_length 0
		.amdhsa_user_sgpr_kernarg_preload_offset 0
		.amdhsa_user_sgpr_private_segment_size 0
		.amdhsa_uses_dynamic_stack 0
		.amdhsa_system_sgpr_private_segment_wavefront_offset 0
		.amdhsa_system_sgpr_workgroup_id_x 1
		.amdhsa_system_sgpr_workgroup_id_y 0
		.amdhsa_system_sgpr_workgroup_id_z 0
		.amdhsa_system_sgpr_workgroup_info 0
		.amdhsa_system_vgpr_workitem_id 0
		.amdhsa_next_free_vgpr 9
		.amdhsa_next_free_sgpr 7
		.amdhsa_accum_offset 12
		.amdhsa_reserve_vcc 1
		.amdhsa_reserve_flat_scratch 0
		.amdhsa_float_round_mode_32 0
		.amdhsa_float_round_mode_16_64 0
		.amdhsa_float_denorm_mode_32 3
		.amdhsa_float_denorm_mode_16_64 3
		.amdhsa_dx10_clamp 1
		.amdhsa_ieee_mode 1
		.amdhsa_fp16_overflow 0
		.amdhsa_tg_split 0
		.amdhsa_exception_fp_ieee_invalid_op 0
		.amdhsa_exception_fp_denorm_src 0
		.amdhsa_exception_fp_ieee_div_zero 0
		.amdhsa_exception_fp_ieee_overflow 0
		.amdhsa_exception_fp_ieee_underflow 0
		.amdhsa_exception_fp_ieee_inexact 0
		.amdhsa_exception_int_div_zero 0
	.end_amdhsa_kernel
	.section	.text._Z21exclusive_scan_kernelILj37ELN6hipcub18BlockScanAlgorithmE0EiEvPT1_S2_,"axG",@progbits,_Z21exclusive_scan_kernelILj37ELN6hipcub18BlockScanAlgorithmE0EiEvPT1_S2_,comdat
.Lfunc_end90:
	.size	_Z21exclusive_scan_kernelILj37ELN6hipcub18BlockScanAlgorithmE0EiEvPT1_S2_, .Lfunc_end90-_Z21exclusive_scan_kernelILj37ELN6hipcub18BlockScanAlgorithmE0EiEvPT1_S2_
                                        ; -- End function
	.section	.AMDGPU.csdata,"",@progbits
; Kernel info:
; codeLenInByte = 320
; NumSgprs: 11
; NumVgprs: 9
; NumAgprs: 0
; TotalNumVgprs: 9
; ScratchSize: 0
; MemoryBound: 0
; FloatMode: 240
; IeeeMode: 1
; LDSByteSize: 4 bytes/workgroup (compile time only)
; SGPRBlocks: 1
; VGPRBlocks: 1
; NumSGPRsForWavesPerEU: 11
; NumVGPRsForWavesPerEU: 9
; AccumOffset: 12
; Occupancy: 8
; WaveLimiterHint : 0
; COMPUTE_PGM_RSRC2:SCRATCH_EN: 0
; COMPUTE_PGM_RSRC2:USER_SGPR: 6
; COMPUTE_PGM_RSRC2:TRAP_HANDLER: 0
; COMPUTE_PGM_RSRC2:TGID_X_EN: 1
; COMPUTE_PGM_RSRC2:TGID_Y_EN: 0
; COMPUTE_PGM_RSRC2:TGID_Z_EN: 0
; COMPUTE_PGM_RSRC2:TIDIG_COMP_CNT: 0
; COMPUTE_PGM_RSRC3_GFX90A:ACCUM_OFFSET: 2
; COMPUTE_PGM_RSRC3_GFX90A:TG_SPLIT: 0
	.section	.text._Z21exclusive_scan_kernelILj65ELN6hipcub18BlockScanAlgorithmE0EiEvPT1_S2_,"axG",@progbits,_Z21exclusive_scan_kernelILj65ELN6hipcub18BlockScanAlgorithmE0EiEvPT1_S2_,comdat
	.protected	_Z21exclusive_scan_kernelILj65ELN6hipcub18BlockScanAlgorithmE0EiEvPT1_S2_ ; -- Begin function _Z21exclusive_scan_kernelILj65ELN6hipcub18BlockScanAlgorithmE0EiEvPT1_S2_
	.globl	_Z21exclusive_scan_kernelILj65ELN6hipcub18BlockScanAlgorithmE0EiEvPT1_S2_
	.p2align	8
	.type	_Z21exclusive_scan_kernelILj65ELN6hipcub18BlockScanAlgorithmE0EiEvPT1_S2_,@function
_Z21exclusive_scan_kernelILj65ELN6hipcub18BlockScanAlgorithmE0EiEvPT1_S2_: ; @_Z21exclusive_scan_kernelILj65ELN6hipcub18BlockScanAlgorithmE0EiEvPT1_S2_
; %bb.0:
	s_load_dwordx2 s[0:1], s[4:5], 0x0
	s_mulk_i32 s6, 0x41
	v_add_u32_e32 v2, s6, v0
	v_mov_b32_e32 v3, 0
	v_lshlrev_b64 v[2:3], 2, v[2:3]
	s_waitcnt lgkmcnt(0)
	v_mov_b32_e32 v1, s1
	v_add_co_u32_e32 v2, vcc, s0, v2
	v_addc_co_u32_e32 v3, vcc, v1, v3, vcc
	global_load_dword v5, v[2:3], off
	v_mbcnt_lo_u32_b32 v1, -1, 0
	v_mbcnt_hi_u32_b32 v1, -1, v1
	v_cmp_gt_u32_e64 s[0:1], 64, v0
	v_and_b32_e32 v7, 15, v1
	v_cndmask_b32_e64 v6, 64, 63, s[0:1]
	v_cmp_ne_u32_e64 s[0:1], 0, v7
	v_bfe_i32 v8, v1, 4, 1
	v_lshrrev_b32_e32 v4, 6, v0
	v_cmp_lt_u32_e32 vcc, 63, v0
	s_waitcnt vmcnt(0)
	v_mov_b32_dpp v9, v5 row_shr:1 row_mask:0xf bank_mask:0xf
	v_cndmask_b32_e64 v9, 0, v9, s[0:1]
	v_add_u32_e32 v5, v9, v5
	v_cmp_lt_u32_e64 s[0:1], 1, v7
	s_nop 0
	v_mov_b32_dpp v9, v5 row_shr:2 row_mask:0xf bank_mask:0xf
	v_cndmask_b32_e64 v9, 0, v9, s[0:1]
	v_add_u32_e32 v5, v5, v9
	v_cmp_lt_u32_e64 s[0:1], 3, v7
	s_nop 0
	v_mov_b32_dpp v9, v5 row_shr:4 row_mask:0xf bank_mask:0xf
	v_cndmask_b32_e64 v9, 0, v9, s[0:1]
	v_add_u32_e32 v5, v5, v9
	v_cmp_lt_u32_e64 s[0:1], 7, v7
	s_nop 0
	v_mov_b32_dpp v9, v5 row_shr:8 row_mask:0xf bank_mask:0xf
	v_cndmask_b32_e64 v7, 0, v9, s[0:1]
	v_add_u32_e32 v5, v5, v7
	v_cmp_lt_u32_e64 s[0:1], 31, v1
	s_nop 0
	v_mov_b32_dpp v7, v5 row_bcast:15 row_mask:0xf bank_mask:0xf
	v_and_b32_e32 v7, v8, v7
	v_add_u32_e32 v5, v5, v7
	s_nop 1
	v_mov_b32_dpp v7, v5 row_bcast:31 row_mask:0xf bank_mask:0xf
	v_cndmask_b32_e64 v7, 0, v7, s[0:1]
	v_add_u32_e32 v5, v5, v7
	v_cmp_eq_u32_e64 s[0:1], v6, v0
	s_and_saveexec_b64 s[2:3], s[0:1]
	s_cbranch_execz .LBB91_2
; %bb.1:
	v_lshlrev_b32_e32 v6, 2, v4
	ds_write_b32 v6, v5
.LBB91_2:
	s_or_b64 exec, exec, s[2:3]
	v_cmp_gt_u32_e64 s[0:1], 2, v0
	s_waitcnt lgkmcnt(0)
	s_barrier
	s_and_saveexec_b64 s[2:3], s[0:1]
	s_cbranch_execz .LBB91_4
; %bb.3:
	v_lshlrev_b32_e32 v0, 2, v0
	ds_read_b32 v6, v0
	v_bfe_i32 v7, v1, 0, 1
	s_waitcnt lgkmcnt(0)
	v_mov_b32_dpp v8, v6 row_shr:1 row_mask:0xf bank_mask:0xf
	v_and_b32_e32 v7, v7, v8
	v_add_u32_e32 v6, v7, v6
	ds_write_b32 v0, v6
.LBB91_4:
	s_or_b64 exec, exec, s[2:3]
	s_load_dword s2, s[4:5], 0x8
	s_waitcnt lgkmcnt(0)
	s_barrier
	v_mov_b32_e32 v0, s2
	s_and_saveexec_b64 s[0:1], vcc
	s_cbranch_execz .LBB91_6
; %bb.5:
	v_lshl_add_u32 v0, v4, 2, -4
	ds_read_b32 v0, v0
	s_waitcnt lgkmcnt(0)
	v_add_u32_e32 v0, s2, v0
.LBB91_6:
	s_or_b64 exec, exec, s[0:1]
	v_add_u32_e32 v4, v0, v5
	v_add_u32_e32 v5, -1, v1
	v_and_b32_e32 v6, 64, v1
	v_cmp_lt_i32_e32 vcc, v5, v6
	v_cndmask_b32_e32 v5, v5, v1, vcc
	v_lshlrev_b32_e32 v5, 2, v5
	ds_bpermute_b32 v4, v5, v4
	v_cmp_eq_u32_e32 vcc, 0, v1
	s_waitcnt lgkmcnt(0)
	v_cndmask_b32_e32 v0, v4, v0, vcc
	global_store_dword v[2:3], v0, off
	s_endpgm
	.section	.rodata,"a",@progbits
	.p2align	6, 0x0
	.amdhsa_kernel _Z21exclusive_scan_kernelILj65ELN6hipcub18BlockScanAlgorithmE0EiEvPT1_S2_
		.amdhsa_group_segment_fixed_size 8
		.amdhsa_private_segment_fixed_size 0
		.amdhsa_kernarg_size 12
		.amdhsa_user_sgpr_count 6
		.amdhsa_user_sgpr_private_segment_buffer 1
		.amdhsa_user_sgpr_dispatch_ptr 0
		.amdhsa_user_sgpr_queue_ptr 0
		.amdhsa_user_sgpr_kernarg_segment_ptr 1
		.amdhsa_user_sgpr_dispatch_id 0
		.amdhsa_user_sgpr_flat_scratch_init 0
		.amdhsa_user_sgpr_kernarg_preload_length 0
		.amdhsa_user_sgpr_kernarg_preload_offset 0
		.amdhsa_user_sgpr_private_segment_size 0
		.amdhsa_uses_dynamic_stack 0
		.amdhsa_system_sgpr_private_segment_wavefront_offset 0
		.amdhsa_system_sgpr_workgroup_id_x 1
		.amdhsa_system_sgpr_workgroup_id_y 0
		.amdhsa_system_sgpr_workgroup_id_z 0
		.amdhsa_system_sgpr_workgroup_info 0
		.amdhsa_system_vgpr_workitem_id 0
		.amdhsa_next_free_vgpr 10
		.amdhsa_next_free_sgpr 7
		.amdhsa_accum_offset 12
		.amdhsa_reserve_vcc 1
		.amdhsa_reserve_flat_scratch 0
		.amdhsa_float_round_mode_32 0
		.amdhsa_float_round_mode_16_64 0
		.amdhsa_float_denorm_mode_32 3
		.amdhsa_float_denorm_mode_16_64 3
		.amdhsa_dx10_clamp 1
		.amdhsa_ieee_mode 1
		.amdhsa_fp16_overflow 0
		.amdhsa_tg_split 0
		.amdhsa_exception_fp_ieee_invalid_op 0
		.amdhsa_exception_fp_denorm_src 0
		.amdhsa_exception_fp_ieee_div_zero 0
		.amdhsa_exception_fp_ieee_overflow 0
		.amdhsa_exception_fp_ieee_underflow 0
		.amdhsa_exception_fp_ieee_inexact 0
		.amdhsa_exception_int_div_zero 0
	.end_amdhsa_kernel
	.section	.text._Z21exclusive_scan_kernelILj65ELN6hipcub18BlockScanAlgorithmE0EiEvPT1_S2_,"axG",@progbits,_Z21exclusive_scan_kernelILj65ELN6hipcub18BlockScanAlgorithmE0EiEvPT1_S2_,comdat
.Lfunc_end91:
	.size	_Z21exclusive_scan_kernelILj65ELN6hipcub18BlockScanAlgorithmE0EiEvPT1_S2_, .Lfunc_end91-_Z21exclusive_scan_kernelILj65ELN6hipcub18BlockScanAlgorithmE0EiEvPT1_S2_
                                        ; -- End function
	.section	.AMDGPU.csdata,"",@progbits
; Kernel info:
; codeLenInByte = 504
; NumSgprs: 11
; NumVgprs: 10
; NumAgprs: 0
; TotalNumVgprs: 10
; ScratchSize: 0
; MemoryBound: 0
; FloatMode: 240
; IeeeMode: 1
; LDSByteSize: 8 bytes/workgroup (compile time only)
; SGPRBlocks: 1
; VGPRBlocks: 1
; NumSGPRsForWavesPerEU: 11
; NumVGPRsForWavesPerEU: 10
; AccumOffset: 12
; Occupancy: 8
; WaveLimiterHint : 0
; COMPUTE_PGM_RSRC2:SCRATCH_EN: 0
; COMPUTE_PGM_RSRC2:USER_SGPR: 6
; COMPUTE_PGM_RSRC2:TRAP_HANDLER: 0
; COMPUTE_PGM_RSRC2:TGID_X_EN: 1
; COMPUTE_PGM_RSRC2:TGID_Y_EN: 0
; COMPUTE_PGM_RSRC2:TGID_Z_EN: 0
; COMPUTE_PGM_RSRC2:TIDIG_COMP_CNT: 0
; COMPUTE_PGM_RSRC3_GFX90A:ACCUM_OFFSET: 2
; COMPUTE_PGM_RSRC3_GFX90A:TG_SPLIT: 0
	.section	.text._Z21exclusive_scan_kernelILj512ELN6hipcub18BlockScanAlgorithmE0EiEvPT1_S2_,"axG",@progbits,_Z21exclusive_scan_kernelILj512ELN6hipcub18BlockScanAlgorithmE0EiEvPT1_S2_,comdat
	.protected	_Z21exclusive_scan_kernelILj512ELN6hipcub18BlockScanAlgorithmE0EiEvPT1_S2_ ; -- Begin function _Z21exclusive_scan_kernelILj512ELN6hipcub18BlockScanAlgorithmE0EiEvPT1_S2_
	.globl	_Z21exclusive_scan_kernelILj512ELN6hipcub18BlockScanAlgorithmE0EiEvPT1_S2_
	.p2align	8
	.type	_Z21exclusive_scan_kernelILj512ELN6hipcub18BlockScanAlgorithmE0EiEvPT1_S2_,@function
_Z21exclusive_scan_kernelILj512ELN6hipcub18BlockScanAlgorithmE0EiEvPT1_S2_: ; @_Z21exclusive_scan_kernelILj512ELN6hipcub18BlockScanAlgorithmE0EiEvPT1_S2_
; %bb.0:
	s_load_dwordx2 s[0:1], s[4:5], 0x0
	v_lshl_or_b32 v2, s6, 9, v0
	v_mov_b32_e32 v3, 0
	v_lshlrev_b64 v[2:3], 2, v[2:3]
	v_or_b32_e32 v6, 63, v0
	s_waitcnt lgkmcnt(0)
	v_mov_b32_e32 v1, s1
	v_add_co_u32_e32 v2, vcc, s0, v2
	v_addc_co_u32_e32 v3, vcc, v1, v3, vcc
	global_load_dword v5, v[2:3], off
	v_mbcnt_lo_u32_b32 v1, -1, 0
	v_mbcnt_hi_u32_b32 v1, -1, v1
	v_and_b32_e32 v7, 15, v1
	v_cmp_ne_u32_e32 vcc, 0, v7
	v_bfe_i32 v8, v1, 4, 1
	v_lshrrev_b32_e32 v4, 6, v0
	s_waitcnt vmcnt(0)
	v_mov_b32_dpp v9, v5 row_shr:1 row_mask:0xf bank_mask:0xf
	v_cndmask_b32_e32 v9, 0, v9, vcc
	v_add_u32_e32 v5, v9, v5
	v_cmp_lt_u32_e32 vcc, 1, v7
	s_nop 0
	v_mov_b32_dpp v9, v5 row_shr:2 row_mask:0xf bank_mask:0xf
	v_cndmask_b32_e32 v9, 0, v9, vcc
	v_add_u32_e32 v5, v5, v9
	v_cmp_lt_u32_e32 vcc, 3, v7
	s_nop 0
	;; [unrolled: 5-line block ×4, first 2 shown]
	v_mov_b32_dpp v7, v5 row_bcast:15 row_mask:0xf bank_mask:0xf
	v_and_b32_e32 v7, v8, v7
	v_add_u32_e32 v5, v5, v7
	s_nop 1
	v_mov_b32_dpp v7, v5 row_bcast:31 row_mask:0xf bank_mask:0xf
	v_cndmask_b32_e32 v7, 0, v7, vcc
	v_add_u32_e32 v5, v5, v7
	v_cmp_eq_u32_e32 vcc, v6, v0
	s_and_saveexec_b64 s[0:1], vcc
	s_cbranch_execz .LBB92_2
; %bb.1:
	v_lshlrev_b32_e32 v6, 2, v4
	ds_write_b32 v6, v5
.LBB92_2:
	s_or_b64 exec, exec, s[0:1]
	v_cmp_gt_u32_e32 vcc, 8, v0
	s_waitcnt lgkmcnt(0)
	s_barrier
	s_and_saveexec_b64 s[0:1], vcc
	s_cbranch_execz .LBB92_4
; %bb.3:
	v_lshlrev_b32_e32 v6, 2, v0
	ds_read_b32 v7, v6
	v_and_b32_e32 v8, 7, v1
	v_cmp_ne_u32_e32 vcc, 0, v8
	s_waitcnt lgkmcnt(0)
	v_mov_b32_dpp v9, v7 row_shr:1 row_mask:0xf bank_mask:0xf
	v_cndmask_b32_e32 v9, 0, v9, vcc
	v_add_u32_e32 v7, v9, v7
	v_cmp_lt_u32_e32 vcc, 1, v8
	s_nop 0
	v_mov_b32_dpp v9, v7 row_shr:2 row_mask:0xf bank_mask:0xf
	v_cndmask_b32_e32 v9, 0, v9, vcc
	v_add_u32_e32 v7, v7, v9
	v_cmp_lt_u32_e32 vcc, 3, v8
	s_nop 0
	v_mov_b32_dpp v9, v7 row_shr:4 row_mask:0xf bank_mask:0xf
	v_cndmask_b32_e32 v8, 0, v9, vcc
	v_add_u32_e32 v7, v7, v8
	ds_write_b32 v6, v7
.LBB92_4:
	s_or_b64 exec, exec, s[0:1]
	s_load_dword s2, s[4:5], 0x8
	v_cmp_lt_u32_e32 vcc, 63, v0
	s_waitcnt lgkmcnt(0)
	s_barrier
	v_mov_b32_e32 v0, s2
	s_and_saveexec_b64 s[0:1], vcc
	s_cbranch_execz .LBB92_6
; %bb.5:
	v_lshl_add_u32 v0, v4, 2, -4
	ds_read_b32 v0, v0
	s_waitcnt lgkmcnt(0)
	v_add_u32_e32 v0, s2, v0
.LBB92_6:
	s_or_b64 exec, exec, s[0:1]
	v_add_u32_e32 v4, v0, v5
	v_add_u32_e32 v5, -1, v1
	v_and_b32_e32 v6, 64, v1
	v_cmp_lt_i32_e32 vcc, v5, v6
	v_cndmask_b32_e32 v5, v5, v1, vcc
	v_lshlrev_b32_e32 v5, 2, v5
	ds_bpermute_b32 v4, v5, v4
	v_cmp_eq_u32_e32 vcc, 0, v1
	s_waitcnt lgkmcnt(0)
	v_cndmask_b32_e32 v0, v4, v0, vcc
	global_store_dword v[2:3], v0, off
	s_endpgm
	.section	.rodata,"a",@progbits
	.p2align	6, 0x0
	.amdhsa_kernel _Z21exclusive_scan_kernelILj512ELN6hipcub18BlockScanAlgorithmE0EiEvPT1_S2_
		.amdhsa_group_segment_fixed_size 32
		.amdhsa_private_segment_fixed_size 0
		.amdhsa_kernarg_size 12
		.amdhsa_user_sgpr_count 6
		.amdhsa_user_sgpr_private_segment_buffer 1
		.amdhsa_user_sgpr_dispatch_ptr 0
		.amdhsa_user_sgpr_queue_ptr 0
		.amdhsa_user_sgpr_kernarg_segment_ptr 1
		.amdhsa_user_sgpr_dispatch_id 0
		.amdhsa_user_sgpr_flat_scratch_init 0
		.amdhsa_user_sgpr_kernarg_preload_length 0
		.amdhsa_user_sgpr_kernarg_preload_offset 0
		.amdhsa_user_sgpr_private_segment_size 0
		.amdhsa_uses_dynamic_stack 0
		.amdhsa_system_sgpr_private_segment_wavefront_offset 0
		.amdhsa_system_sgpr_workgroup_id_x 1
		.amdhsa_system_sgpr_workgroup_id_y 0
		.amdhsa_system_sgpr_workgroup_id_z 0
		.amdhsa_system_sgpr_workgroup_info 0
		.amdhsa_system_vgpr_workitem_id 0
		.amdhsa_next_free_vgpr 10
		.amdhsa_next_free_sgpr 7
		.amdhsa_accum_offset 12
		.amdhsa_reserve_vcc 1
		.amdhsa_reserve_flat_scratch 0
		.amdhsa_float_round_mode_32 0
		.amdhsa_float_round_mode_16_64 0
		.amdhsa_float_denorm_mode_32 3
		.amdhsa_float_denorm_mode_16_64 3
		.amdhsa_dx10_clamp 1
		.amdhsa_ieee_mode 1
		.amdhsa_fp16_overflow 0
		.amdhsa_tg_split 0
		.amdhsa_exception_fp_ieee_invalid_op 0
		.amdhsa_exception_fp_denorm_src 0
		.amdhsa_exception_fp_ieee_div_zero 0
		.amdhsa_exception_fp_ieee_overflow 0
		.amdhsa_exception_fp_ieee_underflow 0
		.amdhsa_exception_fp_ieee_inexact 0
		.amdhsa_exception_int_div_zero 0
	.end_amdhsa_kernel
	.section	.text._Z21exclusive_scan_kernelILj512ELN6hipcub18BlockScanAlgorithmE0EiEvPT1_S2_,"axG",@progbits,_Z21exclusive_scan_kernelILj512ELN6hipcub18BlockScanAlgorithmE0EiEvPT1_S2_,comdat
.Lfunc_end92:
	.size	_Z21exclusive_scan_kernelILj512ELN6hipcub18BlockScanAlgorithmE0EiEvPT1_S2_, .Lfunc_end92-_Z21exclusive_scan_kernelILj512ELN6hipcub18BlockScanAlgorithmE0EiEvPT1_S2_
                                        ; -- End function
	.section	.AMDGPU.csdata,"",@progbits
; Kernel info:
; codeLenInByte = 492
; NumSgprs: 11
; NumVgprs: 10
; NumAgprs: 0
; TotalNumVgprs: 10
; ScratchSize: 0
; MemoryBound: 0
; FloatMode: 240
; IeeeMode: 1
; LDSByteSize: 32 bytes/workgroup (compile time only)
; SGPRBlocks: 1
; VGPRBlocks: 1
; NumSGPRsForWavesPerEU: 11
; NumVGPRsForWavesPerEU: 10
; AccumOffset: 12
; Occupancy: 8
; WaveLimiterHint : 0
; COMPUTE_PGM_RSRC2:SCRATCH_EN: 0
; COMPUTE_PGM_RSRC2:USER_SGPR: 6
; COMPUTE_PGM_RSRC2:TRAP_HANDLER: 0
; COMPUTE_PGM_RSRC2:TGID_X_EN: 1
; COMPUTE_PGM_RSRC2:TGID_Y_EN: 0
; COMPUTE_PGM_RSRC2:TGID_Z_EN: 0
; COMPUTE_PGM_RSRC2:TIDIG_COMP_CNT: 0
; COMPUTE_PGM_RSRC3_GFX90A:ACCUM_OFFSET: 2
; COMPUTE_PGM_RSRC3_GFX90A:TG_SPLIT: 0
	.section	.text._Z21exclusive_scan_kernelILj256ELN6hipcub18BlockScanAlgorithmE0EiEvPT1_S2_,"axG",@progbits,_Z21exclusive_scan_kernelILj256ELN6hipcub18BlockScanAlgorithmE0EiEvPT1_S2_,comdat
	.protected	_Z21exclusive_scan_kernelILj256ELN6hipcub18BlockScanAlgorithmE0EiEvPT1_S2_ ; -- Begin function _Z21exclusive_scan_kernelILj256ELN6hipcub18BlockScanAlgorithmE0EiEvPT1_S2_
	.globl	_Z21exclusive_scan_kernelILj256ELN6hipcub18BlockScanAlgorithmE0EiEvPT1_S2_
	.p2align	8
	.type	_Z21exclusive_scan_kernelILj256ELN6hipcub18BlockScanAlgorithmE0EiEvPT1_S2_,@function
_Z21exclusive_scan_kernelILj256ELN6hipcub18BlockScanAlgorithmE0EiEvPT1_S2_: ; @_Z21exclusive_scan_kernelILj256ELN6hipcub18BlockScanAlgorithmE0EiEvPT1_S2_
; %bb.0:
	s_load_dwordx2 s[0:1], s[4:5], 0x0
	v_lshl_or_b32 v2, s6, 8, v0
	v_mov_b32_e32 v3, 0
	v_lshlrev_b64 v[2:3], 2, v[2:3]
	v_or_b32_e32 v6, 63, v0
	s_waitcnt lgkmcnt(0)
	v_mov_b32_e32 v1, s1
	v_add_co_u32_e32 v2, vcc, s0, v2
	v_addc_co_u32_e32 v3, vcc, v1, v3, vcc
	global_load_dword v5, v[2:3], off
	v_mbcnt_lo_u32_b32 v1, -1, 0
	v_mbcnt_hi_u32_b32 v1, -1, v1
	v_and_b32_e32 v7, 15, v1
	v_cmp_ne_u32_e32 vcc, 0, v7
	v_bfe_i32 v8, v1, 4, 1
	v_lshrrev_b32_e32 v4, 6, v0
	s_waitcnt vmcnt(0)
	v_mov_b32_dpp v9, v5 row_shr:1 row_mask:0xf bank_mask:0xf
	v_cndmask_b32_e32 v9, 0, v9, vcc
	v_add_u32_e32 v5, v9, v5
	v_cmp_lt_u32_e32 vcc, 1, v7
	s_nop 0
	v_mov_b32_dpp v9, v5 row_shr:2 row_mask:0xf bank_mask:0xf
	v_cndmask_b32_e32 v9, 0, v9, vcc
	v_add_u32_e32 v5, v5, v9
	v_cmp_lt_u32_e32 vcc, 3, v7
	s_nop 0
	;; [unrolled: 5-line block ×4, first 2 shown]
	v_mov_b32_dpp v7, v5 row_bcast:15 row_mask:0xf bank_mask:0xf
	v_and_b32_e32 v7, v8, v7
	v_add_u32_e32 v5, v5, v7
	s_nop 1
	v_mov_b32_dpp v7, v5 row_bcast:31 row_mask:0xf bank_mask:0xf
	v_cndmask_b32_e32 v7, 0, v7, vcc
	v_add_u32_e32 v5, v5, v7
	v_cmp_eq_u32_e32 vcc, v6, v0
	s_and_saveexec_b64 s[0:1], vcc
	s_cbranch_execz .LBB93_2
; %bb.1:
	v_lshlrev_b32_e32 v6, 2, v4
	ds_write_b32 v6, v5
.LBB93_2:
	s_or_b64 exec, exec, s[0:1]
	v_cmp_gt_u32_e32 vcc, 4, v0
	s_waitcnt lgkmcnt(0)
	s_barrier
	s_and_saveexec_b64 s[0:1], vcc
	s_cbranch_execz .LBB93_4
; %bb.3:
	v_lshlrev_b32_e32 v6, 2, v0
	ds_read_b32 v7, v6
	v_and_b32_e32 v8, 3, v1
	v_cmp_ne_u32_e32 vcc, 0, v8
	s_waitcnt lgkmcnt(0)
	v_mov_b32_dpp v9, v7 row_shr:1 row_mask:0xf bank_mask:0xf
	v_cndmask_b32_e32 v9, 0, v9, vcc
	v_add_u32_e32 v7, v9, v7
	v_cmp_lt_u32_e32 vcc, 1, v8
	s_nop 0
	v_mov_b32_dpp v9, v7 row_shr:2 row_mask:0xf bank_mask:0xf
	v_cndmask_b32_e32 v8, 0, v9, vcc
	v_add_u32_e32 v7, v7, v8
	ds_write_b32 v6, v7
.LBB93_4:
	s_or_b64 exec, exec, s[0:1]
	s_load_dword s2, s[4:5], 0x8
	v_cmp_lt_u32_e32 vcc, 63, v0
	s_waitcnt lgkmcnt(0)
	s_barrier
	v_mov_b32_e32 v0, s2
	s_and_saveexec_b64 s[0:1], vcc
	s_cbranch_execz .LBB93_6
; %bb.5:
	v_lshl_add_u32 v0, v4, 2, -4
	ds_read_b32 v0, v0
	s_waitcnt lgkmcnt(0)
	v_add_u32_e32 v0, s2, v0
.LBB93_6:
	s_or_b64 exec, exec, s[0:1]
	v_add_u32_e32 v4, v0, v5
	v_add_u32_e32 v5, -1, v1
	v_and_b32_e32 v6, 64, v1
	v_cmp_lt_i32_e32 vcc, v5, v6
	v_cndmask_b32_e32 v5, v5, v1, vcc
	v_lshlrev_b32_e32 v5, 2, v5
	ds_bpermute_b32 v4, v5, v4
	v_cmp_eq_u32_e32 vcc, 0, v1
	s_waitcnt lgkmcnt(0)
	v_cndmask_b32_e32 v0, v4, v0, vcc
	global_store_dword v[2:3], v0, off
	s_endpgm
	.section	.rodata,"a",@progbits
	.p2align	6, 0x0
	.amdhsa_kernel _Z21exclusive_scan_kernelILj256ELN6hipcub18BlockScanAlgorithmE0EiEvPT1_S2_
		.amdhsa_group_segment_fixed_size 16
		.amdhsa_private_segment_fixed_size 0
		.amdhsa_kernarg_size 12
		.amdhsa_user_sgpr_count 6
		.amdhsa_user_sgpr_private_segment_buffer 1
		.amdhsa_user_sgpr_dispatch_ptr 0
		.amdhsa_user_sgpr_queue_ptr 0
		.amdhsa_user_sgpr_kernarg_segment_ptr 1
		.amdhsa_user_sgpr_dispatch_id 0
		.amdhsa_user_sgpr_flat_scratch_init 0
		.amdhsa_user_sgpr_kernarg_preload_length 0
		.amdhsa_user_sgpr_kernarg_preload_offset 0
		.amdhsa_user_sgpr_private_segment_size 0
		.amdhsa_uses_dynamic_stack 0
		.amdhsa_system_sgpr_private_segment_wavefront_offset 0
		.amdhsa_system_sgpr_workgroup_id_x 1
		.amdhsa_system_sgpr_workgroup_id_y 0
		.amdhsa_system_sgpr_workgroup_id_z 0
		.amdhsa_system_sgpr_workgroup_info 0
		.amdhsa_system_vgpr_workitem_id 0
		.amdhsa_next_free_vgpr 10
		.amdhsa_next_free_sgpr 7
		.amdhsa_accum_offset 12
		.amdhsa_reserve_vcc 1
		.amdhsa_reserve_flat_scratch 0
		.amdhsa_float_round_mode_32 0
		.amdhsa_float_round_mode_16_64 0
		.amdhsa_float_denorm_mode_32 3
		.amdhsa_float_denorm_mode_16_64 3
		.amdhsa_dx10_clamp 1
		.amdhsa_ieee_mode 1
		.amdhsa_fp16_overflow 0
		.amdhsa_tg_split 0
		.amdhsa_exception_fp_ieee_invalid_op 0
		.amdhsa_exception_fp_denorm_src 0
		.amdhsa_exception_fp_ieee_div_zero 0
		.amdhsa_exception_fp_ieee_overflow 0
		.amdhsa_exception_fp_ieee_underflow 0
		.amdhsa_exception_fp_ieee_inexact 0
		.amdhsa_exception_int_div_zero 0
	.end_amdhsa_kernel
	.section	.text._Z21exclusive_scan_kernelILj256ELN6hipcub18BlockScanAlgorithmE0EiEvPT1_S2_,"axG",@progbits,_Z21exclusive_scan_kernelILj256ELN6hipcub18BlockScanAlgorithmE0EiEvPT1_S2_,comdat
.Lfunc_end93:
	.size	_Z21exclusive_scan_kernelILj256ELN6hipcub18BlockScanAlgorithmE0EiEvPT1_S2_, .Lfunc_end93-_Z21exclusive_scan_kernelILj256ELN6hipcub18BlockScanAlgorithmE0EiEvPT1_S2_
                                        ; -- End function
	.section	.AMDGPU.csdata,"",@progbits
; Kernel info:
; codeLenInByte = 468
; NumSgprs: 11
; NumVgprs: 10
; NumAgprs: 0
; TotalNumVgprs: 10
; ScratchSize: 0
; MemoryBound: 0
; FloatMode: 240
; IeeeMode: 1
; LDSByteSize: 16 bytes/workgroup (compile time only)
; SGPRBlocks: 1
; VGPRBlocks: 1
; NumSGPRsForWavesPerEU: 11
; NumVGPRsForWavesPerEU: 10
; AccumOffset: 12
; Occupancy: 8
; WaveLimiterHint : 0
; COMPUTE_PGM_RSRC2:SCRATCH_EN: 0
; COMPUTE_PGM_RSRC2:USER_SGPR: 6
; COMPUTE_PGM_RSRC2:TRAP_HANDLER: 0
; COMPUTE_PGM_RSRC2:TGID_X_EN: 1
; COMPUTE_PGM_RSRC2:TGID_Y_EN: 0
; COMPUTE_PGM_RSRC2:TGID_Z_EN: 0
; COMPUTE_PGM_RSRC2:TIDIG_COMP_CNT: 0
; COMPUTE_PGM_RSRC3_GFX90A:ACCUM_OFFSET: 2
; COMPUTE_PGM_RSRC3_GFX90A:TG_SPLIT: 0
	.section	.text._Z21exclusive_scan_kernelILj128ELN6hipcub18BlockScanAlgorithmE0EiEvPT1_S2_,"axG",@progbits,_Z21exclusive_scan_kernelILj128ELN6hipcub18BlockScanAlgorithmE0EiEvPT1_S2_,comdat
	.protected	_Z21exclusive_scan_kernelILj128ELN6hipcub18BlockScanAlgorithmE0EiEvPT1_S2_ ; -- Begin function _Z21exclusive_scan_kernelILj128ELN6hipcub18BlockScanAlgorithmE0EiEvPT1_S2_
	.globl	_Z21exclusive_scan_kernelILj128ELN6hipcub18BlockScanAlgorithmE0EiEvPT1_S2_
	.p2align	8
	.type	_Z21exclusive_scan_kernelILj128ELN6hipcub18BlockScanAlgorithmE0EiEvPT1_S2_,@function
_Z21exclusive_scan_kernelILj128ELN6hipcub18BlockScanAlgorithmE0EiEvPT1_S2_: ; @_Z21exclusive_scan_kernelILj128ELN6hipcub18BlockScanAlgorithmE0EiEvPT1_S2_
; %bb.0:
	s_load_dwordx2 s[0:1], s[4:5], 0x0
	v_lshl_or_b32 v2, s6, 7, v0
	v_mov_b32_e32 v3, 0
	v_lshlrev_b64 v[2:3], 2, v[2:3]
	v_or_b32_e32 v6, 63, v0
	s_waitcnt lgkmcnt(0)
	v_mov_b32_e32 v1, s1
	v_add_co_u32_e32 v2, vcc, s0, v2
	v_addc_co_u32_e32 v3, vcc, v1, v3, vcc
	global_load_dword v5, v[2:3], off
	v_mbcnt_lo_u32_b32 v1, -1, 0
	v_mbcnt_hi_u32_b32 v1, -1, v1
	v_and_b32_e32 v7, 15, v1
	v_cmp_ne_u32_e32 vcc, 0, v7
	v_bfe_i32 v8, v1, 4, 1
	v_lshrrev_b32_e32 v4, 6, v0
	s_waitcnt vmcnt(0)
	v_mov_b32_dpp v9, v5 row_shr:1 row_mask:0xf bank_mask:0xf
	v_cndmask_b32_e32 v9, 0, v9, vcc
	v_add_u32_e32 v5, v9, v5
	v_cmp_lt_u32_e32 vcc, 1, v7
	s_nop 0
	v_mov_b32_dpp v9, v5 row_shr:2 row_mask:0xf bank_mask:0xf
	v_cndmask_b32_e32 v9, 0, v9, vcc
	v_add_u32_e32 v5, v5, v9
	v_cmp_lt_u32_e32 vcc, 3, v7
	s_nop 0
	;; [unrolled: 5-line block ×4, first 2 shown]
	v_mov_b32_dpp v7, v5 row_bcast:15 row_mask:0xf bank_mask:0xf
	v_and_b32_e32 v7, v8, v7
	v_add_u32_e32 v5, v5, v7
	s_nop 1
	v_mov_b32_dpp v7, v5 row_bcast:31 row_mask:0xf bank_mask:0xf
	v_cndmask_b32_e32 v7, 0, v7, vcc
	v_add_u32_e32 v5, v5, v7
	v_cmp_eq_u32_e32 vcc, v6, v0
	s_and_saveexec_b64 s[0:1], vcc
	s_cbranch_execz .LBB94_2
; %bb.1:
	v_lshlrev_b32_e32 v6, 2, v4
	ds_write_b32 v6, v5
.LBB94_2:
	s_or_b64 exec, exec, s[0:1]
	v_cmp_gt_u32_e32 vcc, 2, v0
	s_waitcnt lgkmcnt(0)
	s_barrier
	s_and_saveexec_b64 s[0:1], vcc
	s_cbranch_execz .LBB94_4
; %bb.3:
	v_lshlrev_b32_e32 v6, 2, v0
	ds_read_b32 v7, v6
	v_bfe_i32 v8, v1, 0, 1
	s_waitcnt lgkmcnt(0)
	v_mov_b32_dpp v9, v7 row_shr:1 row_mask:0xf bank_mask:0xf
	v_and_b32_e32 v8, v8, v9
	v_add_u32_e32 v7, v8, v7
	ds_write_b32 v6, v7
.LBB94_4:
	s_or_b64 exec, exec, s[0:1]
	s_load_dword s2, s[4:5], 0x8
	v_cmp_lt_u32_e32 vcc, 63, v0
	s_waitcnt lgkmcnt(0)
	s_barrier
	v_mov_b32_e32 v0, s2
	s_and_saveexec_b64 s[0:1], vcc
	s_cbranch_execz .LBB94_6
; %bb.5:
	v_lshl_add_u32 v0, v4, 2, -4
	ds_read_b32 v0, v0
	s_waitcnt lgkmcnt(0)
	v_add_u32_e32 v0, s2, v0
.LBB94_6:
	s_or_b64 exec, exec, s[0:1]
	v_add_u32_e32 v4, v0, v5
	v_add_u32_e32 v5, -1, v1
	v_and_b32_e32 v6, 64, v1
	v_cmp_lt_i32_e32 vcc, v5, v6
	v_cndmask_b32_e32 v5, v5, v1, vcc
	v_lshlrev_b32_e32 v5, 2, v5
	ds_bpermute_b32 v4, v5, v4
	v_cmp_eq_u32_e32 vcc, 0, v1
	s_waitcnt lgkmcnt(0)
	v_cndmask_b32_e32 v0, v4, v0, vcc
	global_store_dword v[2:3], v0, off
	s_endpgm
	.section	.rodata,"a",@progbits
	.p2align	6, 0x0
	.amdhsa_kernel _Z21exclusive_scan_kernelILj128ELN6hipcub18BlockScanAlgorithmE0EiEvPT1_S2_
		.amdhsa_group_segment_fixed_size 8
		.amdhsa_private_segment_fixed_size 0
		.amdhsa_kernarg_size 12
		.amdhsa_user_sgpr_count 6
		.amdhsa_user_sgpr_private_segment_buffer 1
		.amdhsa_user_sgpr_dispatch_ptr 0
		.amdhsa_user_sgpr_queue_ptr 0
		.amdhsa_user_sgpr_kernarg_segment_ptr 1
		.amdhsa_user_sgpr_dispatch_id 0
		.amdhsa_user_sgpr_flat_scratch_init 0
		.amdhsa_user_sgpr_kernarg_preload_length 0
		.amdhsa_user_sgpr_kernarg_preload_offset 0
		.amdhsa_user_sgpr_private_segment_size 0
		.amdhsa_uses_dynamic_stack 0
		.amdhsa_system_sgpr_private_segment_wavefront_offset 0
		.amdhsa_system_sgpr_workgroup_id_x 1
		.amdhsa_system_sgpr_workgroup_id_y 0
		.amdhsa_system_sgpr_workgroup_id_z 0
		.amdhsa_system_sgpr_workgroup_info 0
		.amdhsa_system_vgpr_workitem_id 0
		.amdhsa_next_free_vgpr 10
		.amdhsa_next_free_sgpr 7
		.amdhsa_accum_offset 12
		.amdhsa_reserve_vcc 1
		.amdhsa_reserve_flat_scratch 0
		.amdhsa_float_round_mode_32 0
		.amdhsa_float_round_mode_16_64 0
		.amdhsa_float_denorm_mode_32 3
		.amdhsa_float_denorm_mode_16_64 3
		.amdhsa_dx10_clamp 1
		.amdhsa_ieee_mode 1
		.amdhsa_fp16_overflow 0
		.amdhsa_tg_split 0
		.amdhsa_exception_fp_ieee_invalid_op 0
		.amdhsa_exception_fp_denorm_src 0
		.amdhsa_exception_fp_ieee_div_zero 0
		.amdhsa_exception_fp_ieee_overflow 0
		.amdhsa_exception_fp_ieee_underflow 0
		.amdhsa_exception_fp_ieee_inexact 0
		.amdhsa_exception_int_div_zero 0
	.end_amdhsa_kernel
	.section	.text._Z21exclusive_scan_kernelILj128ELN6hipcub18BlockScanAlgorithmE0EiEvPT1_S2_,"axG",@progbits,_Z21exclusive_scan_kernelILj128ELN6hipcub18BlockScanAlgorithmE0EiEvPT1_S2_,comdat
.Lfunc_end94:
	.size	_Z21exclusive_scan_kernelILj128ELN6hipcub18BlockScanAlgorithmE0EiEvPT1_S2_, .Lfunc_end94-_Z21exclusive_scan_kernelILj128ELN6hipcub18BlockScanAlgorithmE0EiEvPT1_S2_
                                        ; -- End function
	.section	.AMDGPU.csdata,"",@progbits
; Kernel info:
; codeLenInByte = 444
; NumSgprs: 11
; NumVgprs: 10
; NumAgprs: 0
; TotalNumVgprs: 10
; ScratchSize: 0
; MemoryBound: 0
; FloatMode: 240
; IeeeMode: 1
; LDSByteSize: 8 bytes/workgroup (compile time only)
; SGPRBlocks: 1
; VGPRBlocks: 1
; NumSGPRsForWavesPerEU: 11
; NumVGPRsForWavesPerEU: 10
; AccumOffset: 12
; Occupancy: 8
; WaveLimiterHint : 0
; COMPUTE_PGM_RSRC2:SCRATCH_EN: 0
; COMPUTE_PGM_RSRC2:USER_SGPR: 6
; COMPUTE_PGM_RSRC2:TRAP_HANDLER: 0
; COMPUTE_PGM_RSRC2:TGID_X_EN: 1
; COMPUTE_PGM_RSRC2:TGID_Y_EN: 0
; COMPUTE_PGM_RSRC2:TGID_Z_EN: 0
; COMPUTE_PGM_RSRC2:TIDIG_COMP_CNT: 0
; COMPUTE_PGM_RSRC3_GFX90A:ACCUM_OFFSET: 2
; COMPUTE_PGM_RSRC3_GFX90A:TG_SPLIT: 0
	.section	.text._Z21exclusive_scan_kernelILj64ELN6hipcub18BlockScanAlgorithmE0EiEvPT1_S2_,"axG",@progbits,_Z21exclusive_scan_kernelILj64ELN6hipcub18BlockScanAlgorithmE0EiEvPT1_S2_,comdat
	.protected	_Z21exclusive_scan_kernelILj64ELN6hipcub18BlockScanAlgorithmE0EiEvPT1_S2_ ; -- Begin function _Z21exclusive_scan_kernelILj64ELN6hipcub18BlockScanAlgorithmE0EiEvPT1_S2_
	.globl	_Z21exclusive_scan_kernelILj64ELN6hipcub18BlockScanAlgorithmE0EiEvPT1_S2_
	.p2align	8
	.type	_Z21exclusive_scan_kernelILj64ELN6hipcub18BlockScanAlgorithmE0EiEvPT1_S2_,@function
_Z21exclusive_scan_kernelILj64ELN6hipcub18BlockScanAlgorithmE0EiEvPT1_S2_: ; @_Z21exclusive_scan_kernelILj64ELN6hipcub18BlockScanAlgorithmE0EiEvPT1_S2_
; %bb.0:
	s_load_dwordx2 s[0:1], s[4:5], 0x0
	v_lshl_or_b32 v4, s6, 6, v0
	v_mov_b32_e32 v5, 0
	v_lshlrev_b64 v[2:3], 2, v[4:5]
	s_waitcnt lgkmcnt(0)
	v_mov_b32_e32 v1, s1
	v_add_co_u32_e32 v2, vcc, s0, v2
	v_addc_co_u32_e32 v3, vcc, v1, v3, vcc
	global_load_dword v4, v[2:3], off
	v_mbcnt_lo_u32_b32 v1, -1, 0
	v_mbcnt_hi_u32_b32 v1, -1, v1
	v_and_b32_e32 v6, 15, v1
	v_cmp_ne_u32_e32 vcc, 0, v6
	v_bfe_i32 v7, v1, 4, 1
	s_waitcnt vmcnt(0)
	v_mov_b32_dpp v8, v4 row_shr:1 row_mask:0xf bank_mask:0xf
	v_cndmask_b32_e32 v8, 0, v8, vcc
	v_add_u32_e32 v4, v8, v4
	v_cmp_lt_u32_e32 vcc, 1, v6
	s_nop 0
	v_mov_b32_dpp v8, v4 row_shr:2 row_mask:0xf bank_mask:0xf
	v_cndmask_b32_e32 v8, 0, v8, vcc
	v_add_u32_e32 v4, v4, v8
	v_cmp_lt_u32_e32 vcc, 3, v6
	s_nop 0
	;; [unrolled: 5-line block ×4, first 2 shown]
	v_mov_b32_dpp v6, v4 row_bcast:15 row_mask:0xf bank_mask:0xf
	v_and_b32_e32 v6, v7, v6
	v_add_u32_e32 v4, v4, v6
	s_nop 1
	v_mov_b32_dpp v6, v4 row_bcast:31 row_mask:0xf bank_mask:0xf
	v_cndmask_b32_e32 v6, 0, v6, vcc
	v_add_u32_e32 v4, v4, v6
	v_cmp_eq_u32_e32 vcc, 63, v0
	s_and_saveexec_b64 s[0:1], vcc
	s_cbranch_execz .LBB95_2
; %bb.1:
	ds_write_b32 v5, v4
.LBB95_2:
	s_or_b64 exec, exec, s[0:1]
	s_load_dword s0, s[4:5], 0x8
	v_add_u32_e32 v0, -1, v1
	v_and_b32_e32 v5, 64, v1
	v_cmp_lt_i32_e32 vcc, v0, v5
	v_cndmask_b32_e32 v0, v0, v1, vcc
	s_waitcnt lgkmcnt(0)
	v_add_u32_e32 v4, s0, v4
	v_lshlrev_b32_e32 v0, 2, v0
	ds_bpermute_b32 v0, v0, v4
	v_mov_b32_e32 v4, s0
	v_cmp_eq_u32_e32 vcc, 0, v1
	s_waitcnt lgkmcnt(0)
	; wave barrier
	s_waitcnt lgkmcnt(0)
	v_cndmask_b32_e32 v0, v0, v4, vcc
	global_store_dword v[2:3], v0, off
	s_endpgm
	.section	.rodata,"a",@progbits
	.p2align	6, 0x0
	.amdhsa_kernel _Z21exclusive_scan_kernelILj64ELN6hipcub18BlockScanAlgorithmE0EiEvPT1_S2_
		.amdhsa_group_segment_fixed_size 4
		.amdhsa_private_segment_fixed_size 0
		.amdhsa_kernarg_size 12
		.amdhsa_user_sgpr_count 6
		.amdhsa_user_sgpr_private_segment_buffer 1
		.amdhsa_user_sgpr_dispatch_ptr 0
		.amdhsa_user_sgpr_queue_ptr 0
		.amdhsa_user_sgpr_kernarg_segment_ptr 1
		.amdhsa_user_sgpr_dispatch_id 0
		.amdhsa_user_sgpr_flat_scratch_init 0
		.amdhsa_user_sgpr_kernarg_preload_length 0
		.amdhsa_user_sgpr_kernarg_preload_offset 0
		.amdhsa_user_sgpr_private_segment_size 0
		.amdhsa_uses_dynamic_stack 0
		.amdhsa_system_sgpr_private_segment_wavefront_offset 0
		.amdhsa_system_sgpr_workgroup_id_x 1
		.amdhsa_system_sgpr_workgroup_id_y 0
		.amdhsa_system_sgpr_workgroup_id_z 0
		.amdhsa_system_sgpr_workgroup_info 0
		.amdhsa_system_vgpr_workitem_id 0
		.amdhsa_next_free_vgpr 9
		.amdhsa_next_free_sgpr 7
		.amdhsa_accum_offset 12
		.amdhsa_reserve_vcc 1
		.amdhsa_reserve_flat_scratch 0
		.amdhsa_float_round_mode_32 0
		.amdhsa_float_round_mode_16_64 0
		.amdhsa_float_denorm_mode_32 3
		.amdhsa_float_denorm_mode_16_64 3
		.amdhsa_dx10_clamp 1
		.amdhsa_ieee_mode 1
		.amdhsa_fp16_overflow 0
		.amdhsa_tg_split 0
		.amdhsa_exception_fp_ieee_invalid_op 0
		.amdhsa_exception_fp_denorm_src 0
		.amdhsa_exception_fp_ieee_div_zero 0
		.amdhsa_exception_fp_ieee_overflow 0
		.amdhsa_exception_fp_ieee_underflow 0
		.amdhsa_exception_fp_ieee_inexact 0
		.amdhsa_exception_int_div_zero 0
	.end_amdhsa_kernel
	.section	.text._Z21exclusive_scan_kernelILj64ELN6hipcub18BlockScanAlgorithmE0EiEvPT1_S2_,"axG",@progbits,_Z21exclusive_scan_kernelILj64ELN6hipcub18BlockScanAlgorithmE0EiEvPT1_S2_,comdat
.Lfunc_end95:
	.size	_Z21exclusive_scan_kernelILj64ELN6hipcub18BlockScanAlgorithmE0EiEvPT1_S2_, .Lfunc_end95-_Z21exclusive_scan_kernelILj64ELN6hipcub18BlockScanAlgorithmE0EiEvPT1_S2_
                                        ; -- End function
	.section	.AMDGPU.csdata,"",@progbits
; Kernel info:
; codeLenInByte = 320
; NumSgprs: 11
; NumVgprs: 9
; NumAgprs: 0
; TotalNumVgprs: 9
; ScratchSize: 0
; MemoryBound: 0
; FloatMode: 240
; IeeeMode: 1
; LDSByteSize: 4 bytes/workgroup (compile time only)
; SGPRBlocks: 1
; VGPRBlocks: 1
; NumSGPRsForWavesPerEU: 11
; NumVGPRsForWavesPerEU: 9
; AccumOffset: 12
; Occupancy: 8
; WaveLimiterHint : 0
; COMPUTE_PGM_RSRC2:SCRATCH_EN: 0
; COMPUTE_PGM_RSRC2:USER_SGPR: 6
; COMPUTE_PGM_RSRC2:TRAP_HANDLER: 0
; COMPUTE_PGM_RSRC2:TGID_X_EN: 1
; COMPUTE_PGM_RSRC2:TGID_Y_EN: 0
; COMPUTE_PGM_RSRC2:TGID_Z_EN: 0
; COMPUTE_PGM_RSRC2:TIDIG_COMP_CNT: 0
; COMPUTE_PGM_RSRC3_GFX90A:ACCUM_OFFSET: 2
; COMPUTE_PGM_RSRC3_GFX90A:TG_SPLIT: 0
	.section	.text._Z28exclusive_scan_reduce_kernelILj377ELN6hipcub18BlockScanAlgorithmE1EhEvPT1_S3_S2_,"axG",@progbits,_Z28exclusive_scan_reduce_kernelILj377ELN6hipcub18BlockScanAlgorithmE1EhEvPT1_S3_S2_,comdat
	.protected	_Z28exclusive_scan_reduce_kernelILj377ELN6hipcub18BlockScanAlgorithmE1EhEvPT1_S3_S2_ ; -- Begin function _Z28exclusive_scan_reduce_kernelILj377ELN6hipcub18BlockScanAlgorithmE1EhEvPT1_S3_S2_
	.globl	_Z28exclusive_scan_reduce_kernelILj377ELN6hipcub18BlockScanAlgorithmE1EhEvPT1_S3_S2_
	.p2align	8
	.type	_Z28exclusive_scan_reduce_kernelILj377ELN6hipcub18BlockScanAlgorithmE1EhEvPT1_S3_S2_,@function
_Z28exclusive_scan_reduce_kernelILj377ELN6hipcub18BlockScanAlgorithmE1EhEvPT1_S3_S2_: ; @_Z28exclusive_scan_reduce_kernelILj377ELN6hipcub18BlockScanAlgorithmE1EhEvPT1_S3_S2_
; %bb.0:
	s_load_dwordx4 s[0:3], s[4:5], 0x0
	s_mul_i32 s7, s6, 0x179
	v_add_u32_e32 v2, s7, v0
	s_waitcnt lgkmcnt(0)
	global_load_ubyte v1, v2, s[0:1]
	v_mov_b32_e32 v3, s1
	v_add_co_u32_e32 v2, vcc, s0, v2
	v_addc_co_u32_e32 v3, vcc, 0, v3, vcc
	v_cmp_gt_u32_e32 vcc, 64, v0
	s_waitcnt vmcnt(0)
	ds_write_b8 v0, v1
	s_waitcnt lgkmcnt(0)
	s_barrier
	s_and_saveexec_b64 s[0:1], vcc
	s_cbranch_execz .LBB96_2
; %bb.1:
	v_mul_u32_u24_e32 v4, 6, v0
	ds_read_u8 v5, v4
	ds_read_u8 v6, v4 offset:1
	ds_read_u8 v7, v4 offset:2
	;; [unrolled: 1-line block ×5, first 2 shown]
	s_waitcnt lgkmcnt(4)
	v_add_u16_e32 v11, v6, v5
	s_waitcnt lgkmcnt(3)
	v_add_u16_e32 v11, v11, v7
	s_waitcnt lgkmcnt(2)
	v_add_u16_e32 v11, v11, v8
	s_waitcnt lgkmcnt(1)
	v_add_u16_e32 v11, v11, v9
	v_mbcnt_lo_u32_b32 v12, -1, 0
	s_waitcnt lgkmcnt(0)
	v_add_u16_e32 v11, v11, v10
	v_mbcnt_hi_u32_b32 v12, -1, v12
	v_and_b32_e32 v13, 15, v12
	v_and_b32_e32 v14, 0xff, v11
	v_cmp_ne_u32_e32 vcc, 0, v13
	s_nop 0
	v_mov_b32_dpp v14, v14 row_shr:1 row_mask:0xf bank_mask:0xf
	v_cndmask_b32_e32 v14, 0, v14, vcc
	v_add_u16_e32 v11, v14, v11
	v_and_b32_e32 v14, 0xff, v11
	v_cmp_lt_u32_e32 vcc, 1, v13
	s_nop 0
	v_mov_b32_dpp v14, v14 row_shr:2 row_mask:0xf bank_mask:0xf
	v_cndmask_b32_e32 v14, 0, v14, vcc
	v_add_u16_e32 v11, v11, v14
	v_and_b32_e32 v14, 0xff, v11
	v_cmp_lt_u32_e32 vcc, 3, v13
	s_nop 0
	v_mov_b32_dpp v14, v14 row_shr:4 row_mask:0xf bank_mask:0xf
	v_cndmask_b32_e32 v14, 0, v14, vcc
	v_add_u16_e32 v11, v11, v14
	v_and_b32_e32 v14, 0xff, v11
	v_cmp_lt_u32_e32 vcc, 7, v13
	s_nop 0
	v_mov_b32_dpp v14, v14 row_shr:8 row_mask:0xf bank_mask:0xf
	v_cndmask_b32_e32 v13, 0, v14, vcc
	v_add_u16_e32 v11, v11, v13
	v_and_b32_e32 v13, 0xff, v11
	v_and_b32_e32 v14, 16, v12
	v_cmp_ne_u32_e32 vcc, 0, v14
	v_mov_b32_dpp v13, v13 row_bcast:15 row_mask:0xf bank_mask:0xf
	v_cndmask_b32_e32 v13, 0, v13, vcc
	v_add_u16_e32 v11, v11, v13
	v_and_b32_e32 v13, 0xff, v11
	v_cmp_lt_u32_e32 vcc, 31, v12
	v_and_b32_e32 v14, 64, v12
	v_mov_b32_dpp v13, v13 row_bcast:31 row_mask:0xf bank_mask:0xf
	v_cndmask_b32_e32 v13, 0, v13, vcc
	v_add_u16_e32 v11, v11, v13
	v_add_u32_e32 v13, -1, v12
	v_cmp_lt_i32_e32 vcc, v13, v14
	v_cndmask_b32_e32 v12, v13, v12, vcc
	v_and_b32_e32 v11, 0xff, v11
	v_lshlrev_b32_e32 v12, 2, v12
	ds_bpermute_b32 v11, v12, v11
	v_cmp_eq_u32_e32 vcc, 0, v0
	s_waitcnt lgkmcnt(0)
	v_add_u16_e32 v5, v5, v11
	v_cndmask_b32_e32 v1, v5, v1, vcc
	ds_write_b8 v4, v1
	v_add_u16_e32 v1, v1, v6
	ds_write_b8 v4, v1 offset:1
	v_add_u16_e32 v1, v1, v7
	ds_write_b8 v4, v1 offset:2
	;; [unrolled: 2-line block ×5, first 2 shown]
.LBB96_2:
	s_or_b64 exec, exec, s[0:1]
	s_load_dword s7, s[4:5], 0x10
	v_cmp_eq_u32_e32 vcc, 0, v0
	v_cmp_ne_u32_e64 s[0:1], 0, v0
	s_waitcnt lgkmcnt(0)
	s_barrier
	v_mov_b32_e32 v1, s7
	s_and_saveexec_b64 s[4:5], s[0:1]
	s_cbranch_execnz .LBB96_5
; %bb.3:
	s_or_b64 exec, exec, s[4:5]
	global_store_byte v[2:3], v1, off
	s_and_saveexec_b64 s[0:1], vcc
	s_cbranch_execnz .LBB96_6
.LBB96_4:
	s_endpgm
.LBB96_5:
	v_add_u32_e32 v0, -1, v0
	ds_read_u8 v0, v0
	s_waitcnt lgkmcnt(0)
	v_add_u16_e32 v1, s7, v0
	s_or_b64 exec, exec, s[4:5]
	global_store_byte v[2:3], v1, off
	s_and_saveexec_b64 s[0:1], vcc
	s_cbranch_execz .LBB96_4
.LBB96_6:
	v_mov_b32_e32 v0, 0
	ds_read_u8 v0, v0 offset:376
	v_mov_b32_e32 v1, s6
	s_waitcnt lgkmcnt(0)
	global_store_byte v1, v0, s[2:3]
	s_endpgm
	.section	.rodata,"a",@progbits
	.p2align	6, 0x0
	.amdhsa_kernel _Z28exclusive_scan_reduce_kernelILj377ELN6hipcub18BlockScanAlgorithmE1EhEvPT1_S3_S2_
		.amdhsa_group_segment_fixed_size 384
		.amdhsa_private_segment_fixed_size 0
		.amdhsa_kernarg_size 20
		.amdhsa_user_sgpr_count 6
		.amdhsa_user_sgpr_private_segment_buffer 1
		.amdhsa_user_sgpr_dispatch_ptr 0
		.amdhsa_user_sgpr_queue_ptr 0
		.amdhsa_user_sgpr_kernarg_segment_ptr 1
		.amdhsa_user_sgpr_dispatch_id 0
		.amdhsa_user_sgpr_flat_scratch_init 0
		.amdhsa_user_sgpr_kernarg_preload_length 0
		.amdhsa_user_sgpr_kernarg_preload_offset 0
		.amdhsa_user_sgpr_private_segment_size 0
		.amdhsa_uses_dynamic_stack 0
		.amdhsa_system_sgpr_private_segment_wavefront_offset 0
		.amdhsa_system_sgpr_workgroup_id_x 1
		.amdhsa_system_sgpr_workgroup_id_y 0
		.amdhsa_system_sgpr_workgroup_id_z 0
		.amdhsa_system_sgpr_workgroup_info 0
		.amdhsa_system_vgpr_workitem_id 0
		.amdhsa_next_free_vgpr 15
		.amdhsa_next_free_sgpr 8
		.amdhsa_accum_offset 16
		.amdhsa_reserve_vcc 1
		.amdhsa_reserve_flat_scratch 0
		.amdhsa_float_round_mode_32 0
		.amdhsa_float_round_mode_16_64 0
		.amdhsa_float_denorm_mode_32 3
		.amdhsa_float_denorm_mode_16_64 3
		.amdhsa_dx10_clamp 1
		.amdhsa_ieee_mode 1
		.amdhsa_fp16_overflow 0
		.amdhsa_tg_split 0
		.amdhsa_exception_fp_ieee_invalid_op 0
		.amdhsa_exception_fp_denorm_src 0
		.amdhsa_exception_fp_ieee_div_zero 0
		.amdhsa_exception_fp_ieee_overflow 0
		.amdhsa_exception_fp_ieee_underflow 0
		.amdhsa_exception_fp_ieee_inexact 0
		.amdhsa_exception_int_div_zero 0
	.end_amdhsa_kernel
	.section	.text._Z28exclusive_scan_reduce_kernelILj377ELN6hipcub18BlockScanAlgorithmE1EhEvPT1_S3_S2_,"axG",@progbits,_Z28exclusive_scan_reduce_kernelILj377ELN6hipcub18BlockScanAlgorithmE1EhEvPT1_S3_S2_,comdat
.Lfunc_end96:
	.size	_Z28exclusive_scan_reduce_kernelILj377ELN6hipcub18BlockScanAlgorithmE1EhEvPT1_S3_S2_, .Lfunc_end96-_Z28exclusive_scan_reduce_kernelILj377ELN6hipcub18BlockScanAlgorithmE1EhEvPT1_S3_S2_
                                        ; -- End function
	.section	.AMDGPU.csdata,"",@progbits
; Kernel info:
; codeLenInByte = 636
; NumSgprs: 12
; NumVgprs: 15
; NumAgprs: 0
; TotalNumVgprs: 15
; ScratchSize: 0
; MemoryBound: 0
; FloatMode: 240
; IeeeMode: 1
; LDSByteSize: 384 bytes/workgroup (compile time only)
; SGPRBlocks: 1
; VGPRBlocks: 1
; NumSGPRsForWavesPerEU: 12
; NumVGPRsForWavesPerEU: 15
; AccumOffset: 16
; Occupancy: 8
; WaveLimiterHint : 0
; COMPUTE_PGM_RSRC2:SCRATCH_EN: 0
; COMPUTE_PGM_RSRC2:USER_SGPR: 6
; COMPUTE_PGM_RSRC2:TRAP_HANDLER: 0
; COMPUTE_PGM_RSRC2:TGID_X_EN: 1
; COMPUTE_PGM_RSRC2:TGID_Y_EN: 0
; COMPUTE_PGM_RSRC2:TGID_Z_EN: 0
; COMPUTE_PGM_RSRC2:TIDIG_COMP_CNT: 0
; COMPUTE_PGM_RSRC3_GFX90A:ACCUM_OFFSET: 3
; COMPUTE_PGM_RSRC3_GFX90A:TG_SPLIT: 0
	.section	.text._Z28exclusive_scan_reduce_kernelILj377ELN6hipcub18BlockScanAlgorithmE1EiEvPT1_S3_S2_,"axG",@progbits,_Z28exclusive_scan_reduce_kernelILj377ELN6hipcub18BlockScanAlgorithmE1EiEvPT1_S3_S2_,comdat
	.protected	_Z28exclusive_scan_reduce_kernelILj377ELN6hipcub18BlockScanAlgorithmE1EiEvPT1_S3_S2_ ; -- Begin function _Z28exclusive_scan_reduce_kernelILj377ELN6hipcub18BlockScanAlgorithmE1EiEvPT1_S3_S2_
	.globl	_Z28exclusive_scan_reduce_kernelILj377ELN6hipcub18BlockScanAlgorithmE1EiEvPT1_S3_S2_
	.p2align	8
	.type	_Z28exclusive_scan_reduce_kernelILj377ELN6hipcub18BlockScanAlgorithmE1EiEvPT1_S3_S2_,@function
_Z28exclusive_scan_reduce_kernelILj377ELN6hipcub18BlockScanAlgorithmE1EiEvPT1_S3_S2_: ; @_Z28exclusive_scan_reduce_kernelILj377ELN6hipcub18BlockScanAlgorithmE1EiEvPT1_S3_S2_
; %bb.0:
	s_load_dwordx4 s[0:3], s[4:5], 0x0
	s_mul_i32 s7, s6, 0x179
	v_add_u32_e32 v2, s7, v0
	v_mov_b32_e32 v3, 0
	v_lshlrev_b64 v[2:3], 2, v[2:3]
	s_waitcnt lgkmcnt(0)
	v_mov_b32_e32 v1, s1
	v_add_co_u32_e32 v2, vcc, s0, v2
	v_addc_co_u32_e32 v3, vcc, v1, v3, vcc
	global_load_dword v4, v[2:3], off
	v_lshlrev_b32_e32 v1, 2, v0
	v_cmp_gt_u32_e32 vcc, 64, v0
	s_waitcnt vmcnt(0)
	ds_write_b32 v1, v4
	s_waitcnt lgkmcnt(0)
	s_barrier
	s_and_saveexec_b64 s[0:1], vcc
	s_cbranch_execz .LBB97_2
; %bb.1:
	v_mul_u32_u24_e32 v5, 6, v0
	v_lshlrev_b32_e32 v5, 2, v5
	ds_read2_b32 v[6:7], v5 offset1:1
	ds_read2_b32 v[8:9], v5 offset0:2 offset1:3
	ds_read2_b32 v[10:11], v5 offset0:4 offset1:5
	v_mbcnt_lo_u32_b32 v12, -1, 0
	v_mbcnt_hi_u32_b32 v12, -1, v12
	s_waitcnt lgkmcnt(2)
	v_add_u32_e32 v13, v7, v6
	s_waitcnt lgkmcnt(1)
	v_add3_u32 v13, v13, v8, v9
	s_waitcnt lgkmcnt(0)
	v_add3_u32 v13, v13, v10, v11
	v_and_b32_e32 v14, 15, v12
	v_cmp_ne_u32_e32 vcc, 0, v14
	v_mov_b32_dpp v15, v13 row_shr:1 row_mask:0xf bank_mask:0xf
	v_cndmask_b32_e32 v15, 0, v15, vcc
	v_add_u32_e32 v13, v15, v13
	v_cmp_lt_u32_e32 vcc, 1, v14
	s_nop 0
	v_mov_b32_dpp v15, v13 row_shr:2 row_mask:0xf bank_mask:0xf
	v_cndmask_b32_e32 v15, 0, v15, vcc
	v_add_u32_e32 v13, v13, v15
	v_cmp_lt_u32_e32 vcc, 3, v14
	s_nop 0
	;; [unrolled: 5-line block ×3, first 2 shown]
	v_mov_b32_dpp v15, v13 row_shr:8 row_mask:0xf bank_mask:0xf
	v_cndmask_b32_e32 v14, 0, v15, vcc
	v_add_u32_e32 v13, v13, v14
	v_bfe_i32 v15, v12, 4, 1
	v_cmp_lt_u32_e32 vcc, 31, v12
	v_mov_b32_dpp v14, v13 row_bcast:15 row_mask:0xf bank_mask:0xf
	v_and_b32_e32 v14, v15, v14
	v_add_u32_e32 v13, v13, v14
	v_and_b32_e32 v15, 64, v12
	s_nop 0
	v_mov_b32_dpp v14, v13 row_bcast:31 row_mask:0xf bank_mask:0xf
	v_cndmask_b32_e32 v14, 0, v14, vcc
	v_add_u32_e32 v13, v13, v14
	v_add_u32_e32 v14, -1, v12
	v_cmp_lt_i32_e32 vcc, v14, v15
	v_cndmask_b32_e32 v12, v14, v12, vcc
	v_lshlrev_b32_e32 v12, 2, v12
	ds_bpermute_b32 v12, v12, v13
	v_cmp_eq_u32_e32 vcc, 0, v0
	s_waitcnt lgkmcnt(0)
	v_add_u32_e32 v6, v12, v6
	v_cndmask_b32_e32 v4, v6, v4, vcc
	v_add_u32_e32 v6, v4, v7
	ds_write2_b32 v5, v4, v6 offset1:1
	v_add_u32_e32 v4, v6, v8
	v_add_u32_e32 v6, v4, v9
	ds_write2_b32 v5, v4, v6 offset0:2 offset1:3
	v_add_u32_e32 v4, v6, v10
	v_add_u32_e32 v6, v4, v11
	ds_write2_b32 v5, v4, v6 offset0:4 offset1:5
.LBB97_2:
	s_or_b64 exec, exec, s[0:1]
	s_load_dword s7, s[4:5], 0x10
	v_cmp_eq_u32_e32 vcc, 0, v0
	v_cmp_ne_u32_e64 s[0:1], 0, v0
	s_waitcnt lgkmcnt(0)
	s_barrier
	v_mov_b32_e32 v0, s7
	s_and_saveexec_b64 s[4:5], s[0:1]
	s_cbranch_execnz .LBB97_5
; %bb.3:
	s_or_b64 exec, exec, s[4:5]
	global_store_dword v[2:3], v0, off
	s_and_saveexec_b64 s[0:1], vcc
	s_cbranch_execnz .LBB97_6
.LBB97_4:
	s_endpgm
.LBB97_5:
	v_add_u32_e32 v0, -4, v1
	ds_read_b32 v0, v0
	s_waitcnt lgkmcnt(0)
	v_add_u32_e32 v0, s7, v0
	s_or_b64 exec, exec, s[4:5]
	global_store_dword v[2:3], v0, off
	s_and_saveexec_b64 s[0:1], vcc
	s_cbranch_execz .LBB97_4
.LBB97_6:
	v_mov_b32_e32 v0, 0
	ds_read_b32 v1, v0 offset:1504
	s_mov_b32 s7, 0
	s_lshl_b64 s[0:1], s[6:7], 2
	s_add_u32 s0, s2, s0
	s_addc_u32 s1, s3, s1
	s_waitcnt lgkmcnt(0)
	global_store_dword v0, v1, s[0:1]
	s_endpgm
	.section	.rodata,"a",@progbits
	.p2align	6, 0x0
	.amdhsa_kernel _Z28exclusive_scan_reduce_kernelILj377ELN6hipcub18BlockScanAlgorithmE1EiEvPT1_S3_S2_
		.amdhsa_group_segment_fixed_size 1536
		.amdhsa_private_segment_fixed_size 0
		.amdhsa_kernarg_size 20
		.amdhsa_user_sgpr_count 6
		.amdhsa_user_sgpr_private_segment_buffer 1
		.amdhsa_user_sgpr_dispatch_ptr 0
		.amdhsa_user_sgpr_queue_ptr 0
		.amdhsa_user_sgpr_kernarg_segment_ptr 1
		.amdhsa_user_sgpr_dispatch_id 0
		.amdhsa_user_sgpr_flat_scratch_init 0
		.amdhsa_user_sgpr_kernarg_preload_length 0
		.amdhsa_user_sgpr_kernarg_preload_offset 0
		.amdhsa_user_sgpr_private_segment_size 0
		.amdhsa_uses_dynamic_stack 0
		.amdhsa_system_sgpr_private_segment_wavefront_offset 0
		.amdhsa_system_sgpr_workgroup_id_x 1
		.amdhsa_system_sgpr_workgroup_id_y 0
		.amdhsa_system_sgpr_workgroup_id_z 0
		.amdhsa_system_sgpr_workgroup_info 0
		.amdhsa_system_vgpr_workitem_id 0
		.amdhsa_next_free_vgpr 16
		.amdhsa_next_free_sgpr 8
		.amdhsa_accum_offset 16
		.amdhsa_reserve_vcc 1
		.amdhsa_reserve_flat_scratch 0
		.amdhsa_float_round_mode_32 0
		.amdhsa_float_round_mode_16_64 0
		.amdhsa_float_denorm_mode_32 3
		.amdhsa_float_denorm_mode_16_64 3
		.amdhsa_dx10_clamp 1
		.amdhsa_ieee_mode 1
		.amdhsa_fp16_overflow 0
		.amdhsa_tg_split 0
		.amdhsa_exception_fp_ieee_invalid_op 0
		.amdhsa_exception_fp_denorm_src 0
		.amdhsa_exception_fp_ieee_div_zero 0
		.amdhsa_exception_fp_ieee_overflow 0
		.amdhsa_exception_fp_ieee_underflow 0
		.amdhsa_exception_fp_ieee_inexact 0
		.amdhsa_exception_int_div_zero 0
	.end_amdhsa_kernel
	.section	.text._Z28exclusive_scan_reduce_kernelILj377ELN6hipcub18BlockScanAlgorithmE1EiEvPT1_S3_S2_,"axG",@progbits,_Z28exclusive_scan_reduce_kernelILj377ELN6hipcub18BlockScanAlgorithmE1EiEvPT1_S3_S2_,comdat
.Lfunc_end97:
	.size	_Z28exclusive_scan_reduce_kernelILj377ELN6hipcub18BlockScanAlgorithmE1EiEvPT1_S3_S2_, .Lfunc_end97-_Z28exclusive_scan_reduce_kernelILj377ELN6hipcub18BlockScanAlgorithmE1EiEvPT1_S3_S2_
                                        ; -- End function
	.section	.AMDGPU.csdata,"",@progbits
; Kernel info:
; codeLenInByte = 556
; NumSgprs: 12
; NumVgprs: 16
; NumAgprs: 0
; TotalNumVgprs: 16
; ScratchSize: 0
; MemoryBound: 0
; FloatMode: 240
; IeeeMode: 1
; LDSByteSize: 1536 bytes/workgroup (compile time only)
; SGPRBlocks: 1
; VGPRBlocks: 1
; NumSGPRsForWavesPerEU: 12
; NumVGPRsForWavesPerEU: 16
; AccumOffset: 16
; Occupancy: 8
; WaveLimiterHint : 0
; COMPUTE_PGM_RSRC2:SCRATCH_EN: 0
; COMPUTE_PGM_RSRC2:USER_SGPR: 6
; COMPUTE_PGM_RSRC2:TRAP_HANDLER: 0
; COMPUTE_PGM_RSRC2:TGID_X_EN: 1
; COMPUTE_PGM_RSRC2:TGID_Y_EN: 0
; COMPUTE_PGM_RSRC2:TGID_Z_EN: 0
; COMPUTE_PGM_RSRC2:TIDIG_COMP_CNT: 0
; COMPUTE_PGM_RSRC3_GFX90A:ACCUM_OFFSET: 3
; COMPUTE_PGM_RSRC3_GFX90A:TG_SPLIT: 0
	.section	.text._Z28exclusive_scan_reduce_kernelILj255ELN6hipcub18BlockScanAlgorithmE1EjEvPT1_S3_S2_,"axG",@progbits,_Z28exclusive_scan_reduce_kernelILj255ELN6hipcub18BlockScanAlgorithmE1EjEvPT1_S3_S2_,comdat
	.protected	_Z28exclusive_scan_reduce_kernelILj255ELN6hipcub18BlockScanAlgorithmE1EjEvPT1_S3_S2_ ; -- Begin function _Z28exclusive_scan_reduce_kernelILj255ELN6hipcub18BlockScanAlgorithmE1EjEvPT1_S3_S2_
	.globl	_Z28exclusive_scan_reduce_kernelILj255ELN6hipcub18BlockScanAlgorithmE1EjEvPT1_S3_S2_
	.p2align	8
	.type	_Z28exclusive_scan_reduce_kernelILj255ELN6hipcub18BlockScanAlgorithmE1EjEvPT1_S3_S2_,@function
_Z28exclusive_scan_reduce_kernelILj255ELN6hipcub18BlockScanAlgorithmE1EjEvPT1_S3_S2_: ; @_Z28exclusive_scan_reduce_kernelILj255ELN6hipcub18BlockScanAlgorithmE1EjEvPT1_S3_S2_
; %bb.0:
	s_load_dwordx4 s[0:3], s[4:5], 0x0
	s_mul_i32 s7, s6, 0xff
	v_add_u32_e32 v2, s7, v0
	v_mov_b32_e32 v3, 0
	v_lshlrev_b64 v[2:3], 2, v[2:3]
	s_waitcnt lgkmcnt(0)
	v_mov_b32_e32 v1, s1
	v_add_co_u32_e32 v2, vcc, s0, v2
	v_addc_co_u32_e32 v3, vcc, v1, v3, vcc
	global_load_dword v1, v[2:3], off
	v_lshrrev_b32_e32 v4, 5, v0
	v_add_lshl_u32 v4, v4, v0, 2
	v_cmp_gt_u32_e32 vcc, 64, v0
	s_waitcnt vmcnt(0)
	ds_write_b32 v4, v1
	s_waitcnt lgkmcnt(0)
	s_barrier
	s_and_saveexec_b64 s[0:1], vcc
	s_cbranch_execz .LBB98_2
; %bb.1:
	v_lshlrev_b32_e32 v4, 2, v0
	v_lshrrev_b32_e32 v5, 3, v0
	v_add_lshl_u32 v8, v5, v4, 2
	ds_read2_b32 v[4:5], v8 offset1:1
	ds_read2_b32 v[6:7], v8 offset0:2 offset1:3
	v_mbcnt_lo_u32_b32 v9, -1, 0
	v_mbcnt_hi_u32_b32 v9, -1, v9
	v_and_b32_e32 v11, 15, v9
	s_waitcnt lgkmcnt(1)
	v_add_u32_e32 v10, v5, v4
	s_waitcnt lgkmcnt(0)
	v_add3_u32 v10, v10, v6, v7
	v_cmp_ne_u32_e32 vcc, 0, v11
	s_nop 0
	v_mov_b32_dpp v12, v10 row_shr:1 row_mask:0xf bank_mask:0xf
	v_cndmask_b32_e32 v12, 0, v12, vcc
	v_add_u32_e32 v10, v12, v10
	v_cmp_lt_u32_e32 vcc, 1, v11
	s_nop 0
	v_mov_b32_dpp v12, v10 row_shr:2 row_mask:0xf bank_mask:0xf
	v_cndmask_b32_e32 v12, 0, v12, vcc
	v_add_u32_e32 v10, v10, v12
	v_cmp_lt_u32_e32 vcc, 3, v11
	;; [unrolled: 5-line block ×3, first 2 shown]
	s_nop 0
	v_mov_b32_dpp v12, v10 row_shr:8 row_mask:0xf bank_mask:0xf
	v_cndmask_b32_e32 v11, 0, v12, vcc
	v_add_u32_e32 v10, v10, v11
	v_bfe_i32 v12, v9, 4, 1
	v_cmp_lt_u32_e32 vcc, 31, v9
	v_mov_b32_dpp v11, v10 row_bcast:15 row_mask:0xf bank_mask:0xf
	v_and_b32_e32 v11, v12, v11
	v_add_u32_e32 v10, v10, v11
	v_and_b32_e32 v12, 64, v9
	s_nop 0
	v_mov_b32_dpp v11, v10 row_bcast:31 row_mask:0xf bank_mask:0xf
	v_cndmask_b32_e32 v11, 0, v11, vcc
	v_add_u32_e32 v10, v10, v11
	v_add_u32_e32 v11, -1, v9
	v_cmp_lt_i32_e32 vcc, v11, v12
	v_cndmask_b32_e32 v9, v11, v9, vcc
	v_lshlrev_b32_e32 v9, 2, v9
	ds_bpermute_b32 v9, v9, v10
	v_cmp_eq_u32_e32 vcc, 0, v0
	s_waitcnt lgkmcnt(0)
	v_add_u32_e32 v4, v9, v4
	v_cndmask_b32_e32 v1, v4, v1, vcc
	v_add_u32_e32 v4, v1, v5
	ds_write2_b32 v8, v1, v4 offset1:1
	v_add_u32_e32 v1, v4, v6
	v_add_u32_e32 v4, v1, v7
	ds_write2_b32 v8, v1, v4 offset0:2 offset1:3
.LBB98_2:
	s_or_b64 exec, exec, s[0:1]
	s_load_dword s7, s[4:5], 0x10
	v_cmp_eq_u32_e32 vcc, 0, v0
	v_cmp_ne_u32_e64 s[0:1], 0, v0
	s_waitcnt lgkmcnt(0)
	s_barrier
	v_mov_b32_e32 v1, s7
	s_and_saveexec_b64 s[4:5], s[0:1]
	s_cbranch_execnz .LBB98_5
; %bb.3:
	s_or_b64 exec, exec, s[4:5]
	global_store_dword v[2:3], v1, off
	s_and_saveexec_b64 s[0:1], vcc
	s_cbranch_execnz .LBB98_6
.LBB98_4:
	s_endpgm
.LBB98_5:
	v_add_u32_e32 v0, -1, v0
	v_lshrrev_b32_e32 v1, 5, v0
	v_add_lshl_u32 v0, v1, v0, 2
	ds_read_b32 v0, v0
	s_waitcnt lgkmcnt(0)
	v_add_u32_e32 v1, s7, v0
	s_or_b64 exec, exec, s[4:5]
	global_store_dword v[2:3], v1, off
	s_and_saveexec_b64 s[0:1], vcc
	s_cbranch_execz .LBB98_4
.LBB98_6:
	v_mov_b32_e32 v0, 0
	ds_read_b32 v1, v0 offset:1044
	s_mov_b32 s7, 0
	s_lshl_b64 s[0:1], s[6:7], 2
	s_add_u32 s0, s2, s0
	s_addc_u32 s1, s3, s1
	s_waitcnt lgkmcnt(0)
	global_store_dword v0, v1, s[0:1]
	s_endpgm
	.section	.rodata,"a",@progbits
	.p2align	6, 0x0
	.amdhsa_kernel _Z28exclusive_scan_reduce_kernelILj255ELN6hipcub18BlockScanAlgorithmE1EjEvPT1_S3_S2_
		.amdhsa_group_segment_fixed_size 1056
		.amdhsa_private_segment_fixed_size 0
		.amdhsa_kernarg_size 20
		.amdhsa_user_sgpr_count 6
		.amdhsa_user_sgpr_private_segment_buffer 1
		.amdhsa_user_sgpr_dispatch_ptr 0
		.amdhsa_user_sgpr_queue_ptr 0
		.amdhsa_user_sgpr_kernarg_segment_ptr 1
		.amdhsa_user_sgpr_dispatch_id 0
		.amdhsa_user_sgpr_flat_scratch_init 0
		.amdhsa_user_sgpr_kernarg_preload_length 0
		.amdhsa_user_sgpr_kernarg_preload_offset 0
		.amdhsa_user_sgpr_private_segment_size 0
		.amdhsa_uses_dynamic_stack 0
		.amdhsa_system_sgpr_private_segment_wavefront_offset 0
		.amdhsa_system_sgpr_workgroup_id_x 1
		.amdhsa_system_sgpr_workgroup_id_y 0
		.amdhsa_system_sgpr_workgroup_id_z 0
		.amdhsa_system_sgpr_workgroup_info 0
		.amdhsa_system_vgpr_workitem_id 0
		.amdhsa_next_free_vgpr 13
		.amdhsa_next_free_sgpr 8
		.amdhsa_accum_offset 16
		.amdhsa_reserve_vcc 1
		.amdhsa_reserve_flat_scratch 0
		.amdhsa_float_round_mode_32 0
		.amdhsa_float_round_mode_16_64 0
		.amdhsa_float_denorm_mode_32 3
		.amdhsa_float_denorm_mode_16_64 3
		.amdhsa_dx10_clamp 1
		.amdhsa_ieee_mode 1
		.amdhsa_fp16_overflow 0
		.amdhsa_tg_split 0
		.amdhsa_exception_fp_ieee_invalid_op 0
		.amdhsa_exception_fp_denorm_src 0
		.amdhsa_exception_fp_ieee_div_zero 0
		.amdhsa_exception_fp_ieee_overflow 0
		.amdhsa_exception_fp_ieee_underflow 0
		.amdhsa_exception_fp_ieee_inexact 0
		.amdhsa_exception_int_div_zero 0
	.end_amdhsa_kernel
	.section	.text._Z28exclusive_scan_reduce_kernelILj255ELN6hipcub18BlockScanAlgorithmE1EjEvPT1_S3_S2_,"axG",@progbits,_Z28exclusive_scan_reduce_kernelILj255ELN6hipcub18BlockScanAlgorithmE1EjEvPT1_S3_S2_,comdat
.Lfunc_end98:
	.size	_Z28exclusive_scan_reduce_kernelILj255ELN6hipcub18BlockScanAlgorithmE1EjEvPT1_S3_S2_, .Lfunc_end98-_Z28exclusive_scan_reduce_kernelILj255ELN6hipcub18BlockScanAlgorithmE1EjEvPT1_S3_S2_
                                        ; -- End function
	.section	.AMDGPU.csdata,"",@progbits
; Kernel info:
; codeLenInByte = 552
; NumSgprs: 12
; NumVgprs: 13
; NumAgprs: 0
; TotalNumVgprs: 13
; ScratchSize: 0
; MemoryBound: 0
; FloatMode: 240
; IeeeMode: 1
; LDSByteSize: 1056 bytes/workgroup (compile time only)
; SGPRBlocks: 1
; VGPRBlocks: 1
; NumSGPRsForWavesPerEU: 12
; NumVGPRsForWavesPerEU: 13
; AccumOffset: 16
; Occupancy: 8
; WaveLimiterHint : 0
; COMPUTE_PGM_RSRC2:SCRATCH_EN: 0
; COMPUTE_PGM_RSRC2:USER_SGPR: 6
; COMPUTE_PGM_RSRC2:TRAP_HANDLER: 0
; COMPUTE_PGM_RSRC2:TGID_X_EN: 1
; COMPUTE_PGM_RSRC2:TGID_Y_EN: 0
; COMPUTE_PGM_RSRC2:TGID_Z_EN: 0
; COMPUTE_PGM_RSRC2:TIDIG_COMP_CNT: 0
; COMPUTE_PGM_RSRC3_GFX90A:ACCUM_OFFSET: 3
; COMPUTE_PGM_RSRC3_GFX90A:TG_SPLIT: 0
	.section	.text._Z28exclusive_scan_reduce_kernelILj162ELN6hipcub18BlockScanAlgorithmE1EsEvPT1_S3_S2_,"axG",@progbits,_Z28exclusive_scan_reduce_kernelILj162ELN6hipcub18BlockScanAlgorithmE1EsEvPT1_S3_S2_,comdat
	.protected	_Z28exclusive_scan_reduce_kernelILj162ELN6hipcub18BlockScanAlgorithmE1EsEvPT1_S3_S2_ ; -- Begin function _Z28exclusive_scan_reduce_kernelILj162ELN6hipcub18BlockScanAlgorithmE1EsEvPT1_S3_S2_
	.globl	_Z28exclusive_scan_reduce_kernelILj162ELN6hipcub18BlockScanAlgorithmE1EsEvPT1_S3_S2_
	.p2align	8
	.type	_Z28exclusive_scan_reduce_kernelILj162ELN6hipcub18BlockScanAlgorithmE1EsEvPT1_S3_S2_,@function
_Z28exclusive_scan_reduce_kernelILj162ELN6hipcub18BlockScanAlgorithmE1EsEvPT1_S3_S2_: ; @_Z28exclusive_scan_reduce_kernelILj162ELN6hipcub18BlockScanAlgorithmE1EsEvPT1_S3_S2_
; %bb.0:
	s_load_dwordx4 s[0:3], s[4:5], 0x0
	s_mul_i32 s7, s6, 0xa2
	v_add_u32_e32 v2, s7, v0
	v_mov_b32_e32 v3, 0
	v_lshlrev_b64 v[2:3], 1, v[2:3]
	s_waitcnt lgkmcnt(0)
	v_mov_b32_e32 v1, s1
	v_add_co_u32_e32 v2, vcc, s0, v2
	v_addc_co_u32_e32 v3, vcc, v1, v3, vcc
	global_load_ushort v4, v[2:3], off
	v_lshlrev_b32_e32 v1, 1, v0
	v_cmp_gt_u32_e32 vcc, 64, v0
	s_waitcnt vmcnt(0)
	ds_write_b16 v1, v4
	s_waitcnt lgkmcnt(0)
	s_barrier
	s_and_saveexec_b64 s[0:1], vcc
	s_cbranch_execz .LBB99_2
; %bb.1:
	v_mul_u32_u24_e32 v5, 3, v0
	v_lshlrev_b32_e32 v5, 1, v5
	ds_read_u16 v6, v5
	ds_read_u16 v7, v5 offset:2
	ds_read_u16 v8, v5 offset:4
	v_mbcnt_lo_u32_b32 v9, -1, 0
	v_mbcnt_hi_u32_b32 v9, -1, v9
	v_and_b32_e32 v11, 15, v9
	s_waitcnt lgkmcnt(1)
	v_add_u16_e32 v10, v7, v6
	s_waitcnt lgkmcnt(0)
	v_add_u16_e32 v10, v10, v8
	v_cmp_ne_u32_e32 vcc, 0, v11
	s_nop 0
	v_mov_b32_dpp v12, v10 row_shr:1 row_mask:0xf bank_mask:0xf
	v_cndmask_b32_e32 v12, 0, v12, vcc
	v_add_u16_e32 v10, v12, v10
	v_cmp_lt_u32_e32 vcc, 1, v11
	s_nop 0
	v_mov_b32_dpp v12, v10 row_shr:2 row_mask:0xf bank_mask:0xf
	v_cndmask_b32_e32 v12, 0, v12, vcc
	v_add_u16_e32 v10, v10, v12
	v_cmp_lt_u32_e32 vcc, 3, v11
	;; [unrolled: 5-line block ×3, first 2 shown]
	s_nop 0
	v_mov_b32_dpp v12, v10 row_shr:8 row_mask:0xf bank_mask:0xf
	v_cndmask_b32_e32 v11, 0, v12, vcc
	v_add_u16_e32 v10, v10, v11
	v_and_b32_e32 v12, 16, v9
	v_cmp_ne_u32_e32 vcc, 0, v12
	v_mov_b32_dpp v11, v10 row_bcast:15 row_mask:0xf bank_mask:0xf
	v_cndmask_b32_e32 v11, 0, v11, vcc
	v_add_u16_e32 v10, v10, v11
	v_cmp_lt_u32_e32 vcc, 31, v9
	v_and_b32_e32 v12, 64, v9
	v_mov_b32_dpp v11, v10 row_bcast:31 row_mask:0xf bank_mask:0xf
	v_cndmask_b32_e32 v11, 0, v11, vcc
	v_add_u16_e32 v10, v10, v11
	v_add_u32_e32 v11, -1, v9
	v_cmp_lt_i32_e32 vcc, v11, v12
	v_cndmask_b32_e32 v9, v11, v9, vcc
	v_lshlrev_b32_e32 v9, 2, v9
	ds_bpermute_b32 v9, v9, v10
	v_cmp_eq_u32_e32 vcc, 0, v0
	s_waitcnt lgkmcnt(0)
	v_add_u16_e32 v6, v6, v9
	v_cndmask_b32_e32 v4, v6, v4, vcc
	ds_write_b16 v5, v4
	v_add_u16_e32 v4, v4, v7
	ds_write_b16 v5, v4 offset:2
	v_add_u16_e32 v4, v4, v8
	ds_write_b16 v5, v4 offset:4
.LBB99_2:
	s_or_b64 exec, exec, s[0:1]
	s_load_dword s7, s[4:5], 0x10
	v_cmp_eq_u32_e32 vcc, 0, v0
	v_cmp_ne_u32_e64 s[0:1], 0, v0
	s_waitcnt lgkmcnt(0)
	s_barrier
	v_mov_b32_e32 v0, s7
	s_and_saveexec_b64 s[4:5], s[0:1]
	s_cbranch_execnz .LBB99_5
; %bb.3:
	s_or_b64 exec, exec, s[4:5]
	global_store_short v[2:3], v0, off
	s_and_saveexec_b64 s[0:1], vcc
	s_cbranch_execnz .LBB99_6
.LBB99_4:
	s_endpgm
.LBB99_5:
	v_add_u32_e32 v0, -2, v1
	ds_read_u16 v0, v0
	s_waitcnt lgkmcnt(0)
	v_add_u16_e32 v0, s7, v0
	s_or_b64 exec, exec, s[4:5]
	global_store_short v[2:3], v0, off
	s_and_saveexec_b64 s[0:1], vcc
	s_cbranch_execz .LBB99_4
.LBB99_6:
	v_mov_b32_e32 v0, 0
	ds_read_u16 v1, v0 offset:322
	s_mov_b32 s7, 0
	s_lshl_b64 s[0:1], s[6:7], 1
	s_add_u32 s0, s2, s0
	s_addc_u32 s1, s3, s1
	s_waitcnt lgkmcnt(0)
	global_store_short v0, v1, s[0:1]
	s_endpgm
	.section	.rodata,"a",@progbits
	.p2align	6, 0x0
	.amdhsa_kernel _Z28exclusive_scan_reduce_kernelILj162ELN6hipcub18BlockScanAlgorithmE1EsEvPT1_S3_S2_
		.amdhsa_group_segment_fixed_size 384
		.amdhsa_private_segment_fixed_size 0
		.amdhsa_kernarg_size 20
		.amdhsa_user_sgpr_count 6
		.amdhsa_user_sgpr_private_segment_buffer 1
		.amdhsa_user_sgpr_dispatch_ptr 0
		.amdhsa_user_sgpr_queue_ptr 0
		.amdhsa_user_sgpr_kernarg_segment_ptr 1
		.amdhsa_user_sgpr_dispatch_id 0
		.amdhsa_user_sgpr_flat_scratch_init 0
		.amdhsa_user_sgpr_kernarg_preload_length 0
		.amdhsa_user_sgpr_kernarg_preload_offset 0
		.amdhsa_user_sgpr_private_segment_size 0
		.amdhsa_uses_dynamic_stack 0
		.amdhsa_system_sgpr_private_segment_wavefront_offset 0
		.amdhsa_system_sgpr_workgroup_id_x 1
		.amdhsa_system_sgpr_workgroup_id_y 0
		.amdhsa_system_sgpr_workgroup_id_z 0
		.amdhsa_system_sgpr_workgroup_info 0
		.amdhsa_system_vgpr_workitem_id 0
		.amdhsa_next_free_vgpr 13
		.amdhsa_next_free_sgpr 8
		.amdhsa_accum_offset 16
		.amdhsa_reserve_vcc 1
		.amdhsa_reserve_flat_scratch 0
		.amdhsa_float_round_mode_32 0
		.amdhsa_float_round_mode_16_64 0
		.amdhsa_float_denorm_mode_32 3
		.amdhsa_float_denorm_mode_16_64 3
		.amdhsa_dx10_clamp 1
		.amdhsa_ieee_mode 1
		.amdhsa_fp16_overflow 0
		.amdhsa_tg_split 0
		.amdhsa_exception_fp_ieee_invalid_op 0
		.amdhsa_exception_fp_denorm_src 0
		.amdhsa_exception_fp_ieee_div_zero 0
		.amdhsa_exception_fp_ieee_overflow 0
		.amdhsa_exception_fp_ieee_underflow 0
		.amdhsa_exception_fp_ieee_inexact 0
		.amdhsa_exception_int_div_zero 0
	.end_amdhsa_kernel
	.section	.text._Z28exclusive_scan_reduce_kernelILj162ELN6hipcub18BlockScanAlgorithmE1EsEvPT1_S3_S2_,"axG",@progbits,_Z28exclusive_scan_reduce_kernelILj162ELN6hipcub18BlockScanAlgorithmE1EsEvPT1_S3_S2_,comdat
.Lfunc_end99:
	.size	_Z28exclusive_scan_reduce_kernelILj162ELN6hipcub18BlockScanAlgorithmE1EsEvPT1_S3_S2_, .Lfunc_end99-_Z28exclusive_scan_reduce_kernelILj162ELN6hipcub18BlockScanAlgorithmE1EsEvPT1_S3_S2_
                                        ; -- End function
	.section	.AMDGPU.csdata,"",@progbits
; Kernel info:
; codeLenInByte = 528
; NumSgprs: 12
; NumVgprs: 13
; NumAgprs: 0
; TotalNumVgprs: 13
; ScratchSize: 0
; MemoryBound: 0
; FloatMode: 240
; IeeeMode: 1
; LDSByteSize: 384 bytes/workgroup (compile time only)
; SGPRBlocks: 1
; VGPRBlocks: 1
; NumSGPRsForWavesPerEU: 12
; NumVGPRsForWavesPerEU: 13
; AccumOffset: 16
; Occupancy: 8
; WaveLimiterHint : 0
; COMPUTE_PGM_RSRC2:SCRATCH_EN: 0
; COMPUTE_PGM_RSRC2:USER_SGPR: 6
; COMPUTE_PGM_RSRC2:TRAP_HANDLER: 0
; COMPUTE_PGM_RSRC2:TGID_X_EN: 1
; COMPUTE_PGM_RSRC2:TGID_Y_EN: 0
; COMPUTE_PGM_RSRC2:TGID_Z_EN: 0
; COMPUTE_PGM_RSRC2:TIDIG_COMP_CNT: 0
; COMPUTE_PGM_RSRC3_GFX90A:ACCUM_OFFSET: 3
; COMPUTE_PGM_RSRC3_GFX90A:TG_SPLIT: 0
	.section	.text._Z28exclusive_scan_reduce_kernelILj37ELN6hipcub18BlockScanAlgorithmE1ElEvPT1_S3_S2_,"axG",@progbits,_Z28exclusive_scan_reduce_kernelILj37ELN6hipcub18BlockScanAlgorithmE1ElEvPT1_S3_S2_,comdat
	.protected	_Z28exclusive_scan_reduce_kernelILj37ELN6hipcub18BlockScanAlgorithmE1ElEvPT1_S3_S2_ ; -- Begin function _Z28exclusive_scan_reduce_kernelILj37ELN6hipcub18BlockScanAlgorithmE1ElEvPT1_S3_S2_
	.globl	_Z28exclusive_scan_reduce_kernelILj37ELN6hipcub18BlockScanAlgorithmE1ElEvPT1_S3_S2_
	.p2align	8
	.type	_Z28exclusive_scan_reduce_kernelILj37ELN6hipcub18BlockScanAlgorithmE1ElEvPT1_S3_S2_,@function
_Z28exclusive_scan_reduce_kernelILj37ELN6hipcub18BlockScanAlgorithmE1ElEvPT1_S3_S2_: ; @_Z28exclusive_scan_reduce_kernelILj37ELN6hipcub18BlockScanAlgorithmE1ElEvPT1_S3_S2_
; %bb.0:
	s_load_dwordx4 s[8:11], s[4:5], 0x0
	s_load_dwordx2 s[12:13], s[4:5], 0x10
	v_mad_u64_u32 v[2:3], s[0:1], s6, 37, v[0:1]
	v_mov_b32_e32 v3, 0
	v_lshlrev_b64 v[2:3], 3, v[2:3]
	s_waitcnt lgkmcnt(0)
	v_mov_b32_e32 v1, s9
	v_add_co_u32_e32 v2, vcc, s8, v2
	v_addc_co_u32_e32 v3, vcc, v1, v3, vcc
	global_load_dwordx2 v[4:5], v[2:3], off
	v_mbcnt_lo_u32_b32 v1, -1, 0
	v_mbcnt_hi_u32_b32 v7, -1, v1
	v_and_b32_e32 v1, 15, v7
	v_and_b32_e32 v9, 16, v7
	v_cmp_eq_u32_e32 vcc, 0, v7
	v_cmp_ne_u32_e64 s[2:3], 0, v7
	s_waitcnt vmcnt(0)
	v_mov_b32_dpp v6, v4 row_shr:1 row_mask:0xf bank_mask:0xf
	v_add_co_u32_e64 v6, s[0:1], v4, v6
	v_addc_co_u32_e64 v10, s[0:1], 0, v5, s[0:1]
	v_mov_b32_dpp v8, v5 row_shr:1 row_mask:0xf bank_mask:0xf
	v_add_co_u32_e64 v11, s[0:1], 0, v6
	v_addc_co_u32_e64 v8, s[0:1], v8, v10, s[0:1]
	v_cmp_eq_u32_e64 s[0:1], 0, v1
	v_cndmask_b32_e64 v6, v6, v4, s[0:1]
	v_cndmask_b32_e64 v8, v8, v5, s[0:1]
	v_cndmask_b32_e64 v10, v11, v4, s[0:1]
	v_mov_b32_dpp v11, v6 row_shr:2 row_mask:0xf bank_mask:0xf
	v_mov_b32_dpp v12, v8 row_shr:2 row_mask:0xf bank_mask:0xf
	v_add_co_u32_e64 v11, s[0:1], v11, v10
	v_addc_co_u32_e64 v12, s[0:1], v12, v8, s[0:1]
	v_cmp_lt_u32_e64 s[0:1], 1, v1
	v_cndmask_b32_e64 v6, v6, v11, s[0:1]
	v_cndmask_b32_e64 v8, v8, v12, s[0:1]
	v_cndmask_b32_e64 v10, v10, v11, s[0:1]
	v_mov_b32_dpp v11, v6 row_shr:4 row_mask:0xf bank_mask:0xf
	v_mov_b32_dpp v12, v8 row_shr:4 row_mask:0xf bank_mask:0xf
	v_add_co_u32_e64 v11, s[0:1], v11, v10
	v_addc_co_u32_e64 v12, s[0:1], v12, v8, s[0:1]
	v_cmp_lt_u32_e64 s[0:1], 3, v1
	;; [unrolled: 8-line block ×3, first 2 shown]
	v_cndmask_b32_e64 v13, v6, v11, s[0:1]
	v_cndmask_b32_e64 v1, v8, v12, s[0:1]
	;; [unrolled: 1-line block ×3, first 2 shown]
	v_mov_b32_dpp v8, v13 row_bcast:15 row_mask:0xf bank_mask:0xf
	v_mov_b32_dpp v10, v1 row_bcast:15 row_mask:0xf bank_mask:0xf
	v_add_co_u32_e64 v8, s[0:1], v8, v6
	v_addc_co_u32_e64 v10, s[0:1], v10, v1, s[0:1]
	v_cmp_eq_u32_e64 s[0:1], 0, v9
	v_cndmask_b32_e64 v11, v10, v1, s[0:1]
	v_cndmask_b32_e64 v9, v8, v13, s[0:1]
	s_nop 0
	v_mov_b32_dpp v11, v11 row_bcast:31 row_mask:0xf bank_mask:0xf
	v_mov_b32_dpp v9, v9 row_bcast:31 row_mask:0xf bank_mask:0xf
	s_and_saveexec_b64 s[4:5], s[2:3]
; %bb.1:
	v_cndmask_b32_e64 v1, v10, v1, s[0:1]
	v_cndmask_b32_e64 v4, v8, v6, s[0:1]
	v_cmp_lt_u32_e64 s[0:1], 31, v7
	v_cndmask_b32_e64 v6, 0, v9, s[0:1]
	v_cndmask_b32_e64 v5, 0, v11, s[0:1]
	v_add_co_u32_e64 v4, s[0:1], v6, v4
	v_addc_co_u32_e64 v5, s[0:1], v5, v1, s[0:1]
; %bb.2:
	s_or_b64 exec, exec, s[4:5]
	v_cmp_eq_u32_e64 s[0:1], 36, v0
	s_and_saveexec_b64 s[2:3], s[0:1]
	s_cbranch_execz .LBB100_4
; %bb.3:
	v_mov_b32_e32 v1, 0
	ds_write_b64 v1, v[4:5]
.LBB100_4:
	s_or_b64 exec, exec, s[2:3]
	v_mov_b32_e32 v1, s13
	v_add_co_u32_e64 v4, s[0:1], s12, v4
	v_addc_co_u32_e64 v1, s[0:1], v5, v1, s[0:1]
	v_add_u32_e32 v5, -1, v7
	v_and_b32_e32 v6, 64, v7
	v_cmp_lt_i32_e64 s[0:1], v5, v6
	v_cndmask_b32_e64 v5, v5, v7, s[0:1]
	v_lshlrev_b32_e32 v5, 2, v5
	ds_bpermute_b32 v1, v5, v1
	ds_bpermute_b32 v4, v5, v4
	v_mov_b32_e32 v5, s13
	s_mov_b32 s7, 0
	s_waitcnt lgkmcnt(0)
	v_cndmask_b32_e32 v5, v1, v5, vcc
	v_mov_b32_e32 v1, s12
	v_cndmask_b32_e32 v4, v4, v1, vcc
	v_cmp_eq_u32_e32 vcc, 0, v0
	; wave barrier
	global_store_dwordx2 v[2:3], v[4:5], off
	s_and_saveexec_b64 s[0:1], vcc
	s_cbranch_execz .LBB100_6
; %bb.5:
	v_mov_b32_e32 v2, 0
	ds_read_b64 v[0:1], v2
	s_lshl_b64 s[0:1], s[6:7], 3
	s_add_u32 s0, s10, s0
	s_addc_u32 s1, s11, s1
	s_waitcnt lgkmcnt(0)
	global_store_dwordx2 v2, v[0:1], s[0:1]
.LBB100_6:
	s_endpgm
	.section	.rodata,"a",@progbits
	.p2align	6, 0x0
	.amdhsa_kernel _Z28exclusive_scan_reduce_kernelILj37ELN6hipcub18BlockScanAlgorithmE1ElEvPT1_S3_S2_
		.amdhsa_group_segment_fixed_size 8
		.amdhsa_private_segment_fixed_size 0
		.amdhsa_kernarg_size 24
		.amdhsa_user_sgpr_count 6
		.amdhsa_user_sgpr_private_segment_buffer 1
		.amdhsa_user_sgpr_dispatch_ptr 0
		.amdhsa_user_sgpr_queue_ptr 0
		.amdhsa_user_sgpr_kernarg_segment_ptr 1
		.amdhsa_user_sgpr_dispatch_id 0
		.amdhsa_user_sgpr_flat_scratch_init 0
		.amdhsa_user_sgpr_kernarg_preload_length 0
		.amdhsa_user_sgpr_kernarg_preload_offset 0
		.amdhsa_user_sgpr_private_segment_size 0
		.amdhsa_uses_dynamic_stack 0
		.amdhsa_system_sgpr_private_segment_wavefront_offset 0
		.amdhsa_system_sgpr_workgroup_id_x 1
		.amdhsa_system_sgpr_workgroup_id_y 0
		.amdhsa_system_sgpr_workgroup_id_z 0
		.amdhsa_system_sgpr_workgroup_info 0
		.amdhsa_system_vgpr_workitem_id 0
		.amdhsa_next_free_vgpr 14
		.amdhsa_next_free_sgpr 14
		.amdhsa_accum_offset 16
		.amdhsa_reserve_vcc 1
		.amdhsa_reserve_flat_scratch 0
		.amdhsa_float_round_mode_32 0
		.amdhsa_float_round_mode_16_64 0
		.amdhsa_float_denorm_mode_32 3
		.amdhsa_float_denorm_mode_16_64 3
		.amdhsa_dx10_clamp 1
		.amdhsa_ieee_mode 1
		.amdhsa_fp16_overflow 0
		.amdhsa_tg_split 0
		.amdhsa_exception_fp_ieee_invalid_op 0
		.amdhsa_exception_fp_denorm_src 0
		.amdhsa_exception_fp_ieee_div_zero 0
		.amdhsa_exception_fp_ieee_overflow 0
		.amdhsa_exception_fp_ieee_underflow 0
		.amdhsa_exception_fp_ieee_inexact 0
		.amdhsa_exception_int_div_zero 0
	.end_amdhsa_kernel
	.section	.text._Z28exclusive_scan_reduce_kernelILj37ELN6hipcub18BlockScanAlgorithmE1ElEvPT1_S3_S2_,"axG",@progbits,_Z28exclusive_scan_reduce_kernelILj37ELN6hipcub18BlockScanAlgorithmE1ElEvPT1_S3_S2_,comdat
.Lfunc_end100:
	.size	_Z28exclusive_scan_reduce_kernelILj37ELN6hipcub18BlockScanAlgorithmE1ElEvPT1_S3_S2_, .Lfunc_end100-_Z28exclusive_scan_reduce_kernelILj37ELN6hipcub18BlockScanAlgorithmE1ElEvPT1_S3_S2_
                                        ; -- End function
	.section	.AMDGPU.csdata,"",@progbits
; Kernel info:
; codeLenInByte = 692
; NumSgprs: 18
; NumVgprs: 14
; NumAgprs: 0
; TotalNumVgprs: 14
; ScratchSize: 0
; MemoryBound: 0
; FloatMode: 240
; IeeeMode: 1
; LDSByteSize: 8 bytes/workgroup (compile time only)
; SGPRBlocks: 2
; VGPRBlocks: 1
; NumSGPRsForWavesPerEU: 18
; NumVGPRsForWavesPerEU: 14
; AccumOffset: 16
; Occupancy: 8
; WaveLimiterHint : 0
; COMPUTE_PGM_RSRC2:SCRATCH_EN: 0
; COMPUTE_PGM_RSRC2:USER_SGPR: 6
; COMPUTE_PGM_RSRC2:TRAP_HANDLER: 0
; COMPUTE_PGM_RSRC2:TGID_X_EN: 1
; COMPUTE_PGM_RSRC2:TGID_Y_EN: 0
; COMPUTE_PGM_RSRC2:TGID_Z_EN: 0
; COMPUTE_PGM_RSRC2:TIDIG_COMP_CNT: 0
; COMPUTE_PGM_RSRC3_GFX90A:ACCUM_OFFSET: 3
; COMPUTE_PGM_RSRC3_GFX90A:TG_SPLIT: 0
	.section	.text._Z28exclusive_scan_reduce_kernelILj65ELN6hipcub18BlockScanAlgorithmE1EmEvPT1_S3_S2_,"axG",@progbits,_Z28exclusive_scan_reduce_kernelILj65ELN6hipcub18BlockScanAlgorithmE1EmEvPT1_S3_S2_,comdat
	.protected	_Z28exclusive_scan_reduce_kernelILj65ELN6hipcub18BlockScanAlgorithmE1EmEvPT1_S3_S2_ ; -- Begin function _Z28exclusive_scan_reduce_kernelILj65ELN6hipcub18BlockScanAlgorithmE1EmEvPT1_S3_S2_
	.globl	_Z28exclusive_scan_reduce_kernelILj65ELN6hipcub18BlockScanAlgorithmE1EmEvPT1_S3_S2_
	.p2align	8
	.type	_Z28exclusive_scan_reduce_kernelILj65ELN6hipcub18BlockScanAlgorithmE1EmEvPT1_S3_S2_,@function
_Z28exclusive_scan_reduce_kernelILj65ELN6hipcub18BlockScanAlgorithmE1EmEvPT1_S3_S2_: ; @_Z28exclusive_scan_reduce_kernelILj65ELN6hipcub18BlockScanAlgorithmE1EmEvPT1_S3_S2_
; %bb.0:
	s_load_dwordx4 s[0:3], s[4:5], 0x0
	s_load_dwordx2 s[8:9], s[4:5], 0x10
	s_mul_i32 s4, s6, 0x41
	v_add_u32_e32 v2, s4, v0
	v_mov_b32_e32 v3, 0
	v_lshlrev_b64 v[2:3], 3, v[2:3]
	s_waitcnt lgkmcnt(0)
	v_mov_b32_e32 v1, s1
	v_add_co_u32_e32 v2, vcc, s0, v2
	v_addc_co_u32_e32 v3, vcc, v1, v3, vcc
	global_load_dwordx2 v[4:5], v[2:3], off
	v_lshrrev_b32_e32 v1, 5, v0
	v_add_lshl_u32 v1, v1, v0, 3
	v_cmp_gt_u32_e32 vcc, 64, v0
	s_waitcnt vmcnt(0)
	ds_write_b64 v1, v[4:5]
	s_waitcnt lgkmcnt(0)
	s_barrier
	s_and_saveexec_b64 s[4:5], vcc
	s_cbranch_execz .LBB101_2
; %bb.1:
	v_lshlrev_b32_e32 v1, 1, v0
	v_lshrrev_b32_e32 v6, 4, v0
	v_add_lshl_u32 v1, v6, v1, 3
	ds_read2_b64 v[6:9], v1 offset1:1
	v_mbcnt_lo_u32_b32 v12, -1, 0
	v_mbcnt_hi_u32_b32 v12, -1, v12
	v_and_b32_e32 v13, 15, v12
	s_waitcnt lgkmcnt(0)
	v_add_co_u32_e32 v10, vcc, v8, v6
	v_addc_co_u32_e32 v11, vcc, v9, v7, vcc
	s_nop 0
	v_mov_b32_dpp v14, v10 row_shr:1 row_mask:0xf bank_mask:0xf
	v_add_co_u32_e32 v14, vcc, v10, v14
	v_addc_co_u32_e32 v16, vcc, 0, v11, vcc
	v_mov_b32_dpp v15, v11 row_shr:1 row_mask:0xf bank_mask:0xf
	v_add_co_u32_e32 v17, vcc, 0, v14
	v_addc_co_u32_e32 v15, vcc, v15, v16, vcc
	v_cmp_eq_u32_e32 vcc, 0, v13
	v_cndmask_b32_e32 v14, v14, v10, vcc
	v_cndmask_b32_e32 v11, v15, v11, vcc
	v_cndmask_b32_e32 v10, v17, v10, vcc
	v_mov_b32_dpp v15, v14 row_shr:2 row_mask:0xf bank_mask:0xf
	v_add_co_u32_e32 v15, vcc, v10, v15
	v_addc_co_u32_e32 v17, vcc, 0, v11, vcc
	v_mov_b32_dpp v16, v11 row_shr:2 row_mask:0xf bank_mask:0xf
	v_add_co_u32_e32 v18, vcc, 0, v15
	v_addc_co_u32_e32 v16, vcc, v17, v16, vcc
	v_cmp_lt_u32_e32 vcc, 1, v13
	v_cndmask_b32_e32 v14, v14, v15, vcc
	v_cndmask_b32_e32 v10, v10, v18, vcc
	v_cndmask_b32_e32 v11, v11, v16, vcc
	v_mov_b32_dpp v15, v14 row_shr:4 row_mask:0xf bank_mask:0xf
	v_add_co_u32_e32 v15, vcc, v10, v15
	v_addc_co_u32_e32 v17, vcc, 0, v11, vcc
	v_mov_b32_dpp v16, v11 row_shr:4 row_mask:0xf bank_mask:0xf
	v_add_co_u32_e32 v18, vcc, 0, v15
	v_addc_co_u32_e32 v16, vcc, v17, v16, vcc
	v_cmp_lt_u32_e32 vcc, 3, v13
	;; [unrolled: 10-line block ×3, first 2 shown]
	v_cndmask_b32_e32 v13, v14, v15, vcc
	v_cndmask_b32_e32 v10, v10, v18, vcc
	;; [unrolled: 1-line block ×3, first 2 shown]
	v_mov_b32_dpp v14, v13 row_bcast:15 row_mask:0xf bank_mask:0xf
	v_add_co_u32_e32 v14, vcc, v10, v14
	v_addc_co_u32_e32 v17, vcc, 0, v11, vcc
	v_mov_b32_dpp v15, v11 row_bcast:15 row_mask:0xf bank_mask:0xf
	v_add_co_u32_e32 v18, vcc, 0, v14
	v_and_b32_e32 v16, 16, v12
	v_addc_co_u32_e32 v15, vcc, v17, v15, vcc
	v_cmp_eq_u32_e32 vcc, 0, v16
	v_cndmask_b32_e32 v13, v14, v13, vcc
	v_cndmask_b32_e32 v10, v18, v10, vcc
	;; [unrolled: 1-line block ×3, first 2 shown]
	v_mov_b32_dpp v14, v13 row_bcast:31 row_mask:0xf bank_mask:0xf
	v_add_co_u32_e32 v10, vcc, v10, v14
	v_addc_co_u32_e32 v14, vcc, 0, v11, vcc
	v_cmp_lt_u32_e32 vcc, 31, v12
	v_cndmask_b32_e32 v10, v13, v10, vcc
	v_add_u32_e32 v13, -1, v12
	v_and_b32_e32 v16, 64, v12
	v_cmp_lt_i32_e64 s[0:1], v13, v16
	v_cndmask_b32_e64 v12, v13, v12, s[0:1]
	v_lshlrev_b32_e32 v12, 2, v12
	v_mov_b32_dpp v15, v11 row_bcast:31 row_mask:0xf bank_mask:0xf
	ds_bpermute_b32 v10, v12, v10
	v_add_u32_e32 v13, v15, v14
	v_cndmask_b32_e32 v11, v11, v13, vcc
	ds_bpermute_b32 v11, v12, v11
	s_waitcnt lgkmcnt(1)
	v_add_co_u32_e32 v6, vcc, v6, v10
	v_addc_co_u32_e32 v7, vcc, 0, v7, vcc
	v_add_co_u32_e32 v6, vcc, 0, v6
	s_waitcnt lgkmcnt(0)
	v_addc_co_u32_e32 v7, vcc, v7, v11, vcc
	v_cmp_eq_u32_e32 vcc, 0, v0
	v_cndmask_b32_e32 v4, v6, v4, vcc
	v_cndmask_b32_e32 v5, v7, v5, vcc
	v_add_co_u32_e32 v6, vcc, v4, v8
	v_addc_co_u32_e32 v7, vcc, v5, v9, vcc
	ds_write2_b64 v1, v[4:5], v[6:7] offset1:1
.LBB101_2:
	s_or_b64 exec, exec, s[4:5]
	v_cmp_eq_u32_e32 vcc, 0, v0
	v_cmp_ne_u32_e64 s[0:1], 0, v0
	v_pk_mov_b32 v[4:5], s[8:9], s[8:9] op_sel:[0,1]
	s_waitcnt lgkmcnt(0)
	s_barrier
	s_and_saveexec_b64 s[4:5], s[0:1]
	s_cbranch_execnz .LBB101_5
; %bb.3:
	s_or_b64 exec, exec, s[4:5]
	global_store_dwordx2 v[2:3], v[4:5], off
	s_and_saveexec_b64 s[0:1], vcc
	s_cbranch_execnz .LBB101_6
.LBB101_4:
	s_endpgm
.LBB101_5:
	v_add_u32_e32 v0, -1, v0
	v_lshrrev_b32_e32 v1, 5, v0
	v_add_lshl_u32 v0, v1, v0, 3
	ds_read_b64 v[0:1], v0
	v_mov_b32_e32 v5, s9
	s_waitcnt lgkmcnt(0)
	v_add_co_u32_e64 v4, s[0:1], s8, v0
	v_addc_co_u32_e64 v5, s[0:1], v1, v5, s[0:1]
	s_or_b64 exec, exec, s[4:5]
	global_store_dwordx2 v[2:3], v[4:5], off
	s_and_saveexec_b64 s[0:1], vcc
	s_cbranch_execz .LBB101_4
.LBB101_6:
	v_mov_b32_e32 v2, 0
	ds_read_b64 v[0:1], v2 offset:528
	s_mov_b32 s7, 0
	s_lshl_b64 s[0:1], s[6:7], 3
	s_add_u32 s0, s2, s0
	s_addc_u32 s1, s3, s1
	s_waitcnt lgkmcnt(0)
	global_store_dwordx2 v2, v[0:1], s[0:1]
	s_endpgm
	.section	.rodata,"a",@progbits
	.p2align	6, 0x0
	.amdhsa_kernel _Z28exclusive_scan_reduce_kernelILj65ELN6hipcub18BlockScanAlgorithmE1EmEvPT1_S3_S2_
		.amdhsa_group_segment_fixed_size 1056
		.amdhsa_private_segment_fixed_size 0
		.amdhsa_kernarg_size 24
		.amdhsa_user_sgpr_count 6
		.amdhsa_user_sgpr_private_segment_buffer 1
		.amdhsa_user_sgpr_dispatch_ptr 0
		.amdhsa_user_sgpr_queue_ptr 0
		.amdhsa_user_sgpr_kernarg_segment_ptr 1
		.amdhsa_user_sgpr_dispatch_id 0
		.amdhsa_user_sgpr_flat_scratch_init 0
		.amdhsa_user_sgpr_kernarg_preload_length 0
		.amdhsa_user_sgpr_kernarg_preload_offset 0
		.amdhsa_user_sgpr_private_segment_size 0
		.amdhsa_uses_dynamic_stack 0
		.amdhsa_system_sgpr_private_segment_wavefront_offset 0
		.amdhsa_system_sgpr_workgroup_id_x 1
		.amdhsa_system_sgpr_workgroup_id_y 0
		.amdhsa_system_sgpr_workgroup_id_z 0
		.amdhsa_system_sgpr_workgroup_info 0
		.amdhsa_system_vgpr_workitem_id 0
		.amdhsa_next_free_vgpr 19
		.amdhsa_next_free_sgpr 10
		.amdhsa_accum_offset 20
		.amdhsa_reserve_vcc 1
		.amdhsa_reserve_flat_scratch 0
		.amdhsa_float_round_mode_32 0
		.amdhsa_float_round_mode_16_64 0
		.amdhsa_float_denorm_mode_32 3
		.amdhsa_float_denorm_mode_16_64 3
		.amdhsa_dx10_clamp 1
		.amdhsa_ieee_mode 1
		.amdhsa_fp16_overflow 0
		.amdhsa_tg_split 0
		.amdhsa_exception_fp_ieee_invalid_op 0
		.amdhsa_exception_fp_denorm_src 0
		.amdhsa_exception_fp_ieee_div_zero 0
		.amdhsa_exception_fp_ieee_overflow 0
		.amdhsa_exception_fp_ieee_underflow 0
		.amdhsa_exception_fp_ieee_inexact 0
		.amdhsa_exception_int_div_zero 0
	.end_amdhsa_kernel
	.section	.text._Z28exclusive_scan_reduce_kernelILj65ELN6hipcub18BlockScanAlgorithmE1EmEvPT1_S3_S2_,"axG",@progbits,_Z28exclusive_scan_reduce_kernelILj65ELN6hipcub18BlockScanAlgorithmE1EmEvPT1_S3_S2_,comdat
.Lfunc_end101:
	.size	_Z28exclusive_scan_reduce_kernelILj65ELN6hipcub18BlockScanAlgorithmE1EmEvPT1_S3_S2_, .Lfunc_end101-_Z28exclusive_scan_reduce_kernelILj65ELN6hipcub18BlockScanAlgorithmE1EmEvPT1_S3_S2_
                                        ; -- End function
	.section	.AMDGPU.csdata,"",@progbits
; Kernel info:
; codeLenInByte = 724
; NumSgprs: 14
; NumVgprs: 19
; NumAgprs: 0
; TotalNumVgprs: 19
; ScratchSize: 0
; MemoryBound: 0
; FloatMode: 240
; IeeeMode: 1
; LDSByteSize: 1056 bytes/workgroup (compile time only)
; SGPRBlocks: 1
; VGPRBlocks: 2
; NumSGPRsForWavesPerEU: 14
; NumVGPRsForWavesPerEU: 19
; AccumOffset: 20
; Occupancy: 8
; WaveLimiterHint : 0
; COMPUTE_PGM_RSRC2:SCRATCH_EN: 0
; COMPUTE_PGM_RSRC2:USER_SGPR: 6
; COMPUTE_PGM_RSRC2:TRAP_HANDLER: 0
; COMPUTE_PGM_RSRC2:TGID_X_EN: 1
; COMPUTE_PGM_RSRC2:TGID_Y_EN: 0
; COMPUTE_PGM_RSRC2:TGID_Z_EN: 0
; COMPUTE_PGM_RSRC2:TIDIG_COMP_CNT: 0
; COMPUTE_PGM_RSRC3_GFX90A:ACCUM_OFFSET: 4
; COMPUTE_PGM_RSRC3_GFX90A:TG_SPLIT: 0
	.section	.text._Z28exclusive_scan_reduce_kernelILj512ELN6hipcub18BlockScanAlgorithmE1EiEvPT1_S3_S2_,"axG",@progbits,_Z28exclusive_scan_reduce_kernelILj512ELN6hipcub18BlockScanAlgorithmE1EiEvPT1_S3_S2_,comdat
	.protected	_Z28exclusive_scan_reduce_kernelILj512ELN6hipcub18BlockScanAlgorithmE1EiEvPT1_S3_S2_ ; -- Begin function _Z28exclusive_scan_reduce_kernelILj512ELN6hipcub18BlockScanAlgorithmE1EiEvPT1_S3_S2_
	.globl	_Z28exclusive_scan_reduce_kernelILj512ELN6hipcub18BlockScanAlgorithmE1EiEvPT1_S3_S2_
	.p2align	8
	.type	_Z28exclusive_scan_reduce_kernelILj512ELN6hipcub18BlockScanAlgorithmE1EiEvPT1_S3_S2_,@function
_Z28exclusive_scan_reduce_kernelILj512ELN6hipcub18BlockScanAlgorithmE1EiEvPT1_S3_S2_: ; @_Z28exclusive_scan_reduce_kernelILj512ELN6hipcub18BlockScanAlgorithmE1EiEvPT1_S3_S2_
; %bb.0:
	s_load_dwordx4 s[0:3], s[4:5], 0x0
	v_lshl_or_b32 v2, s6, 9, v0
	v_mov_b32_e32 v3, 0
	v_lshlrev_b64 v[2:3], 2, v[2:3]
	v_lshrrev_b32_e32 v4, 5, v0
	s_waitcnt lgkmcnt(0)
	v_mov_b32_e32 v1, s1
	v_add_co_u32_e32 v2, vcc, s0, v2
	v_addc_co_u32_e32 v3, vcc, v1, v3, vcc
	global_load_dword v1, v[2:3], off
	v_add_lshl_u32 v4, v4, v0, 2
	v_cmp_gt_u32_e32 vcc, 64, v0
	s_waitcnt vmcnt(0)
	ds_write_b32 v4, v1
	s_waitcnt lgkmcnt(0)
	s_barrier
	s_and_saveexec_b64 s[0:1], vcc
	s_cbranch_execz .LBB102_2
; %bb.1:
	v_lshlrev_b32_e32 v4, 3, v0
	v_lshrrev_b32_e32 v5, 2, v0
	v_add_lshl_u32 v12, v5, v4, 2
	ds_read2_b32 v[4:5], v12 offset1:1
	ds_read2_b32 v[6:7], v12 offset0:2 offset1:3
	ds_read2_b32 v[8:9], v12 offset0:4 offset1:5
	;; [unrolled: 1-line block ×3, first 2 shown]
	v_mbcnt_lo_u32_b32 v14, -1, 0
	s_waitcnt lgkmcnt(3)
	v_add_u32_e32 v13, v5, v4
	s_waitcnt lgkmcnt(2)
	v_add3_u32 v13, v13, v6, v7
	s_waitcnt lgkmcnt(1)
	v_add3_u32 v13, v13, v8, v9
	v_mbcnt_hi_u32_b32 v14, -1, v14
	s_waitcnt lgkmcnt(0)
	v_add3_u32 v13, v13, v10, v11
	v_and_b32_e32 v15, 15, v14
	v_cmp_ne_u32_e32 vcc, 0, v15
	v_mov_b32_dpp v16, v13 row_shr:1 row_mask:0xf bank_mask:0xf
	v_cndmask_b32_e32 v16, 0, v16, vcc
	v_add_u32_e32 v13, v16, v13
	v_cmp_lt_u32_e32 vcc, 1, v15
	s_nop 0
	v_mov_b32_dpp v16, v13 row_shr:2 row_mask:0xf bank_mask:0xf
	v_cndmask_b32_e32 v16, 0, v16, vcc
	v_add_u32_e32 v13, v13, v16
	v_cmp_lt_u32_e32 vcc, 3, v15
	s_nop 0
	;; [unrolled: 5-line block ×3, first 2 shown]
	v_mov_b32_dpp v16, v13 row_shr:8 row_mask:0xf bank_mask:0xf
	v_cndmask_b32_e32 v15, 0, v16, vcc
	v_add_u32_e32 v13, v13, v15
	v_bfe_i32 v16, v14, 4, 1
	v_cmp_lt_u32_e32 vcc, 31, v14
	v_mov_b32_dpp v15, v13 row_bcast:15 row_mask:0xf bank_mask:0xf
	v_and_b32_e32 v15, v16, v15
	v_add_u32_e32 v13, v13, v15
	v_and_b32_e32 v16, 64, v14
	s_nop 0
	v_mov_b32_dpp v15, v13 row_bcast:31 row_mask:0xf bank_mask:0xf
	v_cndmask_b32_e32 v15, 0, v15, vcc
	v_add_u32_e32 v13, v13, v15
	v_add_u32_e32 v15, -1, v14
	v_cmp_lt_i32_e32 vcc, v15, v16
	v_cndmask_b32_e32 v14, v15, v14, vcc
	v_lshlrev_b32_e32 v14, 2, v14
	ds_bpermute_b32 v13, v14, v13
	v_cmp_eq_u32_e32 vcc, 0, v0
	s_waitcnt lgkmcnt(0)
	v_add_u32_e32 v4, v13, v4
	v_cndmask_b32_e32 v1, v4, v1, vcc
	v_add_u32_e32 v4, v1, v5
	ds_write2_b32 v12, v1, v4 offset1:1
	v_add_u32_e32 v1, v4, v6
	v_add_u32_e32 v4, v1, v7
	ds_write2_b32 v12, v1, v4 offset0:2 offset1:3
	v_add_u32_e32 v1, v4, v8
	v_add_u32_e32 v4, v1, v9
	ds_write2_b32 v12, v1, v4 offset0:4 offset1:5
	;; [unrolled: 3-line block ×3, first 2 shown]
.LBB102_2:
	s_or_b64 exec, exec, s[0:1]
	s_load_dword s7, s[4:5], 0x10
	v_cmp_eq_u32_e32 vcc, 0, v0
	v_cmp_ne_u32_e64 s[0:1], 0, v0
	s_waitcnt lgkmcnt(0)
	s_barrier
	v_mov_b32_e32 v1, s7
	s_and_saveexec_b64 s[4:5], s[0:1]
	s_cbranch_execnz .LBB102_5
; %bb.3:
	s_or_b64 exec, exec, s[4:5]
	global_store_dword v[2:3], v1, off
	s_and_saveexec_b64 s[0:1], vcc
	s_cbranch_execnz .LBB102_6
.LBB102_4:
	s_endpgm
.LBB102_5:
	v_add_u32_e32 v0, -1, v0
	v_lshrrev_b32_e32 v1, 5, v0
	v_add_lshl_u32 v0, v1, v0, 2
	ds_read_b32 v0, v0
	s_waitcnt lgkmcnt(0)
	v_add_u32_e32 v1, s7, v0
	s_or_b64 exec, exec, s[4:5]
	global_store_dword v[2:3], v1, off
	s_and_saveexec_b64 s[0:1], vcc
	s_cbranch_execz .LBB102_4
.LBB102_6:
	v_mov_b32_e32 v0, 0
	ds_read_b32 v1, v0 offset:2104
	s_mov_b32 s7, 0
	s_lshl_b64 s[0:1], s[6:7], 2
	s_add_u32 s0, s2, s0
	s_addc_u32 s1, s3, s1
	s_waitcnt lgkmcnt(0)
	global_store_dword v0, v1, s[0:1]
	s_endpgm
	.section	.rodata,"a",@progbits
	.p2align	6, 0x0
	.amdhsa_kernel _Z28exclusive_scan_reduce_kernelILj512ELN6hipcub18BlockScanAlgorithmE1EiEvPT1_S3_S2_
		.amdhsa_group_segment_fixed_size 2112
		.amdhsa_private_segment_fixed_size 0
		.amdhsa_kernarg_size 20
		.amdhsa_user_sgpr_count 6
		.amdhsa_user_sgpr_private_segment_buffer 1
		.amdhsa_user_sgpr_dispatch_ptr 0
		.amdhsa_user_sgpr_queue_ptr 0
		.amdhsa_user_sgpr_kernarg_segment_ptr 1
		.amdhsa_user_sgpr_dispatch_id 0
		.amdhsa_user_sgpr_flat_scratch_init 0
		.amdhsa_user_sgpr_kernarg_preload_length 0
		.amdhsa_user_sgpr_kernarg_preload_offset 0
		.amdhsa_user_sgpr_private_segment_size 0
		.amdhsa_uses_dynamic_stack 0
		.amdhsa_system_sgpr_private_segment_wavefront_offset 0
		.amdhsa_system_sgpr_workgroup_id_x 1
		.amdhsa_system_sgpr_workgroup_id_y 0
		.amdhsa_system_sgpr_workgroup_id_z 0
		.amdhsa_system_sgpr_workgroup_info 0
		.amdhsa_system_vgpr_workitem_id 0
		.amdhsa_next_free_vgpr 17
		.amdhsa_next_free_sgpr 8
		.amdhsa_accum_offset 20
		.amdhsa_reserve_vcc 1
		.amdhsa_reserve_flat_scratch 0
		.amdhsa_float_round_mode_32 0
		.amdhsa_float_round_mode_16_64 0
		.amdhsa_float_denorm_mode_32 3
		.amdhsa_float_denorm_mode_16_64 3
		.amdhsa_dx10_clamp 1
		.amdhsa_ieee_mode 1
		.amdhsa_fp16_overflow 0
		.amdhsa_tg_split 0
		.amdhsa_exception_fp_ieee_invalid_op 0
		.amdhsa_exception_fp_denorm_src 0
		.amdhsa_exception_fp_ieee_div_zero 0
		.amdhsa_exception_fp_ieee_overflow 0
		.amdhsa_exception_fp_ieee_underflow 0
		.amdhsa_exception_fp_ieee_inexact 0
		.amdhsa_exception_int_div_zero 0
	.end_amdhsa_kernel
	.section	.text._Z28exclusive_scan_reduce_kernelILj512ELN6hipcub18BlockScanAlgorithmE1EiEvPT1_S3_S2_,"axG",@progbits,_Z28exclusive_scan_reduce_kernelILj512ELN6hipcub18BlockScanAlgorithmE1EiEvPT1_S3_S2_,comdat
.Lfunc_end102:
	.size	_Z28exclusive_scan_reduce_kernelILj512ELN6hipcub18BlockScanAlgorithmE1EiEvPT1_S3_S2_, .Lfunc_end102-_Z28exclusive_scan_reduce_kernelILj512ELN6hipcub18BlockScanAlgorithmE1EiEvPT1_S3_S2_
                                        ; -- End function
	.section	.AMDGPU.csdata,"",@progbits
; Kernel info:
; codeLenInByte = 616
; NumSgprs: 12
; NumVgprs: 17
; NumAgprs: 0
; TotalNumVgprs: 17
; ScratchSize: 0
; MemoryBound: 0
; FloatMode: 240
; IeeeMode: 1
; LDSByteSize: 2112 bytes/workgroup (compile time only)
; SGPRBlocks: 1
; VGPRBlocks: 2
; NumSGPRsForWavesPerEU: 12
; NumVGPRsForWavesPerEU: 17
; AccumOffset: 20
; Occupancy: 8
; WaveLimiterHint : 0
; COMPUTE_PGM_RSRC2:SCRATCH_EN: 0
; COMPUTE_PGM_RSRC2:USER_SGPR: 6
; COMPUTE_PGM_RSRC2:TRAP_HANDLER: 0
; COMPUTE_PGM_RSRC2:TGID_X_EN: 1
; COMPUTE_PGM_RSRC2:TGID_Y_EN: 0
; COMPUTE_PGM_RSRC2:TGID_Z_EN: 0
; COMPUTE_PGM_RSRC2:TIDIG_COMP_CNT: 0
; COMPUTE_PGM_RSRC3_GFX90A:ACCUM_OFFSET: 4
; COMPUTE_PGM_RSRC3_GFX90A:TG_SPLIT: 0
	.section	.text._Z28exclusive_scan_reduce_kernelILj256ELN6hipcub18BlockScanAlgorithmE1EiEvPT1_S3_S2_,"axG",@progbits,_Z28exclusive_scan_reduce_kernelILj256ELN6hipcub18BlockScanAlgorithmE1EiEvPT1_S3_S2_,comdat
	.protected	_Z28exclusive_scan_reduce_kernelILj256ELN6hipcub18BlockScanAlgorithmE1EiEvPT1_S3_S2_ ; -- Begin function _Z28exclusive_scan_reduce_kernelILj256ELN6hipcub18BlockScanAlgorithmE1EiEvPT1_S3_S2_
	.globl	_Z28exclusive_scan_reduce_kernelILj256ELN6hipcub18BlockScanAlgorithmE1EiEvPT1_S3_S2_
	.p2align	8
	.type	_Z28exclusive_scan_reduce_kernelILj256ELN6hipcub18BlockScanAlgorithmE1EiEvPT1_S3_S2_,@function
_Z28exclusive_scan_reduce_kernelILj256ELN6hipcub18BlockScanAlgorithmE1EiEvPT1_S3_S2_: ; @_Z28exclusive_scan_reduce_kernelILj256ELN6hipcub18BlockScanAlgorithmE1EiEvPT1_S3_S2_
; %bb.0:
	s_load_dwordx4 s[0:3], s[4:5], 0x0
	v_lshl_or_b32 v2, s6, 8, v0
	v_mov_b32_e32 v3, 0
	v_lshlrev_b64 v[2:3], 2, v[2:3]
	v_lshrrev_b32_e32 v4, 5, v0
	s_waitcnt lgkmcnt(0)
	v_mov_b32_e32 v1, s1
	v_add_co_u32_e32 v2, vcc, s0, v2
	v_addc_co_u32_e32 v3, vcc, v1, v3, vcc
	global_load_dword v1, v[2:3], off
	v_add_lshl_u32 v4, v4, v0, 2
	v_cmp_gt_u32_e32 vcc, 64, v0
	s_waitcnt vmcnt(0)
	ds_write_b32 v4, v1
	s_waitcnt lgkmcnt(0)
	s_barrier
	s_and_saveexec_b64 s[0:1], vcc
	s_cbranch_execz .LBB103_2
; %bb.1:
	v_lshlrev_b32_e32 v4, 2, v0
	v_lshrrev_b32_e32 v5, 3, v0
	v_add_lshl_u32 v8, v5, v4, 2
	ds_read2_b32 v[4:5], v8 offset1:1
	ds_read2_b32 v[6:7], v8 offset0:2 offset1:3
	v_mbcnt_lo_u32_b32 v9, -1, 0
	v_mbcnt_hi_u32_b32 v9, -1, v9
	v_and_b32_e32 v11, 15, v9
	s_waitcnt lgkmcnt(1)
	v_add_u32_e32 v10, v5, v4
	s_waitcnt lgkmcnt(0)
	v_add3_u32 v10, v10, v6, v7
	v_cmp_ne_u32_e32 vcc, 0, v11
	s_nop 0
	v_mov_b32_dpp v12, v10 row_shr:1 row_mask:0xf bank_mask:0xf
	v_cndmask_b32_e32 v12, 0, v12, vcc
	v_add_u32_e32 v10, v12, v10
	v_cmp_lt_u32_e32 vcc, 1, v11
	s_nop 0
	v_mov_b32_dpp v12, v10 row_shr:2 row_mask:0xf bank_mask:0xf
	v_cndmask_b32_e32 v12, 0, v12, vcc
	v_add_u32_e32 v10, v10, v12
	v_cmp_lt_u32_e32 vcc, 3, v11
	;; [unrolled: 5-line block ×3, first 2 shown]
	s_nop 0
	v_mov_b32_dpp v12, v10 row_shr:8 row_mask:0xf bank_mask:0xf
	v_cndmask_b32_e32 v11, 0, v12, vcc
	v_add_u32_e32 v10, v10, v11
	v_bfe_i32 v12, v9, 4, 1
	v_cmp_lt_u32_e32 vcc, 31, v9
	v_mov_b32_dpp v11, v10 row_bcast:15 row_mask:0xf bank_mask:0xf
	v_and_b32_e32 v11, v12, v11
	v_add_u32_e32 v10, v10, v11
	v_and_b32_e32 v12, 64, v9
	s_nop 0
	v_mov_b32_dpp v11, v10 row_bcast:31 row_mask:0xf bank_mask:0xf
	v_cndmask_b32_e32 v11, 0, v11, vcc
	v_add_u32_e32 v10, v10, v11
	v_add_u32_e32 v11, -1, v9
	v_cmp_lt_i32_e32 vcc, v11, v12
	v_cndmask_b32_e32 v9, v11, v9, vcc
	v_lshlrev_b32_e32 v9, 2, v9
	ds_bpermute_b32 v9, v9, v10
	v_cmp_eq_u32_e32 vcc, 0, v0
	s_waitcnt lgkmcnt(0)
	v_add_u32_e32 v4, v9, v4
	v_cndmask_b32_e32 v1, v4, v1, vcc
	v_add_u32_e32 v4, v1, v5
	ds_write2_b32 v8, v1, v4 offset1:1
	v_add_u32_e32 v1, v4, v6
	v_add_u32_e32 v4, v1, v7
	ds_write2_b32 v8, v1, v4 offset0:2 offset1:3
.LBB103_2:
	s_or_b64 exec, exec, s[0:1]
	s_load_dword s7, s[4:5], 0x10
	v_cmp_eq_u32_e32 vcc, 0, v0
	v_cmp_ne_u32_e64 s[0:1], 0, v0
	s_waitcnt lgkmcnt(0)
	s_barrier
	v_mov_b32_e32 v1, s7
	s_and_saveexec_b64 s[4:5], s[0:1]
	s_cbranch_execnz .LBB103_5
; %bb.3:
	s_or_b64 exec, exec, s[4:5]
	global_store_dword v[2:3], v1, off
	s_and_saveexec_b64 s[0:1], vcc
	s_cbranch_execnz .LBB103_6
.LBB103_4:
	s_endpgm
.LBB103_5:
	v_add_u32_e32 v0, -1, v0
	v_lshrrev_b32_e32 v1, 5, v0
	v_add_lshl_u32 v0, v1, v0, 2
	ds_read_b32 v0, v0
	s_waitcnt lgkmcnt(0)
	v_add_u32_e32 v1, s7, v0
	s_or_b64 exec, exec, s[4:5]
	global_store_dword v[2:3], v1, off
	s_and_saveexec_b64 s[0:1], vcc
	s_cbranch_execz .LBB103_4
.LBB103_6:
	v_mov_b32_e32 v0, 0
	ds_read_b32 v1, v0 offset:1048
	s_mov_b32 s7, 0
	s_lshl_b64 s[0:1], s[6:7], 2
	s_add_u32 s0, s2, s0
	s_addc_u32 s1, s3, s1
	s_waitcnt lgkmcnt(0)
	global_store_dword v0, v1, s[0:1]
	s_endpgm
	.section	.rodata,"a",@progbits
	.p2align	6, 0x0
	.amdhsa_kernel _Z28exclusive_scan_reduce_kernelILj256ELN6hipcub18BlockScanAlgorithmE1EiEvPT1_S3_S2_
		.amdhsa_group_segment_fixed_size 1056
		.amdhsa_private_segment_fixed_size 0
		.amdhsa_kernarg_size 20
		.amdhsa_user_sgpr_count 6
		.amdhsa_user_sgpr_private_segment_buffer 1
		.amdhsa_user_sgpr_dispatch_ptr 0
		.amdhsa_user_sgpr_queue_ptr 0
		.amdhsa_user_sgpr_kernarg_segment_ptr 1
		.amdhsa_user_sgpr_dispatch_id 0
		.amdhsa_user_sgpr_flat_scratch_init 0
		.amdhsa_user_sgpr_kernarg_preload_length 0
		.amdhsa_user_sgpr_kernarg_preload_offset 0
		.amdhsa_user_sgpr_private_segment_size 0
		.amdhsa_uses_dynamic_stack 0
		.amdhsa_system_sgpr_private_segment_wavefront_offset 0
		.amdhsa_system_sgpr_workgroup_id_x 1
		.amdhsa_system_sgpr_workgroup_id_y 0
		.amdhsa_system_sgpr_workgroup_id_z 0
		.amdhsa_system_sgpr_workgroup_info 0
		.amdhsa_system_vgpr_workitem_id 0
		.amdhsa_next_free_vgpr 13
		.amdhsa_next_free_sgpr 8
		.amdhsa_accum_offset 16
		.amdhsa_reserve_vcc 1
		.amdhsa_reserve_flat_scratch 0
		.amdhsa_float_round_mode_32 0
		.amdhsa_float_round_mode_16_64 0
		.amdhsa_float_denorm_mode_32 3
		.amdhsa_float_denorm_mode_16_64 3
		.amdhsa_dx10_clamp 1
		.amdhsa_ieee_mode 1
		.amdhsa_fp16_overflow 0
		.amdhsa_tg_split 0
		.amdhsa_exception_fp_ieee_invalid_op 0
		.amdhsa_exception_fp_denorm_src 0
		.amdhsa_exception_fp_ieee_div_zero 0
		.amdhsa_exception_fp_ieee_overflow 0
		.amdhsa_exception_fp_ieee_underflow 0
		.amdhsa_exception_fp_ieee_inexact 0
		.amdhsa_exception_int_div_zero 0
	.end_amdhsa_kernel
	.section	.text._Z28exclusive_scan_reduce_kernelILj256ELN6hipcub18BlockScanAlgorithmE1EiEvPT1_S3_S2_,"axG",@progbits,_Z28exclusive_scan_reduce_kernelILj256ELN6hipcub18BlockScanAlgorithmE1EiEvPT1_S3_S2_,comdat
.Lfunc_end103:
	.size	_Z28exclusive_scan_reduce_kernelILj256ELN6hipcub18BlockScanAlgorithmE1EiEvPT1_S3_S2_, .Lfunc_end103-_Z28exclusive_scan_reduce_kernelILj256ELN6hipcub18BlockScanAlgorithmE1EiEvPT1_S3_S2_
                                        ; -- End function
	.section	.AMDGPU.csdata,"",@progbits
; Kernel info:
; codeLenInByte = 548
; NumSgprs: 12
; NumVgprs: 13
; NumAgprs: 0
; TotalNumVgprs: 13
; ScratchSize: 0
; MemoryBound: 0
; FloatMode: 240
; IeeeMode: 1
; LDSByteSize: 1056 bytes/workgroup (compile time only)
; SGPRBlocks: 1
; VGPRBlocks: 1
; NumSGPRsForWavesPerEU: 12
; NumVGPRsForWavesPerEU: 13
; AccumOffset: 16
; Occupancy: 8
; WaveLimiterHint : 0
; COMPUTE_PGM_RSRC2:SCRATCH_EN: 0
; COMPUTE_PGM_RSRC2:USER_SGPR: 6
; COMPUTE_PGM_RSRC2:TRAP_HANDLER: 0
; COMPUTE_PGM_RSRC2:TGID_X_EN: 1
; COMPUTE_PGM_RSRC2:TGID_Y_EN: 0
; COMPUTE_PGM_RSRC2:TGID_Z_EN: 0
; COMPUTE_PGM_RSRC2:TIDIG_COMP_CNT: 0
; COMPUTE_PGM_RSRC3_GFX90A:ACCUM_OFFSET: 3
; COMPUTE_PGM_RSRC3_GFX90A:TG_SPLIT: 0
	.section	.text._Z28exclusive_scan_reduce_kernelILj128ELN6hipcub18BlockScanAlgorithmE1EiEvPT1_S3_S2_,"axG",@progbits,_Z28exclusive_scan_reduce_kernelILj128ELN6hipcub18BlockScanAlgorithmE1EiEvPT1_S3_S2_,comdat
	.protected	_Z28exclusive_scan_reduce_kernelILj128ELN6hipcub18BlockScanAlgorithmE1EiEvPT1_S3_S2_ ; -- Begin function _Z28exclusive_scan_reduce_kernelILj128ELN6hipcub18BlockScanAlgorithmE1EiEvPT1_S3_S2_
	.globl	_Z28exclusive_scan_reduce_kernelILj128ELN6hipcub18BlockScanAlgorithmE1EiEvPT1_S3_S2_
	.p2align	8
	.type	_Z28exclusive_scan_reduce_kernelILj128ELN6hipcub18BlockScanAlgorithmE1EiEvPT1_S3_S2_,@function
_Z28exclusive_scan_reduce_kernelILj128ELN6hipcub18BlockScanAlgorithmE1EiEvPT1_S3_S2_: ; @_Z28exclusive_scan_reduce_kernelILj128ELN6hipcub18BlockScanAlgorithmE1EiEvPT1_S3_S2_
; %bb.0:
	s_load_dwordx4 s[0:3], s[4:5], 0x0
	v_lshl_or_b32 v2, s6, 7, v0
	v_mov_b32_e32 v3, 0
	v_lshlrev_b64 v[2:3], 2, v[2:3]
	v_lshrrev_b32_e32 v4, 5, v0
	s_waitcnt lgkmcnt(0)
	v_mov_b32_e32 v1, s1
	v_add_co_u32_e32 v2, vcc, s0, v2
	v_addc_co_u32_e32 v3, vcc, v1, v3, vcc
	global_load_dword v1, v[2:3], off
	v_add_lshl_u32 v4, v4, v0, 2
	v_cmp_gt_u32_e32 vcc, 64, v0
	s_waitcnt vmcnt(0)
	ds_write_b32 v4, v1
	s_waitcnt lgkmcnt(0)
	s_barrier
	s_and_saveexec_b64 s[0:1], vcc
	s_cbranch_execz .LBB104_2
; %bb.1:
	v_lshlrev_b32_e32 v4, 1, v0
	v_lshrrev_b32_e32 v5, 4, v0
	v_add_lshl_u32 v6, v5, v4, 2
	ds_read2_b32 v[4:5], v6 offset1:1
	v_mbcnt_lo_u32_b32 v7, -1, 0
	v_mbcnt_hi_u32_b32 v7, -1, v7
	v_and_b32_e32 v8, 15, v7
	v_cmp_ne_u32_e32 vcc, 0, v8
	s_waitcnt lgkmcnt(0)
	v_add_u32_e32 v9, v5, v4
	s_nop 1
	v_mov_b32_dpp v10, v9 row_shr:1 row_mask:0xf bank_mask:0xf
	v_cndmask_b32_e32 v10, 0, v10, vcc
	v_add_u32_e32 v9, v10, v9
	v_cmp_lt_u32_e32 vcc, 1, v8
	s_nop 0
	v_mov_b32_dpp v10, v9 row_shr:2 row_mask:0xf bank_mask:0xf
	v_cndmask_b32_e32 v10, 0, v10, vcc
	v_add_u32_e32 v9, v9, v10
	v_cmp_lt_u32_e32 vcc, 3, v8
	;; [unrolled: 5-line block ×3, first 2 shown]
	s_nop 0
	v_mov_b32_dpp v10, v9 row_shr:8 row_mask:0xf bank_mask:0xf
	v_cndmask_b32_e32 v8, 0, v10, vcc
	v_add_u32_e32 v8, v9, v8
	v_bfe_i32 v10, v7, 4, 1
	v_cmp_lt_u32_e32 vcc, 31, v7
	v_mov_b32_dpp v9, v8 row_bcast:15 row_mask:0xf bank_mask:0xf
	v_and_b32_e32 v9, v10, v9
	v_add_u32_e32 v8, v8, v9
	v_and_b32_e32 v10, 64, v7
	s_nop 0
	v_mov_b32_dpp v9, v8 row_bcast:31 row_mask:0xf bank_mask:0xf
	v_cndmask_b32_e32 v9, 0, v9, vcc
	v_add_u32_e32 v8, v8, v9
	v_add_u32_e32 v9, -1, v7
	v_cmp_lt_i32_e32 vcc, v9, v10
	v_cndmask_b32_e32 v7, v9, v7, vcc
	v_lshlrev_b32_e32 v7, 2, v7
	ds_bpermute_b32 v7, v7, v8
	v_cmp_eq_u32_e32 vcc, 0, v0
	s_waitcnt lgkmcnt(0)
	v_add_u32_e32 v4, v7, v4
	v_cndmask_b32_e32 v1, v4, v1, vcc
	v_add_u32_e32 v4, v1, v5
	ds_write2_b32 v6, v1, v4 offset1:1
.LBB104_2:
	s_or_b64 exec, exec, s[0:1]
	s_load_dword s7, s[4:5], 0x10
	v_cmp_eq_u32_e32 vcc, 0, v0
	v_cmp_ne_u32_e64 s[0:1], 0, v0
	s_waitcnt lgkmcnt(0)
	s_barrier
	v_mov_b32_e32 v1, s7
	s_and_saveexec_b64 s[4:5], s[0:1]
	s_cbranch_execnz .LBB104_5
; %bb.3:
	s_or_b64 exec, exec, s[4:5]
	global_store_dword v[2:3], v1, off
	s_and_saveexec_b64 s[0:1], vcc
	s_cbranch_execnz .LBB104_6
.LBB104_4:
	s_endpgm
.LBB104_5:
	v_add_u32_e32 v0, -1, v0
	v_lshrrev_b32_e32 v1, 5, v0
	v_add_lshl_u32 v0, v1, v0, 2
	ds_read_b32 v0, v0
	s_waitcnt lgkmcnt(0)
	v_add_u32_e32 v1, s7, v0
	s_or_b64 exec, exec, s[4:5]
	global_store_dword v[2:3], v1, off
	s_and_saveexec_b64 s[0:1], vcc
	s_cbranch_execz .LBB104_4
.LBB104_6:
	v_mov_b32_e32 v0, 0
	ds_read_b32 v1, v0 offset:520
	s_mov_b32 s7, 0
	s_lshl_b64 s[0:1], s[6:7], 2
	s_add_u32 s0, s2, s0
	s_addc_u32 s1, s3, s1
	s_waitcnt lgkmcnt(0)
	global_store_dword v0, v1, s[0:1]
	s_endpgm
	.section	.rodata,"a",@progbits
	.p2align	6, 0x0
	.amdhsa_kernel _Z28exclusive_scan_reduce_kernelILj128ELN6hipcub18BlockScanAlgorithmE1EiEvPT1_S3_S2_
		.amdhsa_group_segment_fixed_size 528
		.amdhsa_private_segment_fixed_size 0
		.amdhsa_kernarg_size 20
		.amdhsa_user_sgpr_count 6
		.amdhsa_user_sgpr_private_segment_buffer 1
		.amdhsa_user_sgpr_dispatch_ptr 0
		.amdhsa_user_sgpr_queue_ptr 0
		.amdhsa_user_sgpr_kernarg_segment_ptr 1
		.amdhsa_user_sgpr_dispatch_id 0
		.amdhsa_user_sgpr_flat_scratch_init 0
		.amdhsa_user_sgpr_kernarg_preload_length 0
		.amdhsa_user_sgpr_kernarg_preload_offset 0
		.amdhsa_user_sgpr_private_segment_size 0
		.amdhsa_uses_dynamic_stack 0
		.amdhsa_system_sgpr_private_segment_wavefront_offset 0
		.amdhsa_system_sgpr_workgroup_id_x 1
		.amdhsa_system_sgpr_workgroup_id_y 0
		.amdhsa_system_sgpr_workgroup_id_z 0
		.amdhsa_system_sgpr_workgroup_info 0
		.amdhsa_system_vgpr_workitem_id 0
		.amdhsa_next_free_vgpr 11
		.amdhsa_next_free_sgpr 8
		.amdhsa_accum_offset 12
		.amdhsa_reserve_vcc 1
		.amdhsa_reserve_flat_scratch 0
		.amdhsa_float_round_mode_32 0
		.amdhsa_float_round_mode_16_64 0
		.amdhsa_float_denorm_mode_32 3
		.amdhsa_float_denorm_mode_16_64 3
		.amdhsa_dx10_clamp 1
		.amdhsa_ieee_mode 1
		.amdhsa_fp16_overflow 0
		.amdhsa_tg_split 0
		.amdhsa_exception_fp_ieee_invalid_op 0
		.amdhsa_exception_fp_denorm_src 0
		.amdhsa_exception_fp_ieee_div_zero 0
		.amdhsa_exception_fp_ieee_overflow 0
		.amdhsa_exception_fp_ieee_underflow 0
		.amdhsa_exception_fp_ieee_inexact 0
		.amdhsa_exception_int_div_zero 0
	.end_amdhsa_kernel
	.section	.text._Z28exclusive_scan_reduce_kernelILj128ELN6hipcub18BlockScanAlgorithmE1EiEvPT1_S3_S2_,"axG",@progbits,_Z28exclusive_scan_reduce_kernelILj128ELN6hipcub18BlockScanAlgorithmE1EiEvPT1_S3_S2_,comdat
.Lfunc_end104:
	.size	_Z28exclusive_scan_reduce_kernelILj128ELN6hipcub18BlockScanAlgorithmE1EiEvPT1_S3_S2_, .Lfunc_end104-_Z28exclusive_scan_reduce_kernelILj128ELN6hipcub18BlockScanAlgorithmE1EiEvPT1_S3_S2_
                                        ; -- End function
	.section	.AMDGPU.csdata,"",@progbits
; Kernel info:
; codeLenInByte = 512
; NumSgprs: 12
; NumVgprs: 11
; NumAgprs: 0
; TotalNumVgprs: 11
; ScratchSize: 0
; MemoryBound: 0
; FloatMode: 240
; IeeeMode: 1
; LDSByteSize: 528 bytes/workgroup (compile time only)
; SGPRBlocks: 1
; VGPRBlocks: 1
; NumSGPRsForWavesPerEU: 12
; NumVGPRsForWavesPerEU: 11
; AccumOffset: 12
; Occupancy: 8
; WaveLimiterHint : 0
; COMPUTE_PGM_RSRC2:SCRATCH_EN: 0
; COMPUTE_PGM_RSRC2:USER_SGPR: 6
; COMPUTE_PGM_RSRC2:TRAP_HANDLER: 0
; COMPUTE_PGM_RSRC2:TGID_X_EN: 1
; COMPUTE_PGM_RSRC2:TGID_Y_EN: 0
; COMPUTE_PGM_RSRC2:TGID_Z_EN: 0
; COMPUTE_PGM_RSRC2:TIDIG_COMP_CNT: 0
; COMPUTE_PGM_RSRC3_GFX90A:ACCUM_OFFSET: 2
; COMPUTE_PGM_RSRC3_GFX90A:TG_SPLIT: 0
	.section	.text._Z28exclusive_scan_reduce_kernelILj64ELN6hipcub18BlockScanAlgorithmE1EiEvPT1_S3_S2_,"axG",@progbits,_Z28exclusive_scan_reduce_kernelILj64ELN6hipcub18BlockScanAlgorithmE1EiEvPT1_S3_S2_,comdat
	.protected	_Z28exclusive_scan_reduce_kernelILj64ELN6hipcub18BlockScanAlgorithmE1EiEvPT1_S3_S2_ ; -- Begin function _Z28exclusive_scan_reduce_kernelILj64ELN6hipcub18BlockScanAlgorithmE1EiEvPT1_S3_S2_
	.globl	_Z28exclusive_scan_reduce_kernelILj64ELN6hipcub18BlockScanAlgorithmE1EiEvPT1_S3_S2_
	.p2align	8
	.type	_Z28exclusive_scan_reduce_kernelILj64ELN6hipcub18BlockScanAlgorithmE1EiEvPT1_S3_S2_,@function
_Z28exclusive_scan_reduce_kernelILj64ELN6hipcub18BlockScanAlgorithmE1EiEvPT1_S3_S2_: ; @_Z28exclusive_scan_reduce_kernelILj64ELN6hipcub18BlockScanAlgorithmE1EiEvPT1_S3_S2_
; %bb.0:
	s_load_dwordx4 s[0:3], s[4:5], 0x0
	v_lshl_or_b32 v4, s6, 6, v0
	v_mov_b32_e32 v5, 0
	v_lshlrev_b64 v[2:3], 2, v[4:5]
	s_waitcnt lgkmcnt(0)
	v_mov_b32_e32 v1, s1
	v_add_co_u32_e32 v2, vcc, s0, v2
	v_addc_co_u32_e32 v3, vcc, v1, v3, vcc
	global_load_dword v4, v[2:3], off
	v_mbcnt_lo_u32_b32 v1, -1, 0
	v_mbcnt_hi_u32_b32 v1, -1, v1
	v_and_b32_e32 v6, 15, v1
	v_cmp_ne_u32_e32 vcc, 0, v6
	v_bfe_i32 v7, v1, 4, 1
	s_waitcnt vmcnt(0)
	v_mov_b32_dpp v8, v4 row_shr:1 row_mask:0xf bank_mask:0xf
	v_cndmask_b32_e32 v8, 0, v8, vcc
	v_add_u32_e32 v4, v8, v4
	v_cmp_lt_u32_e32 vcc, 1, v6
	s_nop 0
	v_mov_b32_dpp v8, v4 row_shr:2 row_mask:0xf bank_mask:0xf
	v_cndmask_b32_e32 v8, 0, v8, vcc
	v_add_u32_e32 v4, v4, v8
	v_cmp_lt_u32_e32 vcc, 3, v6
	s_nop 0
	;; [unrolled: 5-line block ×4, first 2 shown]
	v_mov_b32_dpp v6, v4 row_bcast:15 row_mask:0xf bank_mask:0xf
	v_and_b32_e32 v6, v7, v6
	v_add_u32_e32 v4, v4, v6
	s_nop 1
	v_mov_b32_dpp v6, v4 row_bcast:31 row_mask:0xf bank_mask:0xf
	v_cndmask_b32_e32 v6, 0, v6, vcc
	v_add_u32_e32 v4, v4, v6
	v_cmp_eq_u32_e32 vcc, 63, v0
	s_and_saveexec_b64 s[0:1], vcc
	s_cbranch_execz .LBB105_2
; %bb.1:
	ds_write_b32 v5, v4
.LBB105_2:
	s_or_b64 exec, exec, s[0:1]
	s_load_dword s0, s[4:5], 0x10
	v_add_u32_e32 v5, -1, v1
	v_and_b32_e32 v6, 64, v1
	v_cmp_lt_i32_e32 vcc, v5, v6
	v_cndmask_b32_e32 v5, v5, v1, vcc
	s_waitcnt lgkmcnt(0)
	v_add_u32_e32 v4, s0, v4
	v_lshlrev_b32_e32 v5, 2, v5
	ds_bpermute_b32 v4, v5, v4
	v_mov_b32_e32 v5, s0
	v_cmp_eq_u32_e32 vcc, 0, v1
	s_waitcnt lgkmcnt(0)
	; wave barrier
	s_waitcnt lgkmcnt(0)
	v_cndmask_b32_e32 v1, v4, v5, vcc
	v_cmp_eq_u32_e32 vcc, 0, v0
	global_store_dword v[2:3], v1, off
	s_and_saveexec_b64 s[0:1], vcc
	s_cbranch_execz .LBB105_4
; %bb.3:
	v_mov_b32_e32 v0, 0
	ds_read_b32 v1, v0
	s_mov_b32 s7, 0
	s_lshl_b64 s[0:1], s[6:7], 2
	s_add_u32 s0, s2, s0
	s_addc_u32 s1, s3, s1
	s_waitcnt lgkmcnt(0)
	global_store_dword v0, v1, s[0:1]
.LBB105_4:
	s_endpgm
	.section	.rodata,"a",@progbits
	.p2align	6, 0x0
	.amdhsa_kernel _Z28exclusive_scan_reduce_kernelILj64ELN6hipcub18BlockScanAlgorithmE1EiEvPT1_S3_S2_
		.amdhsa_group_segment_fixed_size 4
		.amdhsa_private_segment_fixed_size 0
		.amdhsa_kernarg_size 20
		.amdhsa_user_sgpr_count 6
		.amdhsa_user_sgpr_private_segment_buffer 1
		.amdhsa_user_sgpr_dispatch_ptr 0
		.amdhsa_user_sgpr_queue_ptr 0
		.amdhsa_user_sgpr_kernarg_segment_ptr 1
		.amdhsa_user_sgpr_dispatch_id 0
		.amdhsa_user_sgpr_flat_scratch_init 0
		.amdhsa_user_sgpr_kernarg_preload_length 0
		.amdhsa_user_sgpr_kernarg_preload_offset 0
		.amdhsa_user_sgpr_private_segment_size 0
		.amdhsa_uses_dynamic_stack 0
		.amdhsa_system_sgpr_private_segment_wavefront_offset 0
		.amdhsa_system_sgpr_workgroup_id_x 1
		.amdhsa_system_sgpr_workgroup_id_y 0
		.amdhsa_system_sgpr_workgroup_id_z 0
		.amdhsa_system_sgpr_workgroup_info 0
		.amdhsa_system_vgpr_workitem_id 0
		.amdhsa_next_free_vgpr 9
		.amdhsa_next_free_sgpr 8
		.amdhsa_accum_offset 12
		.amdhsa_reserve_vcc 1
		.amdhsa_reserve_flat_scratch 0
		.amdhsa_float_round_mode_32 0
		.amdhsa_float_round_mode_16_64 0
		.amdhsa_float_denorm_mode_32 3
		.amdhsa_float_denorm_mode_16_64 3
		.amdhsa_dx10_clamp 1
		.amdhsa_ieee_mode 1
		.amdhsa_fp16_overflow 0
		.amdhsa_tg_split 0
		.amdhsa_exception_fp_ieee_invalid_op 0
		.amdhsa_exception_fp_denorm_src 0
		.amdhsa_exception_fp_ieee_div_zero 0
		.amdhsa_exception_fp_ieee_overflow 0
		.amdhsa_exception_fp_ieee_underflow 0
		.amdhsa_exception_fp_ieee_inexact 0
		.amdhsa_exception_int_div_zero 0
	.end_amdhsa_kernel
	.section	.text._Z28exclusive_scan_reduce_kernelILj64ELN6hipcub18BlockScanAlgorithmE1EiEvPT1_S3_S2_,"axG",@progbits,_Z28exclusive_scan_reduce_kernelILj64ELN6hipcub18BlockScanAlgorithmE1EiEvPT1_S3_S2_,comdat
.Lfunc_end105:
	.size	_Z28exclusive_scan_reduce_kernelILj64ELN6hipcub18BlockScanAlgorithmE1EiEvPT1_S3_S2_, .Lfunc_end105-_Z28exclusive_scan_reduce_kernelILj64ELN6hipcub18BlockScanAlgorithmE1EiEvPT1_S3_S2_
                                        ; -- End function
	.section	.AMDGPU.csdata,"",@progbits
; Kernel info:
; codeLenInByte = 372
; NumSgprs: 12
; NumVgprs: 9
; NumAgprs: 0
; TotalNumVgprs: 9
; ScratchSize: 0
; MemoryBound: 0
; FloatMode: 240
; IeeeMode: 1
; LDSByteSize: 4 bytes/workgroup (compile time only)
; SGPRBlocks: 1
; VGPRBlocks: 1
; NumSGPRsForWavesPerEU: 12
; NumVGPRsForWavesPerEU: 9
; AccumOffset: 12
; Occupancy: 8
; WaveLimiterHint : 0
; COMPUTE_PGM_RSRC2:SCRATCH_EN: 0
; COMPUTE_PGM_RSRC2:USER_SGPR: 6
; COMPUTE_PGM_RSRC2:TRAP_HANDLER: 0
; COMPUTE_PGM_RSRC2:TGID_X_EN: 1
; COMPUTE_PGM_RSRC2:TGID_Y_EN: 0
; COMPUTE_PGM_RSRC2:TGID_Z_EN: 0
; COMPUTE_PGM_RSRC2:TIDIG_COMP_CNT: 0
; COMPUTE_PGM_RSRC3_GFX90A:ACCUM_OFFSET: 2
; COMPUTE_PGM_RSRC3_GFX90A:TG_SPLIT: 0
	.section	.text._Z28exclusive_scan_reduce_kernelILj377ELN6hipcub18BlockScanAlgorithmE0ElEvPT1_S3_S2_,"axG",@progbits,_Z28exclusive_scan_reduce_kernelILj377ELN6hipcub18BlockScanAlgorithmE0ElEvPT1_S3_S2_,comdat
	.protected	_Z28exclusive_scan_reduce_kernelILj377ELN6hipcub18BlockScanAlgorithmE0ElEvPT1_S3_S2_ ; -- Begin function _Z28exclusive_scan_reduce_kernelILj377ELN6hipcub18BlockScanAlgorithmE0ElEvPT1_S3_S2_
	.globl	_Z28exclusive_scan_reduce_kernelILj377ELN6hipcub18BlockScanAlgorithmE0ElEvPT1_S3_S2_
	.p2align	8
	.type	_Z28exclusive_scan_reduce_kernelILj377ELN6hipcub18BlockScanAlgorithmE0ElEvPT1_S3_S2_,@function
_Z28exclusive_scan_reduce_kernelILj377ELN6hipcub18BlockScanAlgorithmE0ElEvPT1_S3_S2_: ; @_Z28exclusive_scan_reduce_kernelILj377ELN6hipcub18BlockScanAlgorithmE0ElEvPT1_S3_S2_
; %bb.0:
	s_load_dwordx4 s[8:11], s[4:5], 0x0
	s_load_dwordx2 s[12:13], s[4:5], 0x10
	s_mul_i32 s0, s6, 0x179
	v_add_u32_e32 v2, s0, v0
	v_mov_b32_e32 v3, 0
	v_lshlrev_b64 v[2:3], 3, v[2:3]
	s_waitcnt lgkmcnt(0)
	v_mov_b32_e32 v1, s9
	v_add_co_u32_e32 v2, vcc, s8, v2
	v_addc_co_u32_e32 v3, vcc, v1, v3, vcc
	global_load_dwordx2 v[4:5], v[2:3], off
	v_mbcnt_lo_u32_b32 v1, -1, 0
	v_mbcnt_hi_u32_b32 v8, -1, v1
	v_and_b32_e32 v1, 15, v8
	v_and_b32_e32 v9, 16, v8
	v_cmp_eq_u32_e32 vcc, 0, v8
	v_cmp_ne_u32_e64 s[2:3], 0, v8
	s_waitcnt vmcnt(0)
	v_mov_b32_dpp v6, v4 row_shr:1 row_mask:0xf bank_mask:0xf
	v_add_co_u32_e64 v6, s[0:1], v4, v6
	v_addc_co_u32_e64 v10, s[0:1], 0, v5, s[0:1]
	v_mov_b32_dpp v7, v5 row_shr:1 row_mask:0xf bank_mask:0xf
	v_add_co_u32_e64 v11, s[0:1], 0, v6
	v_addc_co_u32_e64 v7, s[0:1], v7, v10, s[0:1]
	v_cmp_eq_u32_e64 s[0:1], 0, v1
	v_cndmask_b32_e64 v6, v6, v4, s[0:1]
	v_cndmask_b32_e64 v7, v7, v5, s[0:1]
	v_cndmask_b32_e64 v10, v11, v4, s[0:1]
	v_mov_b32_dpp v11, v6 row_shr:2 row_mask:0xf bank_mask:0xf
	v_mov_b32_dpp v12, v7 row_shr:2 row_mask:0xf bank_mask:0xf
	v_add_co_u32_e64 v11, s[0:1], v11, v10
	v_addc_co_u32_e64 v12, s[0:1], v12, v7, s[0:1]
	v_cmp_lt_u32_e64 s[0:1], 1, v1
	v_cndmask_b32_e64 v6, v6, v11, s[0:1]
	v_cndmask_b32_e64 v7, v7, v12, s[0:1]
	v_cndmask_b32_e64 v10, v10, v11, s[0:1]
	v_mov_b32_dpp v11, v6 row_shr:4 row_mask:0xf bank_mask:0xf
	v_mov_b32_dpp v12, v7 row_shr:4 row_mask:0xf bank_mask:0xf
	v_add_co_u32_e64 v11, s[0:1], v11, v10
	v_addc_co_u32_e64 v12, s[0:1], v12, v7, s[0:1]
	v_cmp_lt_u32_e64 s[0:1], 3, v1
	;; [unrolled: 8-line block ×3, first 2 shown]
	v_cndmask_b32_e64 v13, v6, v11, s[0:1]
	v_cndmask_b32_e64 v1, v7, v12, s[0:1]
	;; [unrolled: 1-line block ×3, first 2 shown]
	v_mov_b32_dpp v7, v13 row_bcast:15 row_mask:0xf bank_mask:0xf
	v_mov_b32_dpp v10, v1 row_bcast:15 row_mask:0xf bank_mask:0xf
	v_add_co_u32_e64 v7, s[0:1], v7, v6
	v_addc_co_u32_e64 v10, s[0:1], v10, v1, s[0:1]
	v_cmp_eq_u32_e64 s[0:1], 0, v9
	v_cndmask_b32_e64 v11, v10, v1, s[0:1]
	v_cndmask_b32_e64 v9, v7, v13, s[0:1]
	s_nop 0
	v_mov_b32_dpp v11, v11 row_bcast:31 row_mask:0xf bank_mask:0xf
	v_mov_b32_dpp v9, v9 row_bcast:31 row_mask:0xf bank_mask:0xf
	s_and_saveexec_b64 s[4:5], s[2:3]
; %bb.1:
	v_cndmask_b32_e64 v1, v10, v1, s[0:1]
	v_cndmask_b32_e64 v4, v7, v6, s[0:1]
	v_cmp_lt_u32_e64 s[0:1], 31, v8
	v_cndmask_b32_e64 v6, 0, v9, s[0:1]
	v_cndmask_b32_e64 v5, 0, v11, s[0:1]
	v_add_co_u32_e64 v4, s[0:1], v6, v4
	v_addc_co_u32_e64 v5, s[0:1], v5, v1, s[0:1]
; %bb.2:
	s_or_b64 exec, exec, s[4:5]
	v_and_b32_e32 v6, 0x1c0, v0
	v_min_u32_e32 v6, 0x139, v6
	v_add_u32_e32 v6, 63, v6
	v_lshrrev_b32_e32 v1, 6, v0
	v_cmp_eq_u32_e64 s[0:1], v6, v0
	s_and_saveexec_b64 s[2:3], s[0:1]
	s_cbranch_execz .LBB106_4
; %bb.3:
	v_lshlrev_b32_e32 v6, 3, v1
	ds_write_b64 v6, v[4:5]
.LBB106_4:
	s_or_b64 exec, exec, s[2:3]
	v_cmp_gt_u32_e64 s[0:1], 6, v0
	s_waitcnt lgkmcnt(0)
	s_barrier
	s_and_saveexec_b64 s[2:3], s[0:1]
	s_cbranch_execz .LBB106_6
; %bb.5:
	v_lshlrev_b32_e32 v9, 3, v0
	ds_read_b64 v[6:7], v9
	v_and_b32_e32 v10, 7, v8
	s_waitcnt lgkmcnt(0)
	v_mov_b32_dpp v11, v6 row_shr:1 row_mask:0xf bank_mask:0xf
	v_add_co_u32_e64 v11, s[0:1], v6, v11
	v_addc_co_u32_e64 v13, s[0:1], 0, v7, s[0:1]
	v_mov_b32_dpp v12, v7 row_shr:1 row_mask:0xf bank_mask:0xf
	v_add_co_u32_e64 v14, s[0:1], 0, v11
	v_addc_co_u32_e64 v12, s[0:1], v12, v13, s[0:1]
	v_cmp_eq_u32_e64 s[0:1], 0, v10
	v_cndmask_b32_e64 v7, v12, v7, s[0:1]
	v_cndmask_b32_e64 v12, v14, v6, s[0:1]
	v_cndmask_b32_e64 v6, v11, v6, s[0:1]
	v_mov_b32_dpp v13, v7 row_shr:2 row_mask:0xf bank_mask:0xf
	s_nop 0
	v_mov_b32_dpp v11, v6 row_shr:2 row_mask:0xf bank_mask:0xf
	v_add_co_u32_e64 v11, s[0:1], v12, v11
	v_addc_co_u32_e64 v14, s[0:1], 0, v7, s[0:1]
	v_add_co_u32_e64 v15, s[0:1], 0, v11
	v_addc_co_u32_e64 v13, s[0:1], v14, v13, s[0:1]
	v_cmp_lt_u32_e64 s[0:1], 1, v10
	v_cndmask_b32_e64 v6, v6, v11, s[0:1]
	v_cndmask_b32_e64 v7, v7, v13, s[0:1]
	;; [unrolled: 1-line block ×3, first 2 shown]
	v_mov_b32_dpp v6, v6 row_shr:4 row_mask:0xf bank_mask:0xf
	v_cmp_lt_u32_e64 s[0:1], 3, v10
	v_mov_b32_dpp v11, v7 row_shr:4 row_mask:0xf bank_mask:0xf
	v_cndmask_b32_e64 v6, 0, v6, s[0:1]
	v_cndmask_b32_e64 v10, 0, v11, s[0:1]
	v_add_co_u32_e64 v6, s[0:1], v6, v12
	v_addc_co_u32_e64 v7, s[0:1], v10, v7, s[0:1]
	ds_write_b64 v9, v[6:7]
.LBB106_6:
	s_or_b64 exec, exec, s[2:3]
	v_cmp_lt_u32_e64 s[0:1], 63, v0
	v_pk_mov_b32 v[6:7], s[12:13], s[12:13] op_sel:[0,1]
	s_waitcnt lgkmcnt(0)
	s_barrier
	s_and_saveexec_b64 s[2:3], s[0:1]
	s_cbranch_execz .LBB106_8
; %bb.7:
	v_lshl_add_u32 v1, v1, 3, -8
	ds_read_b64 v[6:7], v1
	v_mov_b32_e32 v1, s13
	s_waitcnt lgkmcnt(0)
	v_add_co_u32_e64 v6, s[0:1], s12, v6
	v_addc_co_u32_e64 v7, s[0:1], v7, v1, s[0:1]
.LBB106_8:
	s_or_b64 exec, exec, s[2:3]
	v_add_co_u32_e64 v1, s[0:1], v6, v4
	v_addc_co_u32_e64 v4, s[0:1], v7, v5, s[0:1]
	v_add_u32_e32 v5, -1, v8
	v_and_b32_e32 v9, 64, v8
	v_cmp_lt_i32_e64 s[0:1], v5, v9
	v_cndmask_b32_e64 v5, v5, v8, s[0:1]
	v_lshlrev_b32_e32 v5, 2, v5
	ds_bpermute_b32 v4, v5, v4
	ds_bpermute_b32 v1, v5, v1
	s_mov_b32 s7, 0
	s_waitcnt lgkmcnt(1)
	v_cndmask_b32_e32 v5, v4, v7, vcc
	s_waitcnt lgkmcnt(0)
	v_cndmask_b32_e32 v4, v1, v6, vcc
	v_cmp_eq_u32_e32 vcc, 0, v0
	global_store_dwordx2 v[2:3], v[4:5], off
	s_and_saveexec_b64 s[0:1], vcc
	s_cbranch_execz .LBB106_10
; %bb.9:
	v_mov_b32_e32 v2, 0
	ds_read_b64 v[0:1], v2 offset:40
	s_lshl_b64 s[0:1], s[6:7], 3
	s_add_u32 s0, s10, s0
	s_addc_u32 s1, s11, s1
	s_waitcnt lgkmcnt(0)
	global_store_dwordx2 v2, v[0:1], s[0:1]
.LBB106_10:
	s_endpgm
	.section	.rodata,"a",@progbits
	.p2align	6, 0x0
	.amdhsa_kernel _Z28exclusive_scan_reduce_kernelILj377ELN6hipcub18BlockScanAlgorithmE0ElEvPT1_S3_S2_
		.amdhsa_group_segment_fixed_size 48
		.amdhsa_private_segment_fixed_size 0
		.amdhsa_kernarg_size 24
		.amdhsa_user_sgpr_count 6
		.amdhsa_user_sgpr_private_segment_buffer 1
		.amdhsa_user_sgpr_dispatch_ptr 0
		.amdhsa_user_sgpr_queue_ptr 0
		.amdhsa_user_sgpr_kernarg_segment_ptr 1
		.amdhsa_user_sgpr_dispatch_id 0
		.amdhsa_user_sgpr_flat_scratch_init 0
		.amdhsa_user_sgpr_kernarg_preload_length 0
		.amdhsa_user_sgpr_kernarg_preload_offset 0
		.amdhsa_user_sgpr_private_segment_size 0
		.amdhsa_uses_dynamic_stack 0
		.amdhsa_system_sgpr_private_segment_wavefront_offset 0
		.amdhsa_system_sgpr_workgroup_id_x 1
		.amdhsa_system_sgpr_workgroup_id_y 0
		.amdhsa_system_sgpr_workgroup_id_z 0
		.amdhsa_system_sgpr_workgroup_info 0
		.amdhsa_system_vgpr_workitem_id 0
		.amdhsa_next_free_vgpr 16
		.amdhsa_next_free_sgpr 14
		.amdhsa_accum_offset 16
		.amdhsa_reserve_vcc 1
		.amdhsa_reserve_flat_scratch 0
		.amdhsa_float_round_mode_32 0
		.amdhsa_float_round_mode_16_64 0
		.amdhsa_float_denorm_mode_32 3
		.amdhsa_float_denorm_mode_16_64 3
		.amdhsa_dx10_clamp 1
		.amdhsa_ieee_mode 1
		.amdhsa_fp16_overflow 0
		.amdhsa_tg_split 0
		.amdhsa_exception_fp_ieee_invalid_op 0
		.amdhsa_exception_fp_denorm_src 0
		.amdhsa_exception_fp_ieee_div_zero 0
		.amdhsa_exception_fp_ieee_overflow 0
		.amdhsa_exception_fp_ieee_underflow 0
		.amdhsa_exception_fp_ieee_inexact 0
		.amdhsa_exception_int_div_zero 0
	.end_amdhsa_kernel
	.section	.text._Z28exclusive_scan_reduce_kernelILj377ELN6hipcub18BlockScanAlgorithmE0ElEvPT1_S3_S2_,"axG",@progbits,_Z28exclusive_scan_reduce_kernelILj377ELN6hipcub18BlockScanAlgorithmE0ElEvPT1_S3_S2_,comdat
.Lfunc_end106:
	.size	_Z28exclusive_scan_reduce_kernelILj377ELN6hipcub18BlockScanAlgorithmE0ElEvPT1_S3_S2_, .Lfunc_end106-_Z28exclusive_scan_reduce_kernelILj377ELN6hipcub18BlockScanAlgorithmE0ElEvPT1_S3_S2_
                                        ; -- End function
	.section	.AMDGPU.csdata,"",@progbits
; Kernel info:
; codeLenInByte = 1064
; NumSgprs: 18
; NumVgprs: 16
; NumAgprs: 0
; TotalNumVgprs: 16
; ScratchSize: 0
; MemoryBound: 0
; FloatMode: 240
; IeeeMode: 1
; LDSByteSize: 48 bytes/workgroup (compile time only)
; SGPRBlocks: 2
; VGPRBlocks: 1
; NumSGPRsForWavesPerEU: 18
; NumVGPRsForWavesPerEU: 16
; AccumOffset: 16
; Occupancy: 8
; WaveLimiterHint : 0
; COMPUTE_PGM_RSRC2:SCRATCH_EN: 0
; COMPUTE_PGM_RSRC2:USER_SGPR: 6
; COMPUTE_PGM_RSRC2:TRAP_HANDLER: 0
; COMPUTE_PGM_RSRC2:TGID_X_EN: 1
; COMPUTE_PGM_RSRC2:TGID_Y_EN: 0
; COMPUTE_PGM_RSRC2:TGID_Z_EN: 0
; COMPUTE_PGM_RSRC2:TIDIG_COMP_CNT: 0
; COMPUTE_PGM_RSRC3_GFX90A:ACCUM_OFFSET: 3
; COMPUTE_PGM_RSRC3_GFX90A:TG_SPLIT: 0
	.section	.text._Z28exclusive_scan_reduce_kernelILj256ELN6hipcub18BlockScanAlgorithmE0ElEvPT1_S3_S2_,"axG",@progbits,_Z28exclusive_scan_reduce_kernelILj256ELN6hipcub18BlockScanAlgorithmE0ElEvPT1_S3_S2_,comdat
	.protected	_Z28exclusive_scan_reduce_kernelILj256ELN6hipcub18BlockScanAlgorithmE0ElEvPT1_S3_S2_ ; -- Begin function _Z28exclusive_scan_reduce_kernelILj256ELN6hipcub18BlockScanAlgorithmE0ElEvPT1_S3_S2_
	.globl	_Z28exclusive_scan_reduce_kernelILj256ELN6hipcub18BlockScanAlgorithmE0ElEvPT1_S3_S2_
	.p2align	8
	.type	_Z28exclusive_scan_reduce_kernelILj256ELN6hipcub18BlockScanAlgorithmE0ElEvPT1_S3_S2_,@function
_Z28exclusive_scan_reduce_kernelILj256ELN6hipcub18BlockScanAlgorithmE0ElEvPT1_S3_S2_: ; @_Z28exclusive_scan_reduce_kernelILj256ELN6hipcub18BlockScanAlgorithmE0ElEvPT1_S3_S2_
; %bb.0:
	s_load_dwordx4 s[8:11], s[4:5], 0x0
	s_load_dwordx2 s[12:13], s[4:5], 0x10
	v_lshl_or_b32 v2, s6, 8, v0
	v_mov_b32_e32 v3, 0
	v_lshlrev_b64 v[2:3], 3, v[2:3]
	s_waitcnt lgkmcnt(0)
	v_mov_b32_e32 v1, s9
	v_add_co_u32_e32 v2, vcc, s8, v2
	v_addc_co_u32_e32 v3, vcc, v1, v3, vcc
	global_load_dwordx2 v[4:5], v[2:3], off
	v_mbcnt_lo_u32_b32 v1, -1, 0
	v_mbcnt_hi_u32_b32 v8, -1, v1
	v_and_b32_e32 v1, 15, v8
	v_and_b32_e32 v9, 16, v8
	v_cmp_eq_u32_e32 vcc, 0, v8
	v_cmp_ne_u32_e64 s[2:3], 0, v8
	s_waitcnt vmcnt(0)
	v_mov_b32_dpp v6, v4 row_shr:1 row_mask:0xf bank_mask:0xf
	v_add_co_u32_e64 v6, s[0:1], v4, v6
	v_addc_co_u32_e64 v10, s[0:1], 0, v5, s[0:1]
	v_mov_b32_dpp v7, v5 row_shr:1 row_mask:0xf bank_mask:0xf
	v_add_co_u32_e64 v11, s[0:1], 0, v6
	v_addc_co_u32_e64 v7, s[0:1], v7, v10, s[0:1]
	v_cmp_eq_u32_e64 s[0:1], 0, v1
	v_cndmask_b32_e64 v6, v6, v4, s[0:1]
	v_cndmask_b32_e64 v7, v7, v5, s[0:1]
	v_cndmask_b32_e64 v10, v11, v4, s[0:1]
	v_mov_b32_dpp v11, v6 row_shr:2 row_mask:0xf bank_mask:0xf
	v_mov_b32_dpp v12, v7 row_shr:2 row_mask:0xf bank_mask:0xf
	v_add_co_u32_e64 v11, s[0:1], v11, v10
	v_addc_co_u32_e64 v12, s[0:1], v12, v7, s[0:1]
	v_cmp_lt_u32_e64 s[0:1], 1, v1
	v_cndmask_b32_e64 v6, v6, v11, s[0:1]
	v_cndmask_b32_e64 v7, v7, v12, s[0:1]
	v_cndmask_b32_e64 v10, v10, v11, s[0:1]
	v_mov_b32_dpp v11, v6 row_shr:4 row_mask:0xf bank_mask:0xf
	v_mov_b32_dpp v12, v7 row_shr:4 row_mask:0xf bank_mask:0xf
	v_add_co_u32_e64 v11, s[0:1], v11, v10
	v_addc_co_u32_e64 v12, s[0:1], v12, v7, s[0:1]
	v_cmp_lt_u32_e64 s[0:1], 3, v1
	;; [unrolled: 8-line block ×3, first 2 shown]
	v_cndmask_b32_e64 v13, v6, v11, s[0:1]
	v_cndmask_b32_e64 v1, v7, v12, s[0:1]
	;; [unrolled: 1-line block ×3, first 2 shown]
	v_mov_b32_dpp v7, v13 row_bcast:15 row_mask:0xf bank_mask:0xf
	v_mov_b32_dpp v10, v1 row_bcast:15 row_mask:0xf bank_mask:0xf
	v_add_co_u32_e64 v7, s[0:1], v7, v6
	v_addc_co_u32_e64 v10, s[0:1], v10, v1, s[0:1]
	v_cmp_eq_u32_e64 s[0:1], 0, v9
	v_cndmask_b32_e64 v11, v10, v1, s[0:1]
	v_cndmask_b32_e64 v9, v7, v13, s[0:1]
	s_nop 0
	v_mov_b32_dpp v11, v11 row_bcast:31 row_mask:0xf bank_mask:0xf
	v_mov_b32_dpp v9, v9 row_bcast:31 row_mask:0xf bank_mask:0xf
	s_and_saveexec_b64 s[4:5], s[2:3]
; %bb.1:
	v_cndmask_b32_e64 v1, v10, v1, s[0:1]
	v_cndmask_b32_e64 v4, v7, v6, s[0:1]
	v_cmp_lt_u32_e64 s[0:1], 31, v8
	v_cndmask_b32_e64 v6, 0, v9, s[0:1]
	v_cndmask_b32_e64 v5, 0, v11, s[0:1]
	v_add_co_u32_e64 v4, s[0:1], v6, v4
	v_addc_co_u32_e64 v5, s[0:1], v5, v1, s[0:1]
; %bb.2:
	s_or_b64 exec, exec, s[4:5]
	v_or_b32_e32 v6, 63, v0
	v_lshrrev_b32_e32 v1, 6, v0
	v_cmp_eq_u32_e64 s[0:1], v6, v0
	s_and_saveexec_b64 s[2:3], s[0:1]
	s_cbranch_execz .LBB107_4
; %bb.3:
	v_lshlrev_b32_e32 v6, 3, v1
	ds_write_b64 v6, v[4:5]
.LBB107_4:
	s_or_b64 exec, exec, s[2:3]
	v_cmp_gt_u32_e64 s[0:1], 4, v0
	s_waitcnt lgkmcnt(0)
	s_barrier
	s_and_saveexec_b64 s[2:3], s[0:1]
	s_cbranch_execz .LBB107_6
; %bb.5:
	v_lshlrev_b32_e32 v9, 3, v0
	ds_read_b64 v[6:7], v9
	v_and_b32_e32 v10, 3, v8
	s_waitcnt lgkmcnt(0)
	v_mov_b32_dpp v11, v6 row_shr:1 row_mask:0xf bank_mask:0xf
	v_add_co_u32_e64 v11, s[0:1], v6, v11
	v_addc_co_u32_e64 v13, s[0:1], 0, v7, s[0:1]
	v_mov_b32_dpp v12, v7 row_shr:1 row_mask:0xf bank_mask:0xf
	v_add_co_u32_e64 v14, s[0:1], 0, v11
	v_addc_co_u32_e64 v12, s[0:1], v12, v13, s[0:1]
	v_cmp_eq_u32_e64 s[0:1], 0, v10
	v_cndmask_b32_e64 v7, v12, v7, s[0:1]
	v_cndmask_b32_e64 v12, v14, v6, s[0:1]
	;; [unrolled: 1-line block ×3, first 2 shown]
	v_cmp_lt_u32_e64 s[0:1], 1, v10
	v_mov_b32_dpp v11, v7 row_shr:2 row_mask:0xf bank_mask:0xf
	v_mov_b32_dpp v6, v6 row_shr:2 row_mask:0xf bank_mask:0xf
	v_cndmask_b32_e64 v6, 0, v6, s[0:1]
	v_cndmask_b32_e64 v10, 0, v11, s[0:1]
	v_add_co_u32_e64 v6, s[0:1], v6, v12
	v_addc_co_u32_e64 v7, s[0:1], v10, v7, s[0:1]
	ds_write_b64 v9, v[6:7]
.LBB107_6:
	s_or_b64 exec, exec, s[2:3]
	v_cmp_lt_u32_e64 s[0:1], 63, v0
	v_pk_mov_b32 v[6:7], s[12:13], s[12:13] op_sel:[0,1]
	s_waitcnt lgkmcnt(0)
	s_barrier
	s_and_saveexec_b64 s[2:3], s[0:1]
	s_cbranch_execz .LBB107_8
; %bb.7:
	v_lshl_add_u32 v1, v1, 3, -8
	ds_read_b64 v[6:7], v1
	v_mov_b32_e32 v1, s13
	s_waitcnt lgkmcnt(0)
	v_add_co_u32_e64 v6, s[0:1], s12, v6
	v_addc_co_u32_e64 v7, s[0:1], v7, v1, s[0:1]
.LBB107_8:
	s_or_b64 exec, exec, s[2:3]
	v_add_co_u32_e64 v1, s[0:1], v6, v4
	v_addc_co_u32_e64 v4, s[0:1], v7, v5, s[0:1]
	v_add_u32_e32 v5, -1, v8
	v_and_b32_e32 v9, 64, v8
	v_cmp_lt_i32_e64 s[0:1], v5, v9
	v_cndmask_b32_e64 v5, v5, v8, s[0:1]
	v_lshlrev_b32_e32 v5, 2, v5
	ds_bpermute_b32 v4, v5, v4
	ds_bpermute_b32 v1, v5, v1
	s_mov_b32 s7, 0
	s_waitcnt lgkmcnt(1)
	v_cndmask_b32_e32 v5, v4, v7, vcc
	s_waitcnt lgkmcnt(0)
	v_cndmask_b32_e32 v4, v1, v6, vcc
	v_cmp_eq_u32_e32 vcc, 0, v0
	global_store_dwordx2 v[2:3], v[4:5], off
	s_and_saveexec_b64 s[0:1], vcc
	s_cbranch_execz .LBB107_10
; %bb.9:
	v_mov_b32_e32 v2, 0
	ds_read_b64 v[0:1], v2 offset:24
	s_lshl_b64 s[0:1], s[6:7], 3
	s_add_u32 s0, s10, s0
	s_addc_u32 s1, s11, s1
	s_waitcnt lgkmcnt(0)
	global_store_dwordx2 v2, v[0:1], s[0:1]
.LBB107_10:
	s_endpgm
	.section	.rodata,"a",@progbits
	.p2align	6, 0x0
	.amdhsa_kernel _Z28exclusive_scan_reduce_kernelILj256ELN6hipcub18BlockScanAlgorithmE0ElEvPT1_S3_S2_
		.amdhsa_group_segment_fixed_size 32
		.amdhsa_private_segment_fixed_size 0
		.amdhsa_kernarg_size 24
		.amdhsa_user_sgpr_count 6
		.amdhsa_user_sgpr_private_segment_buffer 1
		.amdhsa_user_sgpr_dispatch_ptr 0
		.amdhsa_user_sgpr_queue_ptr 0
		.amdhsa_user_sgpr_kernarg_segment_ptr 1
		.amdhsa_user_sgpr_dispatch_id 0
		.amdhsa_user_sgpr_flat_scratch_init 0
		.amdhsa_user_sgpr_kernarg_preload_length 0
		.amdhsa_user_sgpr_kernarg_preload_offset 0
		.amdhsa_user_sgpr_private_segment_size 0
		.amdhsa_uses_dynamic_stack 0
		.amdhsa_system_sgpr_private_segment_wavefront_offset 0
		.amdhsa_system_sgpr_workgroup_id_x 1
		.amdhsa_system_sgpr_workgroup_id_y 0
		.amdhsa_system_sgpr_workgroup_id_z 0
		.amdhsa_system_sgpr_workgroup_info 0
		.amdhsa_system_vgpr_workitem_id 0
		.amdhsa_next_free_vgpr 15
		.amdhsa_next_free_sgpr 14
		.amdhsa_accum_offset 16
		.amdhsa_reserve_vcc 1
		.amdhsa_reserve_flat_scratch 0
		.amdhsa_float_round_mode_32 0
		.amdhsa_float_round_mode_16_64 0
		.amdhsa_float_denorm_mode_32 3
		.amdhsa_float_denorm_mode_16_64 3
		.amdhsa_dx10_clamp 1
		.amdhsa_ieee_mode 1
		.amdhsa_fp16_overflow 0
		.amdhsa_tg_split 0
		.amdhsa_exception_fp_ieee_invalid_op 0
		.amdhsa_exception_fp_denorm_src 0
		.amdhsa_exception_fp_ieee_div_zero 0
		.amdhsa_exception_fp_ieee_overflow 0
		.amdhsa_exception_fp_ieee_underflow 0
		.amdhsa_exception_fp_ieee_inexact 0
		.amdhsa_exception_int_div_zero 0
	.end_amdhsa_kernel
	.section	.text._Z28exclusive_scan_reduce_kernelILj256ELN6hipcub18BlockScanAlgorithmE0ElEvPT1_S3_S2_,"axG",@progbits,_Z28exclusive_scan_reduce_kernelILj256ELN6hipcub18BlockScanAlgorithmE0ElEvPT1_S3_S2_,comdat
.Lfunc_end107:
	.size	_Z28exclusive_scan_reduce_kernelILj256ELN6hipcub18BlockScanAlgorithmE0ElEvPT1_S3_S2_, .Lfunc_end107-_Z28exclusive_scan_reduce_kernelILj256ELN6hipcub18BlockScanAlgorithmE0ElEvPT1_S3_S2_
                                        ; -- End function
	.section	.AMDGPU.csdata,"",@progbits
; Kernel info:
; codeLenInByte = 960
; NumSgprs: 18
; NumVgprs: 15
; NumAgprs: 0
; TotalNumVgprs: 15
; ScratchSize: 0
; MemoryBound: 0
; FloatMode: 240
; IeeeMode: 1
; LDSByteSize: 32 bytes/workgroup (compile time only)
; SGPRBlocks: 2
; VGPRBlocks: 1
; NumSGPRsForWavesPerEU: 18
; NumVGPRsForWavesPerEU: 15
; AccumOffset: 16
; Occupancy: 8
; WaveLimiterHint : 0
; COMPUTE_PGM_RSRC2:SCRATCH_EN: 0
; COMPUTE_PGM_RSRC2:USER_SGPR: 6
; COMPUTE_PGM_RSRC2:TRAP_HANDLER: 0
; COMPUTE_PGM_RSRC2:TGID_X_EN: 1
; COMPUTE_PGM_RSRC2:TGID_Y_EN: 0
; COMPUTE_PGM_RSRC2:TGID_Z_EN: 0
; COMPUTE_PGM_RSRC2:TIDIG_COMP_CNT: 0
; COMPUTE_PGM_RSRC3_GFX90A:ACCUM_OFFSET: 3
; COMPUTE_PGM_RSRC3_GFX90A:TG_SPLIT: 0
	.section	.text._Z28exclusive_scan_reduce_kernelILj64ELN6hipcub18BlockScanAlgorithmE0ElEvPT1_S3_S2_,"axG",@progbits,_Z28exclusive_scan_reduce_kernelILj64ELN6hipcub18BlockScanAlgorithmE0ElEvPT1_S3_S2_,comdat
	.protected	_Z28exclusive_scan_reduce_kernelILj64ELN6hipcub18BlockScanAlgorithmE0ElEvPT1_S3_S2_ ; -- Begin function _Z28exclusive_scan_reduce_kernelILj64ELN6hipcub18BlockScanAlgorithmE0ElEvPT1_S3_S2_
	.globl	_Z28exclusive_scan_reduce_kernelILj64ELN6hipcub18BlockScanAlgorithmE0ElEvPT1_S3_S2_
	.p2align	8
	.type	_Z28exclusive_scan_reduce_kernelILj64ELN6hipcub18BlockScanAlgorithmE0ElEvPT1_S3_S2_,@function
_Z28exclusive_scan_reduce_kernelILj64ELN6hipcub18BlockScanAlgorithmE0ElEvPT1_S3_S2_: ; @_Z28exclusive_scan_reduce_kernelILj64ELN6hipcub18BlockScanAlgorithmE0ElEvPT1_S3_S2_
; %bb.0:
	s_load_dwordx4 s[8:11], s[4:5], 0x0
	s_load_dwordx2 s[12:13], s[4:5], 0x10
	v_lshl_or_b32 v2, s6, 6, v0
	v_mov_b32_e32 v3, 0
	v_lshlrev_b64 v[2:3], 3, v[2:3]
	s_waitcnt lgkmcnt(0)
	v_mov_b32_e32 v1, s9
	v_add_co_u32_e32 v2, vcc, s8, v2
	v_addc_co_u32_e32 v3, vcc, v1, v3, vcc
	global_load_dwordx2 v[4:5], v[2:3], off
	v_mbcnt_lo_u32_b32 v1, -1, 0
	v_mbcnt_hi_u32_b32 v7, -1, v1
	v_and_b32_e32 v1, 15, v7
	v_and_b32_e32 v9, 16, v7
	v_cmp_eq_u32_e32 vcc, 0, v7
	v_cmp_ne_u32_e64 s[2:3], 0, v7
	s_waitcnt vmcnt(0)
	v_mov_b32_dpp v6, v4 row_shr:1 row_mask:0xf bank_mask:0xf
	v_add_co_u32_e64 v6, s[0:1], v4, v6
	v_addc_co_u32_e64 v10, s[0:1], 0, v5, s[0:1]
	v_mov_b32_dpp v8, v5 row_shr:1 row_mask:0xf bank_mask:0xf
	v_add_co_u32_e64 v11, s[0:1], 0, v6
	v_addc_co_u32_e64 v8, s[0:1], v8, v10, s[0:1]
	v_cmp_eq_u32_e64 s[0:1], 0, v1
	v_cndmask_b32_e64 v6, v6, v4, s[0:1]
	v_cndmask_b32_e64 v8, v8, v5, s[0:1]
	v_cndmask_b32_e64 v10, v11, v4, s[0:1]
	v_mov_b32_dpp v11, v6 row_shr:2 row_mask:0xf bank_mask:0xf
	v_mov_b32_dpp v12, v8 row_shr:2 row_mask:0xf bank_mask:0xf
	v_add_co_u32_e64 v11, s[0:1], v11, v10
	v_addc_co_u32_e64 v12, s[0:1], v12, v8, s[0:1]
	v_cmp_lt_u32_e64 s[0:1], 1, v1
	v_cndmask_b32_e64 v6, v6, v11, s[0:1]
	v_cndmask_b32_e64 v8, v8, v12, s[0:1]
	v_cndmask_b32_e64 v10, v10, v11, s[0:1]
	v_mov_b32_dpp v11, v6 row_shr:4 row_mask:0xf bank_mask:0xf
	v_mov_b32_dpp v12, v8 row_shr:4 row_mask:0xf bank_mask:0xf
	v_add_co_u32_e64 v11, s[0:1], v11, v10
	v_addc_co_u32_e64 v12, s[0:1], v12, v8, s[0:1]
	v_cmp_lt_u32_e64 s[0:1], 3, v1
	v_cndmask_b32_e64 v6, v6, v11, s[0:1]
	v_cndmask_b32_e64 v8, v8, v12, s[0:1]
	v_cndmask_b32_e64 v10, v10, v11, s[0:1]
	v_mov_b32_dpp v11, v6 row_shr:8 row_mask:0xf bank_mask:0xf
	v_mov_b32_dpp v12, v8 row_shr:8 row_mask:0xf bank_mask:0xf
	v_add_co_u32_e64 v11, s[0:1], v11, v10
	v_addc_co_u32_e64 v12, s[0:1], v12, v8, s[0:1]
	v_cmp_lt_u32_e64 s[0:1], 7, v1
	v_cndmask_b32_e64 v13, v6, v11, s[0:1]
	v_cndmask_b32_e64 v1, v8, v12, s[0:1]
	;; [unrolled: 1-line block ×3, first 2 shown]
	v_mov_b32_dpp v8, v13 row_bcast:15 row_mask:0xf bank_mask:0xf
	v_mov_b32_dpp v10, v1 row_bcast:15 row_mask:0xf bank_mask:0xf
	v_add_co_u32_e64 v8, s[0:1], v8, v6
	v_addc_co_u32_e64 v10, s[0:1], v10, v1, s[0:1]
	v_cmp_eq_u32_e64 s[0:1], 0, v9
	v_cndmask_b32_e64 v11, v10, v1, s[0:1]
	v_cndmask_b32_e64 v9, v8, v13, s[0:1]
	s_nop 0
	v_mov_b32_dpp v11, v11 row_bcast:31 row_mask:0xf bank_mask:0xf
	v_mov_b32_dpp v9, v9 row_bcast:31 row_mask:0xf bank_mask:0xf
	s_and_saveexec_b64 s[4:5], s[2:3]
; %bb.1:
	v_cndmask_b32_e64 v1, v10, v1, s[0:1]
	v_cndmask_b32_e64 v4, v8, v6, s[0:1]
	v_cmp_lt_u32_e64 s[0:1], 31, v7
	v_cndmask_b32_e64 v6, 0, v9, s[0:1]
	v_cndmask_b32_e64 v5, 0, v11, s[0:1]
	v_add_co_u32_e64 v4, s[0:1], v6, v4
	v_addc_co_u32_e64 v5, s[0:1], v5, v1, s[0:1]
; %bb.2:
	s_or_b64 exec, exec, s[4:5]
	v_cmp_eq_u32_e64 s[0:1], 63, v0
	s_and_saveexec_b64 s[2:3], s[0:1]
	s_cbranch_execz .LBB108_4
; %bb.3:
	v_mov_b32_e32 v1, 0
	ds_write_b64 v1, v[4:5]
.LBB108_4:
	s_or_b64 exec, exec, s[2:3]
	v_mov_b32_e32 v1, s13
	v_add_co_u32_e64 v4, s[0:1], s12, v4
	v_addc_co_u32_e64 v1, s[0:1], v5, v1, s[0:1]
	v_add_u32_e32 v5, -1, v7
	v_and_b32_e32 v6, 64, v7
	v_cmp_lt_i32_e64 s[0:1], v5, v6
	v_cndmask_b32_e64 v5, v5, v7, s[0:1]
	v_lshlrev_b32_e32 v5, 2, v5
	ds_bpermute_b32 v1, v5, v1
	ds_bpermute_b32 v4, v5, v4
	v_mov_b32_e32 v5, s13
	s_mov_b32 s7, 0
	s_waitcnt lgkmcnt(0)
	v_cndmask_b32_e32 v5, v1, v5, vcc
	v_mov_b32_e32 v1, s12
	v_cndmask_b32_e32 v4, v4, v1, vcc
	v_cmp_eq_u32_e32 vcc, 0, v0
	; wave barrier
	global_store_dwordx2 v[2:3], v[4:5], off
	s_and_saveexec_b64 s[0:1], vcc
	s_cbranch_execz .LBB108_6
; %bb.5:
	v_mov_b32_e32 v2, 0
	ds_read_b64 v[0:1], v2
	s_lshl_b64 s[0:1], s[6:7], 3
	s_add_u32 s0, s10, s0
	s_addc_u32 s1, s11, s1
	s_waitcnt lgkmcnt(0)
	global_store_dwordx2 v2, v[0:1], s[0:1]
.LBB108_6:
	s_endpgm
	.section	.rodata,"a",@progbits
	.p2align	6, 0x0
	.amdhsa_kernel _Z28exclusive_scan_reduce_kernelILj64ELN6hipcub18BlockScanAlgorithmE0ElEvPT1_S3_S2_
		.amdhsa_group_segment_fixed_size 8
		.amdhsa_private_segment_fixed_size 0
		.amdhsa_kernarg_size 24
		.amdhsa_user_sgpr_count 6
		.amdhsa_user_sgpr_private_segment_buffer 1
		.amdhsa_user_sgpr_dispatch_ptr 0
		.amdhsa_user_sgpr_queue_ptr 0
		.amdhsa_user_sgpr_kernarg_segment_ptr 1
		.amdhsa_user_sgpr_dispatch_id 0
		.amdhsa_user_sgpr_flat_scratch_init 0
		.amdhsa_user_sgpr_kernarg_preload_length 0
		.amdhsa_user_sgpr_kernarg_preload_offset 0
		.amdhsa_user_sgpr_private_segment_size 0
		.amdhsa_uses_dynamic_stack 0
		.amdhsa_system_sgpr_private_segment_wavefront_offset 0
		.amdhsa_system_sgpr_workgroup_id_x 1
		.amdhsa_system_sgpr_workgroup_id_y 0
		.amdhsa_system_sgpr_workgroup_id_z 0
		.amdhsa_system_sgpr_workgroup_info 0
		.amdhsa_system_vgpr_workitem_id 0
		.amdhsa_next_free_vgpr 14
		.amdhsa_next_free_sgpr 14
		.amdhsa_accum_offset 16
		.amdhsa_reserve_vcc 1
		.amdhsa_reserve_flat_scratch 0
		.amdhsa_float_round_mode_32 0
		.amdhsa_float_round_mode_16_64 0
		.amdhsa_float_denorm_mode_32 3
		.amdhsa_float_denorm_mode_16_64 3
		.amdhsa_dx10_clamp 1
		.amdhsa_ieee_mode 1
		.amdhsa_fp16_overflow 0
		.amdhsa_tg_split 0
		.amdhsa_exception_fp_ieee_invalid_op 0
		.amdhsa_exception_fp_denorm_src 0
		.amdhsa_exception_fp_ieee_div_zero 0
		.amdhsa_exception_fp_ieee_overflow 0
		.amdhsa_exception_fp_ieee_underflow 0
		.amdhsa_exception_fp_ieee_inexact 0
		.amdhsa_exception_int_div_zero 0
	.end_amdhsa_kernel
	.section	.text._Z28exclusive_scan_reduce_kernelILj64ELN6hipcub18BlockScanAlgorithmE0ElEvPT1_S3_S2_,"axG",@progbits,_Z28exclusive_scan_reduce_kernelILj64ELN6hipcub18BlockScanAlgorithmE0ElEvPT1_S3_S2_,comdat
.Lfunc_end108:
	.size	_Z28exclusive_scan_reduce_kernelILj64ELN6hipcub18BlockScanAlgorithmE0ElEvPT1_S3_S2_, .Lfunc_end108-_Z28exclusive_scan_reduce_kernelILj64ELN6hipcub18BlockScanAlgorithmE0ElEvPT1_S3_S2_
                                        ; -- End function
	.section	.AMDGPU.csdata,"",@progbits
; Kernel info:
; codeLenInByte = 692
; NumSgprs: 18
; NumVgprs: 14
; NumAgprs: 0
; TotalNumVgprs: 14
; ScratchSize: 0
; MemoryBound: 0
; FloatMode: 240
; IeeeMode: 1
; LDSByteSize: 8 bytes/workgroup (compile time only)
; SGPRBlocks: 2
; VGPRBlocks: 1
; NumSGPRsForWavesPerEU: 18
; NumVGPRsForWavesPerEU: 14
; AccumOffset: 16
; Occupancy: 8
; WaveLimiterHint : 0
; COMPUTE_PGM_RSRC2:SCRATCH_EN: 0
; COMPUTE_PGM_RSRC2:USER_SGPR: 6
; COMPUTE_PGM_RSRC2:TRAP_HANDLER: 0
; COMPUTE_PGM_RSRC2:TGID_X_EN: 1
; COMPUTE_PGM_RSRC2:TGID_Y_EN: 0
; COMPUTE_PGM_RSRC2:TGID_Z_EN: 0
; COMPUTE_PGM_RSRC2:TIDIG_COMP_CNT: 0
; COMPUTE_PGM_RSRC3_GFX90A:ACCUM_OFFSET: 3
; COMPUTE_PGM_RSRC3_GFX90A:TG_SPLIT: 0
	.section	.text._Z28exclusive_scan_reduce_kernelILj377ELN6hipcub18BlockScanAlgorithmE0EjEvPT1_S3_S2_,"axG",@progbits,_Z28exclusive_scan_reduce_kernelILj377ELN6hipcub18BlockScanAlgorithmE0EjEvPT1_S3_S2_,comdat
	.protected	_Z28exclusive_scan_reduce_kernelILj377ELN6hipcub18BlockScanAlgorithmE0EjEvPT1_S3_S2_ ; -- Begin function _Z28exclusive_scan_reduce_kernelILj377ELN6hipcub18BlockScanAlgorithmE0EjEvPT1_S3_S2_
	.globl	_Z28exclusive_scan_reduce_kernelILj377ELN6hipcub18BlockScanAlgorithmE0EjEvPT1_S3_S2_
	.p2align	8
	.type	_Z28exclusive_scan_reduce_kernelILj377ELN6hipcub18BlockScanAlgorithmE0EjEvPT1_S3_S2_,@function
_Z28exclusive_scan_reduce_kernelILj377ELN6hipcub18BlockScanAlgorithmE0EjEvPT1_S3_S2_: ; @_Z28exclusive_scan_reduce_kernelILj377ELN6hipcub18BlockScanAlgorithmE0EjEvPT1_S3_S2_
; %bb.0:
	s_load_dwordx4 s[0:3], s[4:5], 0x0
	s_mul_i32 s7, s6, 0x179
	v_add_u32_e32 v2, s7, v0
	v_mov_b32_e32 v3, 0
	v_lshlrev_b64 v[2:3], 2, v[2:3]
	s_waitcnt lgkmcnt(0)
	v_mov_b32_e32 v1, s1
	v_add_co_u32_e32 v2, vcc, s0, v2
	v_addc_co_u32_e32 v3, vcc, v1, v3, vcc
	global_load_dword v5, v[2:3], off
	v_mbcnt_lo_u32_b32 v1, -1, 0
	v_mbcnt_hi_u32_b32 v1, -1, v1
	v_and_b32_e32 v7, 15, v1
	v_cmp_ne_u32_e32 vcc, 0, v7
	v_bfe_i32 v8, v1, 4, 1
	v_and_b32_e32 v6, 0x1c0, v0
	v_min_u32_e32 v6, 0x139, v6
	v_add_u32_e32 v6, 63, v6
	v_lshrrev_b32_e32 v4, 6, v0
	s_waitcnt vmcnt(0)
	v_mov_b32_dpp v9, v5 row_shr:1 row_mask:0xf bank_mask:0xf
	v_cndmask_b32_e32 v9, 0, v9, vcc
	v_add_u32_e32 v5, v9, v5
	v_cmp_lt_u32_e32 vcc, 1, v7
	s_nop 0
	v_mov_b32_dpp v9, v5 row_shr:2 row_mask:0xf bank_mask:0xf
	v_cndmask_b32_e32 v9, 0, v9, vcc
	v_add_u32_e32 v5, v5, v9
	v_cmp_lt_u32_e32 vcc, 3, v7
	s_nop 0
	v_mov_b32_dpp v9, v5 row_shr:4 row_mask:0xf bank_mask:0xf
	v_cndmask_b32_e32 v9, 0, v9, vcc
	v_add_u32_e32 v5, v5, v9
	v_cmp_lt_u32_e32 vcc, 7, v7
	s_nop 0
	v_mov_b32_dpp v9, v5 row_shr:8 row_mask:0xf bank_mask:0xf
	v_cndmask_b32_e32 v7, 0, v9, vcc
	v_add_u32_e32 v5, v5, v7
	v_cmp_lt_u32_e32 vcc, 31, v1
	s_nop 0
	v_mov_b32_dpp v7, v5 row_bcast:15 row_mask:0xf bank_mask:0xf
	v_and_b32_e32 v7, v8, v7
	v_add_u32_e32 v5, v5, v7
	s_nop 1
	v_mov_b32_dpp v7, v5 row_bcast:31 row_mask:0xf bank_mask:0xf
	v_cndmask_b32_e32 v7, 0, v7, vcc
	v_add_u32_e32 v5, v5, v7
	v_cmp_eq_u32_e32 vcc, v6, v0
	s_and_saveexec_b64 s[0:1], vcc
	s_cbranch_execz .LBB109_2
; %bb.1:
	v_lshlrev_b32_e32 v6, 2, v4
	ds_write_b32 v6, v5
.LBB109_2:
	s_or_b64 exec, exec, s[0:1]
	v_cmp_gt_u32_e32 vcc, 6, v0
	s_waitcnt lgkmcnt(0)
	s_barrier
	s_and_saveexec_b64 s[0:1], vcc
	s_cbranch_execz .LBB109_4
; %bb.3:
	v_lshlrev_b32_e32 v6, 2, v0
	ds_read_b32 v7, v6
	v_and_b32_e32 v8, 7, v1
	v_cmp_ne_u32_e32 vcc, 0, v8
	s_waitcnt lgkmcnt(0)
	v_mov_b32_dpp v9, v7 row_shr:1 row_mask:0xf bank_mask:0xf
	v_cndmask_b32_e32 v9, 0, v9, vcc
	v_add_u32_e32 v7, v9, v7
	v_cmp_lt_u32_e32 vcc, 1, v8
	s_nop 0
	v_mov_b32_dpp v9, v7 row_shr:2 row_mask:0xf bank_mask:0xf
	v_cndmask_b32_e32 v9, 0, v9, vcc
	v_add_u32_e32 v7, v7, v9
	v_cmp_lt_u32_e32 vcc, 3, v8
	s_nop 0
	v_mov_b32_dpp v9, v7 row_shr:4 row_mask:0xf bank_mask:0xf
	v_cndmask_b32_e32 v8, 0, v9, vcc
	v_add_u32_e32 v7, v7, v8
	ds_write_b32 v6, v7
.LBB109_4:
	s_or_b64 exec, exec, s[0:1]
	s_load_dword s4, s[4:5], 0x10
	v_cmp_lt_u32_e32 vcc, 63, v0
	s_waitcnt lgkmcnt(0)
	s_barrier
	v_mov_b32_e32 v6, s4
	s_and_saveexec_b64 s[0:1], vcc
	s_cbranch_execz .LBB109_6
; %bb.5:
	v_lshl_add_u32 v4, v4, 2, -4
	ds_read_b32 v4, v4
	s_waitcnt lgkmcnt(0)
	v_add_u32_e32 v6, s4, v4
.LBB109_6:
	s_or_b64 exec, exec, s[0:1]
	v_add_u32_e32 v4, v6, v5
	v_add_u32_e32 v5, -1, v1
	v_and_b32_e32 v7, 64, v1
	v_cmp_lt_i32_e32 vcc, v5, v7
	v_cndmask_b32_e32 v5, v5, v1, vcc
	v_lshlrev_b32_e32 v5, 2, v5
	ds_bpermute_b32 v4, v5, v4
	v_cmp_eq_u32_e32 vcc, 0, v1
	s_mov_b32 s7, 0
	s_waitcnt lgkmcnt(0)
	v_cndmask_b32_e32 v1, v4, v6, vcc
	v_cmp_eq_u32_e32 vcc, 0, v0
	global_store_dword v[2:3], v1, off
	s_and_saveexec_b64 s[0:1], vcc
	s_cbranch_execz .LBB109_8
; %bb.7:
	v_mov_b32_e32 v0, 0
	ds_read_b32 v1, v0 offset:20
	s_lshl_b64 s[0:1], s[6:7], 2
	s_add_u32 s0, s2, s0
	s_addc_u32 s1, s3, s1
	s_waitcnt lgkmcnt(0)
	global_store_dword v0, v1, s[0:1]
.LBB109_8:
	s_endpgm
	.section	.rodata,"a",@progbits
	.p2align	6, 0x0
	.amdhsa_kernel _Z28exclusive_scan_reduce_kernelILj377ELN6hipcub18BlockScanAlgorithmE0EjEvPT1_S3_S2_
		.amdhsa_group_segment_fixed_size 24
		.amdhsa_private_segment_fixed_size 0
		.amdhsa_kernarg_size 20
		.amdhsa_user_sgpr_count 6
		.amdhsa_user_sgpr_private_segment_buffer 1
		.amdhsa_user_sgpr_dispatch_ptr 0
		.amdhsa_user_sgpr_queue_ptr 0
		.amdhsa_user_sgpr_kernarg_segment_ptr 1
		.amdhsa_user_sgpr_dispatch_id 0
		.amdhsa_user_sgpr_flat_scratch_init 0
		.amdhsa_user_sgpr_kernarg_preload_length 0
		.amdhsa_user_sgpr_kernarg_preload_offset 0
		.amdhsa_user_sgpr_private_segment_size 0
		.amdhsa_uses_dynamic_stack 0
		.amdhsa_system_sgpr_private_segment_wavefront_offset 0
		.amdhsa_system_sgpr_workgroup_id_x 1
		.amdhsa_system_sgpr_workgroup_id_y 0
		.amdhsa_system_sgpr_workgroup_id_z 0
		.amdhsa_system_sgpr_workgroup_info 0
		.amdhsa_system_vgpr_workitem_id 0
		.amdhsa_next_free_vgpr 10
		.amdhsa_next_free_sgpr 8
		.amdhsa_accum_offset 12
		.amdhsa_reserve_vcc 1
		.amdhsa_reserve_flat_scratch 0
		.amdhsa_float_round_mode_32 0
		.amdhsa_float_round_mode_16_64 0
		.amdhsa_float_denorm_mode_32 3
		.amdhsa_float_denorm_mode_16_64 3
		.amdhsa_dx10_clamp 1
		.amdhsa_ieee_mode 1
		.amdhsa_fp16_overflow 0
		.amdhsa_tg_split 0
		.amdhsa_exception_fp_ieee_invalid_op 0
		.amdhsa_exception_fp_denorm_src 0
		.amdhsa_exception_fp_ieee_div_zero 0
		.amdhsa_exception_fp_ieee_overflow 0
		.amdhsa_exception_fp_ieee_underflow 0
		.amdhsa_exception_fp_ieee_inexact 0
		.amdhsa_exception_int_div_zero 0
	.end_amdhsa_kernel
	.section	.text._Z28exclusive_scan_reduce_kernelILj377ELN6hipcub18BlockScanAlgorithmE0EjEvPT1_S3_S2_,"axG",@progbits,_Z28exclusive_scan_reduce_kernelILj377ELN6hipcub18BlockScanAlgorithmE0EjEvPT1_S3_S2_,comdat
.Lfunc_end109:
	.size	_Z28exclusive_scan_reduce_kernelILj377ELN6hipcub18BlockScanAlgorithmE0EjEvPT1_S3_S2_, .Lfunc_end109-_Z28exclusive_scan_reduce_kernelILj377ELN6hipcub18BlockScanAlgorithmE0EjEvPT1_S3_S2_
                                        ; -- End function
	.section	.AMDGPU.csdata,"",@progbits
; Kernel info:
; codeLenInByte = 564
; NumSgprs: 12
; NumVgprs: 10
; NumAgprs: 0
; TotalNumVgprs: 10
; ScratchSize: 0
; MemoryBound: 0
; FloatMode: 240
; IeeeMode: 1
; LDSByteSize: 24 bytes/workgroup (compile time only)
; SGPRBlocks: 1
; VGPRBlocks: 1
; NumSGPRsForWavesPerEU: 12
; NumVGPRsForWavesPerEU: 10
; AccumOffset: 12
; Occupancy: 8
; WaveLimiterHint : 0
; COMPUTE_PGM_RSRC2:SCRATCH_EN: 0
; COMPUTE_PGM_RSRC2:USER_SGPR: 6
; COMPUTE_PGM_RSRC2:TRAP_HANDLER: 0
; COMPUTE_PGM_RSRC2:TGID_X_EN: 1
; COMPUTE_PGM_RSRC2:TGID_Y_EN: 0
; COMPUTE_PGM_RSRC2:TGID_Z_EN: 0
; COMPUTE_PGM_RSRC2:TIDIG_COMP_CNT: 0
; COMPUTE_PGM_RSRC3_GFX90A:ACCUM_OFFSET: 2
; COMPUTE_PGM_RSRC3_GFX90A:TG_SPLIT: 0
	.section	.text._Z28exclusive_scan_reduce_kernelILj256ELN6hipcub18BlockScanAlgorithmE0EjEvPT1_S3_S2_,"axG",@progbits,_Z28exclusive_scan_reduce_kernelILj256ELN6hipcub18BlockScanAlgorithmE0EjEvPT1_S3_S2_,comdat
	.protected	_Z28exclusive_scan_reduce_kernelILj256ELN6hipcub18BlockScanAlgorithmE0EjEvPT1_S3_S2_ ; -- Begin function _Z28exclusive_scan_reduce_kernelILj256ELN6hipcub18BlockScanAlgorithmE0EjEvPT1_S3_S2_
	.globl	_Z28exclusive_scan_reduce_kernelILj256ELN6hipcub18BlockScanAlgorithmE0EjEvPT1_S3_S2_
	.p2align	8
	.type	_Z28exclusive_scan_reduce_kernelILj256ELN6hipcub18BlockScanAlgorithmE0EjEvPT1_S3_S2_,@function
_Z28exclusive_scan_reduce_kernelILj256ELN6hipcub18BlockScanAlgorithmE0EjEvPT1_S3_S2_: ; @_Z28exclusive_scan_reduce_kernelILj256ELN6hipcub18BlockScanAlgorithmE0EjEvPT1_S3_S2_
; %bb.0:
	s_load_dwordx4 s[0:3], s[4:5], 0x0
	v_lshl_or_b32 v2, s6, 8, v0
	v_mov_b32_e32 v3, 0
	v_lshlrev_b64 v[2:3], 2, v[2:3]
	v_or_b32_e32 v6, 63, v0
	s_waitcnt lgkmcnt(0)
	v_mov_b32_e32 v1, s1
	v_add_co_u32_e32 v2, vcc, s0, v2
	v_addc_co_u32_e32 v3, vcc, v1, v3, vcc
	global_load_dword v5, v[2:3], off
	v_mbcnt_lo_u32_b32 v1, -1, 0
	v_mbcnt_hi_u32_b32 v1, -1, v1
	v_and_b32_e32 v7, 15, v1
	v_cmp_ne_u32_e32 vcc, 0, v7
	v_bfe_i32 v8, v1, 4, 1
	v_lshrrev_b32_e32 v4, 6, v0
	s_waitcnt vmcnt(0)
	v_mov_b32_dpp v9, v5 row_shr:1 row_mask:0xf bank_mask:0xf
	v_cndmask_b32_e32 v9, 0, v9, vcc
	v_add_u32_e32 v5, v9, v5
	v_cmp_lt_u32_e32 vcc, 1, v7
	s_nop 0
	v_mov_b32_dpp v9, v5 row_shr:2 row_mask:0xf bank_mask:0xf
	v_cndmask_b32_e32 v9, 0, v9, vcc
	v_add_u32_e32 v5, v5, v9
	v_cmp_lt_u32_e32 vcc, 3, v7
	s_nop 0
	;; [unrolled: 5-line block ×4, first 2 shown]
	v_mov_b32_dpp v7, v5 row_bcast:15 row_mask:0xf bank_mask:0xf
	v_and_b32_e32 v7, v8, v7
	v_add_u32_e32 v5, v5, v7
	s_nop 1
	v_mov_b32_dpp v7, v5 row_bcast:31 row_mask:0xf bank_mask:0xf
	v_cndmask_b32_e32 v7, 0, v7, vcc
	v_add_u32_e32 v5, v5, v7
	v_cmp_eq_u32_e32 vcc, v6, v0
	s_and_saveexec_b64 s[0:1], vcc
	s_cbranch_execz .LBB110_2
; %bb.1:
	v_lshlrev_b32_e32 v6, 2, v4
	ds_write_b32 v6, v5
.LBB110_2:
	s_or_b64 exec, exec, s[0:1]
	v_cmp_gt_u32_e32 vcc, 4, v0
	s_waitcnt lgkmcnt(0)
	s_barrier
	s_and_saveexec_b64 s[0:1], vcc
	s_cbranch_execz .LBB110_4
; %bb.3:
	v_lshlrev_b32_e32 v6, 2, v0
	ds_read_b32 v7, v6
	v_and_b32_e32 v8, 3, v1
	v_cmp_ne_u32_e32 vcc, 0, v8
	s_waitcnt lgkmcnt(0)
	v_mov_b32_dpp v9, v7 row_shr:1 row_mask:0xf bank_mask:0xf
	v_cndmask_b32_e32 v9, 0, v9, vcc
	v_add_u32_e32 v7, v9, v7
	v_cmp_lt_u32_e32 vcc, 1, v8
	s_nop 0
	v_mov_b32_dpp v9, v7 row_shr:2 row_mask:0xf bank_mask:0xf
	v_cndmask_b32_e32 v8, 0, v9, vcc
	v_add_u32_e32 v7, v7, v8
	ds_write_b32 v6, v7
.LBB110_4:
	s_or_b64 exec, exec, s[0:1]
	s_load_dword s4, s[4:5], 0x10
	v_cmp_lt_u32_e32 vcc, 63, v0
	s_waitcnt lgkmcnt(0)
	s_barrier
	v_mov_b32_e32 v6, s4
	s_and_saveexec_b64 s[0:1], vcc
	s_cbranch_execz .LBB110_6
; %bb.5:
	v_lshl_add_u32 v4, v4, 2, -4
	ds_read_b32 v4, v4
	s_waitcnt lgkmcnt(0)
	v_add_u32_e32 v6, s4, v4
.LBB110_6:
	s_or_b64 exec, exec, s[0:1]
	v_add_u32_e32 v4, v6, v5
	v_add_u32_e32 v5, -1, v1
	v_and_b32_e32 v7, 64, v1
	v_cmp_lt_i32_e32 vcc, v5, v7
	v_cndmask_b32_e32 v5, v5, v1, vcc
	v_lshlrev_b32_e32 v5, 2, v5
	ds_bpermute_b32 v4, v5, v4
	v_cmp_eq_u32_e32 vcc, 0, v1
	s_mov_b32 s7, 0
	s_waitcnt lgkmcnt(0)
	v_cndmask_b32_e32 v1, v4, v6, vcc
	v_cmp_eq_u32_e32 vcc, 0, v0
	global_store_dword v[2:3], v1, off
	s_and_saveexec_b64 s[0:1], vcc
	s_cbranch_execz .LBB110_8
; %bb.7:
	v_mov_b32_e32 v0, 0
	ds_read_b32 v1, v0 offset:12
	s_lshl_b64 s[0:1], s[6:7], 2
	s_add_u32 s0, s2, s0
	s_addc_u32 s1, s3, s1
	s_waitcnt lgkmcnt(0)
	global_store_dword v0, v1, s[0:1]
.LBB110_8:
	s_endpgm
	.section	.rodata,"a",@progbits
	.p2align	6, 0x0
	.amdhsa_kernel _Z28exclusive_scan_reduce_kernelILj256ELN6hipcub18BlockScanAlgorithmE0EjEvPT1_S3_S2_
		.amdhsa_group_segment_fixed_size 16
		.amdhsa_private_segment_fixed_size 0
		.amdhsa_kernarg_size 20
		.amdhsa_user_sgpr_count 6
		.amdhsa_user_sgpr_private_segment_buffer 1
		.amdhsa_user_sgpr_dispatch_ptr 0
		.amdhsa_user_sgpr_queue_ptr 0
		.amdhsa_user_sgpr_kernarg_segment_ptr 1
		.amdhsa_user_sgpr_dispatch_id 0
		.amdhsa_user_sgpr_flat_scratch_init 0
		.amdhsa_user_sgpr_kernarg_preload_length 0
		.amdhsa_user_sgpr_kernarg_preload_offset 0
		.amdhsa_user_sgpr_private_segment_size 0
		.amdhsa_uses_dynamic_stack 0
		.amdhsa_system_sgpr_private_segment_wavefront_offset 0
		.amdhsa_system_sgpr_workgroup_id_x 1
		.amdhsa_system_sgpr_workgroup_id_y 0
		.amdhsa_system_sgpr_workgroup_id_z 0
		.amdhsa_system_sgpr_workgroup_info 0
		.amdhsa_system_vgpr_workitem_id 0
		.amdhsa_next_free_vgpr 10
		.amdhsa_next_free_sgpr 8
		.amdhsa_accum_offset 12
		.amdhsa_reserve_vcc 1
		.amdhsa_reserve_flat_scratch 0
		.amdhsa_float_round_mode_32 0
		.amdhsa_float_round_mode_16_64 0
		.amdhsa_float_denorm_mode_32 3
		.amdhsa_float_denorm_mode_16_64 3
		.amdhsa_dx10_clamp 1
		.amdhsa_ieee_mode 1
		.amdhsa_fp16_overflow 0
		.amdhsa_tg_split 0
		.amdhsa_exception_fp_ieee_invalid_op 0
		.amdhsa_exception_fp_denorm_src 0
		.amdhsa_exception_fp_ieee_div_zero 0
		.amdhsa_exception_fp_ieee_overflow 0
		.amdhsa_exception_fp_ieee_underflow 0
		.amdhsa_exception_fp_ieee_inexact 0
		.amdhsa_exception_int_div_zero 0
	.end_amdhsa_kernel
	.section	.text._Z28exclusive_scan_reduce_kernelILj256ELN6hipcub18BlockScanAlgorithmE0EjEvPT1_S3_S2_,"axG",@progbits,_Z28exclusive_scan_reduce_kernelILj256ELN6hipcub18BlockScanAlgorithmE0EjEvPT1_S3_S2_,comdat
.Lfunc_end110:
	.size	_Z28exclusive_scan_reduce_kernelILj256ELN6hipcub18BlockScanAlgorithmE0EjEvPT1_S3_S2_, .Lfunc_end110-_Z28exclusive_scan_reduce_kernelILj256ELN6hipcub18BlockScanAlgorithmE0EjEvPT1_S3_S2_
                                        ; -- End function
	.section	.AMDGPU.csdata,"",@progbits
; Kernel info:
; codeLenInByte = 520
; NumSgprs: 12
; NumVgprs: 10
; NumAgprs: 0
; TotalNumVgprs: 10
; ScratchSize: 0
; MemoryBound: 0
; FloatMode: 240
; IeeeMode: 1
; LDSByteSize: 16 bytes/workgroup (compile time only)
; SGPRBlocks: 1
; VGPRBlocks: 1
; NumSGPRsForWavesPerEU: 12
; NumVGPRsForWavesPerEU: 10
; AccumOffset: 12
; Occupancy: 8
; WaveLimiterHint : 0
; COMPUTE_PGM_RSRC2:SCRATCH_EN: 0
; COMPUTE_PGM_RSRC2:USER_SGPR: 6
; COMPUTE_PGM_RSRC2:TRAP_HANDLER: 0
; COMPUTE_PGM_RSRC2:TGID_X_EN: 1
; COMPUTE_PGM_RSRC2:TGID_Y_EN: 0
; COMPUTE_PGM_RSRC2:TGID_Z_EN: 0
; COMPUTE_PGM_RSRC2:TIDIG_COMP_CNT: 0
; COMPUTE_PGM_RSRC3_GFX90A:ACCUM_OFFSET: 2
; COMPUTE_PGM_RSRC3_GFX90A:TG_SPLIT: 0
	.section	.text._Z28exclusive_scan_reduce_kernelILj64ELN6hipcub18BlockScanAlgorithmE0EjEvPT1_S3_S2_,"axG",@progbits,_Z28exclusive_scan_reduce_kernelILj64ELN6hipcub18BlockScanAlgorithmE0EjEvPT1_S3_S2_,comdat
	.protected	_Z28exclusive_scan_reduce_kernelILj64ELN6hipcub18BlockScanAlgorithmE0EjEvPT1_S3_S2_ ; -- Begin function _Z28exclusive_scan_reduce_kernelILj64ELN6hipcub18BlockScanAlgorithmE0EjEvPT1_S3_S2_
	.globl	_Z28exclusive_scan_reduce_kernelILj64ELN6hipcub18BlockScanAlgorithmE0EjEvPT1_S3_S2_
	.p2align	8
	.type	_Z28exclusive_scan_reduce_kernelILj64ELN6hipcub18BlockScanAlgorithmE0EjEvPT1_S3_S2_,@function
_Z28exclusive_scan_reduce_kernelILj64ELN6hipcub18BlockScanAlgorithmE0EjEvPT1_S3_S2_: ; @_Z28exclusive_scan_reduce_kernelILj64ELN6hipcub18BlockScanAlgorithmE0EjEvPT1_S3_S2_
; %bb.0:
	s_load_dwordx4 s[0:3], s[4:5], 0x0
	v_lshl_or_b32 v4, s6, 6, v0
	v_mov_b32_e32 v5, 0
	v_lshlrev_b64 v[2:3], 2, v[4:5]
	s_waitcnt lgkmcnt(0)
	v_mov_b32_e32 v1, s1
	v_add_co_u32_e32 v2, vcc, s0, v2
	v_addc_co_u32_e32 v3, vcc, v1, v3, vcc
	global_load_dword v4, v[2:3], off
	v_mbcnt_lo_u32_b32 v1, -1, 0
	v_mbcnt_hi_u32_b32 v1, -1, v1
	v_and_b32_e32 v6, 15, v1
	v_cmp_ne_u32_e32 vcc, 0, v6
	v_bfe_i32 v7, v1, 4, 1
	s_waitcnt vmcnt(0)
	v_mov_b32_dpp v8, v4 row_shr:1 row_mask:0xf bank_mask:0xf
	v_cndmask_b32_e32 v8, 0, v8, vcc
	v_add_u32_e32 v4, v8, v4
	v_cmp_lt_u32_e32 vcc, 1, v6
	s_nop 0
	v_mov_b32_dpp v8, v4 row_shr:2 row_mask:0xf bank_mask:0xf
	v_cndmask_b32_e32 v8, 0, v8, vcc
	v_add_u32_e32 v4, v4, v8
	v_cmp_lt_u32_e32 vcc, 3, v6
	s_nop 0
	v_mov_b32_dpp v8, v4 row_shr:4 row_mask:0xf bank_mask:0xf
	v_cndmask_b32_e32 v8, 0, v8, vcc
	v_add_u32_e32 v4, v4, v8
	v_cmp_lt_u32_e32 vcc, 7, v6
	s_nop 0
	v_mov_b32_dpp v8, v4 row_shr:8 row_mask:0xf bank_mask:0xf
	v_cndmask_b32_e32 v6, 0, v8, vcc
	v_add_u32_e32 v4, v4, v6
	v_cmp_lt_u32_e32 vcc, 31, v1
	s_nop 0
	v_mov_b32_dpp v6, v4 row_bcast:15 row_mask:0xf bank_mask:0xf
	v_and_b32_e32 v6, v7, v6
	v_add_u32_e32 v4, v4, v6
	s_nop 1
	v_mov_b32_dpp v6, v4 row_bcast:31 row_mask:0xf bank_mask:0xf
	v_cndmask_b32_e32 v6, 0, v6, vcc
	v_add_u32_e32 v4, v4, v6
	v_cmp_eq_u32_e32 vcc, 63, v0
	s_and_saveexec_b64 s[0:1], vcc
	s_cbranch_execz .LBB111_2
; %bb.1:
	ds_write_b32 v5, v4
.LBB111_2:
	s_or_b64 exec, exec, s[0:1]
	s_load_dword s0, s[4:5], 0x10
	v_add_u32_e32 v5, -1, v1
	v_and_b32_e32 v6, 64, v1
	v_cmp_lt_i32_e32 vcc, v5, v6
	v_cndmask_b32_e32 v5, v5, v1, vcc
	s_waitcnt lgkmcnt(0)
	v_add_u32_e32 v4, s0, v4
	v_lshlrev_b32_e32 v5, 2, v5
	ds_bpermute_b32 v4, v5, v4
	v_mov_b32_e32 v5, s0
	v_cmp_eq_u32_e32 vcc, 0, v1
	s_waitcnt lgkmcnt(0)
	; wave barrier
	s_waitcnt lgkmcnt(0)
	v_cndmask_b32_e32 v1, v4, v5, vcc
	v_cmp_eq_u32_e32 vcc, 0, v0
	global_store_dword v[2:3], v1, off
	s_and_saveexec_b64 s[0:1], vcc
	s_cbranch_execz .LBB111_4
; %bb.3:
	v_mov_b32_e32 v0, 0
	ds_read_b32 v1, v0
	s_mov_b32 s7, 0
	s_lshl_b64 s[0:1], s[6:7], 2
	s_add_u32 s0, s2, s0
	s_addc_u32 s1, s3, s1
	s_waitcnt lgkmcnt(0)
	global_store_dword v0, v1, s[0:1]
.LBB111_4:
	s_endpgm
	.section	.rodata,"a",@progbits
	.p2align	6, 0x0
	.amdhsa_kernel _Z28exclusive_scan_reduce_kernelILj64ELN6hipcub18BlockScanAlgorithmE0EjEvPT1_S3_S2_
		.amdhsa_group_segment_fixed_size 4
		.amdhsa_private_segment_fixed_size 0
		.amdhsa_kernarg_size 20
		.amdhsa_user_sgpr_count 6
		.amdhsa_user_sgpr_private_segment_buffer 1
		.amdhsa_user_sgpr_dispatch_ptr 0
		.amdhsa_user_sgpr_queue_ptr 0
		.amdhsa_user_sgpr_kernarg_segment_ptr 1
		.amdhsa_user_sgpr_dispatch_id 0
		.amdhsa_user_sgpr_flat_scratch_init 0
		.amdhsa_user_sgpr_kernarg_preload_length 0
		.amdhsa_user_sgpr_kernarg_preload_offset 0
		.amdhsa_user_sgpr_private_segment_size 0
		.amdhsa_uses_dynamic_stack 0
		.amdhsa_system_sgpr_private_segment_wavefront_offset 0
		.amdhsa_system_sgpr_workgroup_id_x 1
		.amdhsa_system_sgpr_workgroup_id_y 0
		.amdhsa_system_sgpr_workgroup_id_z 0
		.amdhsa_system_sgpr_workgroup_info 0
		.amdhsa_system_vgpr_workitem_id 0
		.amdhsa_next_free_vgpr 9
		.amdhsa_next_free_sgpr 8
		.amdhsa_accum_offset 12
		.amdhsa_reserve_vcc 1
		.amdhsa_reserve_flat_scratch 0
		.amdhsa_float_round_mode_32 0
		.amdhsa_float_round_mode_16_64 0
		.amdhsa_float_denorm_mode_32 3
		.amdhsa_float_denorm_mode_16_64 3
		.amdhsa_dx10_clamp 1
		.amdhsa_ieee_mode 1
		.amdhsa_fp16_overflow 0
		.amdhsa_tg_split 0
		.amdhsa_exception_fp_ieee_invalid_op 0
		.amdhsa_exception_fp_denorm_src 0
		.amdhsa_exception_fp_ieee_div_zero 0
		.amdhsa_exception_fp_ieee_overflow 0
		.amdhsa_exception_fp_ieee_underflow 0
		.amdhsa_exception_fp_ieee_inexact 0
		.amdhsa_exception_int_div_zero 0
	.end_amdhsa_kernel
	.section	.text._Z28exclusive_scan_reduce_kernelILj64ELN6hipcub18BlockScanAlgorithmE0EjEvPT1_S3_S2_,"axG",@progbits,_Z28exclusive_scan_reduce_kernelILj64ELN6hipcub18BlockScanAlgorithmE0EjEvPT1_S3_S2_,comdat
.Lfunc_end111:
	.size	_Z28exclusive_scan_reduce_kernelILj64ELN6hipcub18BlockScanAlgorithmE0EjEvPT1_S3_S2_, .Lfunc_end111-_Z28exclusive_scan_reduce_kernelILj64ELN6hipcub18BlockScanAlgorithmE0EjEvPT1_S3_S2_
                                        ; -- End function
	.section	.AMDGPU.csdata,"",@progbits
; Kernel info:
; codeLenInByte = 372
; NumSgprs: 12
; NumVgprs: 9
; NumAgprs: 0
; TotalNumVgprs: 9
; ScratchSize: 0
; MemoryBound: 0
; FloatMode: 240
; IeeeMode: 1
; LDSByteSize: 4 bytes/workgroup (compile time only)
; SGPRBlocks: 1
; VGPRBlocks: 1
; NumSGPRsForWavesPerEU: 12
; NumVGPRsForWavesPerEU: 9
; AccumOffset: 12
; Occupancy: 8
; WaveLimiterHint : 0
; COMPUTE_PGM_RSRC2:SCRATCH_EN: 0
; COMPUTE_PGM_RSRC2:USER_SGPR: 6
; COMPUTE_PGM_RSRC2:TRAP_HANDLER: 0
; COMPUTE_PGM_RSRC2:TGID_X_EN: 1
; COMPUTE_PGM_RSRC2:TGID_Y_EN: 0
; COMPUTE_PGM_RSRC2:TGID_Z_EN: 0
; COMPUTE_PGM_RSRC2:TIDIG_COMP_CNT: 0
; COMPUTE_PGM_RSRC3_GFX90A:ACCUM_OFFSET: 2
; COMPUTE_PGM_RSRC3_GFX90A:TG_SPLIT: 0
	.section	.text._Z28exclusive_scan_reduce_kernelILj255ELN6hipcub18BlockScanAlgorithmE0EiEvPT1_S3_S2_,"axG",@progbits,_Z28exclusive_scan_reduce_kernelILj255ELN6hipcub18BlockScanAlgorithmE0EiEvPT1_S3_S2_,comdat
	.protected	_Z28exclusive_scan_reduce_kernelILj255ELN6hipcub18BlockScanAlgorithmE0EiEvPT1_S3_S2_ ; -- Begin function _Z28exclusive_scan_reduce_kernelILj255ELN6hipcub18BlockScanAlgorithmE0EiEvPT1_S3_S2_
	.globl	_Z28exclusive_scan_reduce_kernelILj255ELN6hipcub18BlockScanAlgorithmE0EiEvPT1_S3_S2_
	.p2align	8
	.type	_Z28exclusive_scan_reduce_kernelILj255ELN6hipcub18BlockScanAlgorithmE0EiEvPT1_S3_S2_,@function
_Z28exclusive_scan_reduce_kernelILj255ELN6hipcub18BlockScanAlgorithmE0EiEvPT1_S3_S2_: ; @_Z28exclusive_scan_reduce_kernelILj255ELN6hipcub18BlockScanAlgorithmE0EiEvPT1_S3_S2_
; %bb.0:
	s_load_dwordx4 s[0:3], s[4:5], 0x0
	s_mul_i32 s7, s6, 0xff
	v_add_u32_e32 v2, s7, v0
	v_mov_b32_e32 v3, 0
	v_lshlrev_b64 v[2:3], 2, v[2:3]
	s_waitcnt lgkmcnt(0)
	v_mov_b32_e32 v1, s1
	v_add_co_u32_e32 v2, vcc, s0, v2
	v_addc_co_u32_e32 v3, vcc, v1, v3, vcc
	global_load_dword v5, v[2:3], off
	v_mbcnt_lo_u32_b32 v1, -1, 0
	v_mbcnt_hi_u32_b32 v1, -1, v1
	v_and_b32_e32 v7, 15, v1
	v_cmp_ne_u32_e32 vcc, 0, v7
	v_bfe_i32 v8, v1, 4, 1
	v_and_b32_e32 v6, 0xc0, v0
	v_min_u32_e32 v6, 0xbf, v6
	v_add_u32_e32 v6, 63, v6
	v_lshrrev_b32_e32 v4, 6, v0
	s_waitcnt vmcnt(0)
	v_mov_b32_dpp v9, v5 row_shr:1 row_mask:0xf bank_mask:0xf
	v_cndmask_b32_e32 v9, 0, v9, vcc
	v_add_u32_e32 v5, v9, v5
	v_cmp_lt_u32_e32 vcc, 1, v7
	s_nop 0
	v_mov_b32_dpp v9, v5 row_shr:2 row_mask:0xf bank_mask:0xf
	v_cndmask_b32_e32 v9, 0, v9, vcc
	v_add_u32_e32 v5, v5, v9
	v_cmp_lt_u32_e32 vcc, 3, v7
	s_nop 0
	;; [unrolled: 5-line block ×4, first 2 shown]
	v_mov_b32_dpp v7, v5 row_bcast:15 row_mask:0xf bank_mask:0xf
	v_and_b32_e32 v7, v8, v7
	v_add_u32_e32 v5, v5, v7
	s_nop 1
	v_mov_b32_dpp v7, v5 row_bcast:31 row_mask:0xf bank_mask:0xf
	v_cndmask_b32_e32 v7, 0, v7, vcc
	v_add_u32_e32 v5, v5, v7
	v_cmp_eq_u32_e32 vcc, v6, v0
	s_and_saveexec_b64 s[0:1], vcc
	s_cbranch_execz .LBB112_2
; %bb.1:
	v_lshlrev_b32_e32 v6, 2, v4
	ds_write_b32 v6, v5
.LBB112_2:
	s_or_b64 exec, exec, s[0:1]
	v_cmp_gt_u32_e32 vcc, 4, v0
	s_waitcnt lgkmcnt(0)
	s_barrier
	s_and_saveexec_b64 s[0:1], vcc
	s_cbranch_execz .LBB112_4
; %bb.3:
	v_lshlrev_b32_e32 v6, 2, v0
	ds_read_b32 v7, v6
	v_and_b32_e32 v8, 3, v1
	v_cmp_ne_u32_e32 vcc, 0, v8
	s_waitcnt lgkmcnt(0)
	v_mov_b32_dpp v9, v7 row_shr:1 row_mask:0xf bank_mask:0xf
	v_cndmask_b32_e32 v9, 0, v9, vcc
	v_add_u32_e32 v7, v9, v7
	v_cmp_lt_u32_e32 vcc, 1, v8
	s_nop 0
	v_mov_b32_dpp v9, v7 row_shr:2 row_mask:0xf bank_mask:0xf
	v_cndmask_b32_e32 v8, 0, v9, vcc
	v_add_u32_e32 v7, v7, v8
	ds_write_b32 v6, v7
.LBB112_4:
	s_or_b64 exec, exec, s[0:1]
	s_load_dword s4, s[4:5], 0x10
	v_cmp_lt_u32_e32 vcc, 63, v0
	s_waitcnt lgkmcnt(0)
	s_barrier
	v_mov_b32_e32 v6, s4
	s_and_saveexec_b64 s[0:1], vcc
	s_cbranch_execz .LBB112_6
; %bb.5:
	v_lshl_add_u32 v4, v4, 2, -4
	ds_read_b32 v4, v4
	s_waitcnt lgkmcnt(0)
	v_add_u32_e32 v6, s4, v4
.LBB112_6:
	s_or_b64 exec, exec, s[0:1]
	v_add_u32_e32 v4, v6, v5
	v_add_u32_e32 v5, -1, v1
	v_and_b32_e32 v7, 64, v1
	v_cmp_lt_i32_e32 vcc, v5, v7
	v_cndmask_b32_e32 v5, v5, v1, vcc
	v_lshlrev_b32_e32 v5, 2, v5
	ds_bpermute_b32 v4, v5, v4
	v_cmp_eq_u32_e32 vcc, 0, v1
	s_mov_b32 s7, 0
	s_waitcnt lgkmcnt(0)
	v_cndmask_b32_e32 v1, v4, v6, vcc
	v_cmp_eq_u32_e32 vcc, 0, v0
	global_store_dword v[2:3], v1, off
	s_and_saveexec_b64 s[0:1], vcc
	s_cbranch_execz .LBB112_8
; %bb.7:
	v_mov_b32_e32 v0, 0
	ds_read_b32 v1, v0 offset:12
	s_lshl_b64 s[0:1], s[6:7], 2
	s_add_u32 s0, s2, s0
	s_addc_u32 s1, s3, s1
	s_waitcnt lgkmcnt(0)
	global_store_dword v0, v1, s[0:1]
.LBB112_8:
	s_endpgm
	.section	.rodata,"a",@progbits
	.p2align	6, 0x0
	.amdhsa_kernel _Z28exclusive_scan_reduce_kernelILj255ELN6hipcub18BlockScanAlgorithmE0EiEvPT1_S3_S2_
		.amdhsa_group_segment_fixed_size 16
		.amdhsa_private_segment_fixed_size 0
		.amdhsa_kernarg_size 20
		.amdhsa_user_sgpr_count 6
		.amdhsa_user_sgpr_private_segment_buffer 1
		.amdhsa_user_sgpr_dispatch_ptr 0
		.amdhsa_user_sgpr_queue_ptr 0
		.amdhsa_user_sgpr_kernarg_segment_ptr 1
		.amdhsa_user_sgpr_dispatch_id 0
		.amdhsa_user_sgpr_flat_scratch_init 0
		.amdhsa_user_sgpr_kernarg_preload_length 0
		.amdhsa_user_sgpr_kernarg_preload_offset 0
		.amdhsa_user_sgpr_private_segment_size 0
		.amdhsa_uses_dynamic_stack 0
		.amdhsa_system_sgpr_private_segment_wavefront_offset 0
		.amdhsa_system_sgpr_workgroup_id_x 1
		.amdhsa_system_sgpr_workgroup_id_y 0
		.amdhsa_system_sgpr_workgroup_id_z 0
		.amdhsa_system_sgpr_workgroup_info 0
		.amdhsa_system_vgpr_workitem_id 0
		.amdhsa_next_free_vgpr 10
		.amdhsa_next_free_sgpr 8
		.amdhsa_accum_offset 12
		.amdhsa_reserve_vcc 1
		.amdhsa_reserve_flat_scratch 0
		.amdhsa_float_round_mode_32 0
		.amdhsa_float_round_mode_16_64 0
		.amdhsa_float_denorm_mode_32 3
		.amdhsa_float_denorm_mode_16_64 3
		.amdhsa_dx10_clamp 1
		.amdhsa_ieee_mode 1
		.amdhsa_fp16_overflow 0
		.amdhsa_tg_split 0
		.amdhsa_exception_fp_ieee_invalid_op 0
		.amdhsa_exception_fp_denorm_src 0
		.amdhsa_exception_fp_ieee_div_zero 0
		.amdhsa_exception_fp_ieee_overflow 0
		.amdhsa_exception_fp_ieee_underflow 0
		.amdhsa_exception_fp_ieee_inexact 0
		.amdhsa_exception_int_div_zero 0
	.end_amdhsa_kernel
	.section	.text._Z28exclusive_scan_reduce_kernelILj255ELN6hipcub18BlockScanAlgorithmE0EiEvPT1_S3_S2_,"axG",@progbits,_Z28exclusive_scan_reduce_kernelILj255ELN6hipcub18BlockScanAlgorithmE0EiEvPT1_S3_S2_,comdat
.Lfunc_end112:
	.size	_Z28exclusive_scan_reduce_kernelILj255ELN6hipcub18BlockScanAlgorithmE0EiEvPT1_S3_S2_, .Lfunc_end112-_Z28exclusive_scan_reduce_kernelILj255ELN6hipcub18BlockScanAlgorithmE0EiEvPT1_S3_S2_
                                        ; -- End function
	.section	.AMDGPU.csdata,"",@progbits
; Kernel info:
; codeLenInByte = 540
; NumSgprs: 12
; NumVgprs: 10
; NumAgprs: 0
; TotalNumVgprs: 10
; ScratchSize: 0
; MemoryBound: 0
; FloatMode: 240
; IeeeMode: 1
; LDSByteSize: 16 bytes/workgroup (compile time only)
; SGPRBlocks: 1
; VGPRBlocks: 1
; NumSGPRsForWavesPerEU: 12
; NumVGPRsForWavesPerEU: 10
; AccumOffset: 12
; Occupancy: 8
; WaveLimiterHint : 0
; COMPUTE_PGM_RSRC2:SCRATCH_EN: 0
; COMPUTE_PGM_RSRC2:USER_SGPR: 6
; COMPUTE_PGM_RSRC2:TRAP_HANDLER: 0
; COMPUTE_PGM_RSRC2:TGID_X_EN: 1
; COMPUTE_PGM_RSRC2:TGID_Y_EN: 0
; COMPUTE_PGM_RSRC2:TGID_Z_EN: 0
; COMPUTE_PGM_RSRC2:TIDIG_COMP_CNT: 0
; COMPUTE_PGM_RSRC3_GFX90A:ACCUM_OFFSET: 2
; COMPUTE_PGM_RSRC3_GFX90A:TG_SPLIT: 0
	.section	.text._Z28exclusive_scan_reduce_kernelILj162ELN6hipcub18BlockScanAlgorithmE0EiEvPT1_S3_S2_,"axG",@progbits,_Z28exclusive_scan_reduce_kernelILj162ELN6hipcub18BlockScanAlgorithmE0EiEvPT1_S3_S2_,comdat
	.protected	_Z28exclusive_scan_reduce_kernelILj162ELN6hipcub18BlockScanAlgorithmE0EiEvPT1_S3_S2_ ; -- Begin function _Z28exclusive_scan_reduce_kernelILj162ELN6hipcub18BlockScanAlgorithmE0EiEvPT1_S3_S2_
	.globl	_Z28exclusive_scan_reduce_kernelILj162ELN6hipcub18BlockScanAlgorithmE0EiEvPT1_S3_S2_
	.p2align	8
	.type	_Z28exclusive_scan_reduce_kernelILj162ELN6hipcub18BlockScanAlgorithmE0EiEvPT1_S3_S2_,@function
_Z28exclusive_scan_reduce_kernelILj162ELN6hipcub18BlockScanAlgorithmE0EiEvPT1_S3_S2_: ; @_Z28exclusive_scan_reduce_kernelILj162ELN6hipcub18BlockScanAlgorithmE0EiEvPT1_S3_S2_
; %bb.0:
	s_load_dwordx4 s[0:3], s[4:5], 0x0
	s_mul_i32 s7, s6, 0xa2
	v_add_u32_e32 v2, s7, v0
	v_mov_b32_e32 v3, 0
	v_lshlrev_b64 v[2:3], 2, v[2:3]
	s_waitcnt lgkmcnt(0)
	v_mov_b32_e32 v1, s1
	v_add_co_u32_e32 v2, vcc, s0, v2
	v_addc_co_u32_e32 v3, vcc, v1, v3, vcc
	global_load_dword v5, v[2:3], off
	v_mbcnt_lo_u32_b32 v1, -1, 0
	v_mbcnt_hi_u32_b32 v1, -1, v1
	v_and_b32_e32 v7, 15, v1
	v_cmp_ne_u32_e32 vcc, 0, v7
	v_bfe_i32 v8, v1, 4, 1
	v_and_b32_e32 v6, 0xc0, v0
	v_min_u32_e32 v6, 0x62, v6
	v_add_u32_e32 v6, 63, v6
	v_lshrrev_b32_e32 v4, 6, v0
	s_waitcnt vmcnt(0)
	v_mov_b32_dpp v9, v5 row_shr:1 row_mask:0xf bank_mask:0xf
	v_cndmask_b32_e32 v9, 0, v9, vcc
	v_add_u32_e32 v5, v9, v5
	v_cmp_lt_u32_e32 vcc, 1, v7
	s_nop 0
	v_mov_b32_dpp v9, v5 row_shr:2 row_mask:0xf bank_mask:0xf
	v_cndmask_b32_e32 v9, 0, v9, vcc
	v_add_u32_e32 v5, v5, v9
	v_cmp_lt_u32_e32 vcc, 3, v7
	s_nop 0
	;; [unrolled: 5-line block ×4, first 2 shown]
	v_mov_b32_dpp v7, v5 row_bcast:15 row_mask:0xf bank_mask:0xf
	v_and_b32_e32 v7, v8, v7
	v_add_u32_e32 v5, v5, v7
	s_nop 1
	v_mov_b32_dpp v7, v5 row_bcast:31 row_mask:0xf bank_mask:0xf
	v_cndmask_b32_e32 v7, 0, v7, vcc
	v_add_u32_e32 v5, v5, v7
	v_cmp_eq_u32_e32 vcc, v6, v0
	s_and_saveexec_b64 s[0:1], vcc
	s_cbranch_execz .LBB113_2
; %bb.1:
	v_lshlrev_b32_e32 v6, 2, v4
	ds_write_b32 v6, v5
.LBB113_2:
	s_or_b64 exec, exec, s[0:1]
	v_cmp_gt_u32_e32 vcc, 3, v0
	s_waitcnt lgkmcnt(0)
	s_barrier
	s_and_saveexec_b64 s[0:1], vcc
	s_cbranch_execz .LBB113_4
; %bb.3:
	v_lshlrev_b32_e32 v6, 2, v0
	ds_read_b32 v7, v6
	v_and_b32_e32 v8, 3, v1
	v_cmp_ne_u32_e32 vcc, 0, v8
	s_waitcnt lgkmcnt(0)
	v_mov_b32_dpp v9, v7 row_shr:1 row_mask:0xf bank_mask:0xf
	v_cndmask_b32_e32 v9, 0, v9, vcc
	v_add_u32_e32 v7, v9, v7
	v_cmp_lt_u32_e32 vcc, 1, v8
	s_nop 0
	v_mov_b32_dpp v9, v7 row_shr:2 row_mask:0xf bank_mask:0xf
	v_cndmask_b32_e32 v8, 0, v9, vcc
	v_add_u32_e32 v7, v7, v8
	ds_write_b32 v6, v7
.LBB113_4:
	s_or_b64 exec, exec, s[0:1]
	s_load_dword s4, s[4:5], 0x10
	v_cmp_lt_u32_e32 vcc, 63, v0
	s_waitcnt lgkmcnt(0)
	s_barrier
	v_mov_b32_e32 v6, s4
	s_and_saveexec_b64 s[0:1], vcc
	s_cbranch_execz .LBB113_6
; %bb.5:
	v_lshl_add_u32 v4, v4, 2, -4
	ds_read_b32 v4, v4
	s_waitcnt lgkmcnt(0)
	v_add_u32_e32 v6, s4, v4
.LBB113_6:
	s_or_b64 exec, exec, s[0:1]
	v_add_u32_e32 v4, v6, v5
	v_add_u32_e32 v5, -1, v1
	v_and_b32_e32 v7, 64, v1
	v_cmp_lt_i32_e32 vcc, v5, v7
	v_cndmask_b32_e32 v5, v5, v1, vcc
	v_lshlrev_b32_e32 v5, 2, v5
	ds_bpermute_b32 v4, v5, v4
	v_cmp_eq_u32_e32 vcc, 0, v1
	s_mov_b32 s7, 0
	s_waitcnt lgkmcnt(0)
	v_cndmask_b32_e32 v1, v4, v6, vcc
	v_cmp_eq_u32_e32 vcc, 0, v0
	global_store_dword v[2:3], v1, off
	s_and_saveexec_b64 s[0:1], vcc
	s_cbranch_execz .LBB113_8
; %bb.7:
	v_mov_b32_e32 v0, 0
	ds_read_b32 v1, v0 offset:8
	s_lshl_b64 s[0:1], s[6:7], 2
	s_add_u32 s0, s2, s0
	s_addc_u32 s1, s3, s1
	s_waitcnt lgkmcnt(0)
	global_store_dword v0, v1, s[0:1]
.LBB113_8:
	s_endpgm
	.section	.rodata,"a",@progbits
	.p2align	6, 0x0
	.amdhsa_kernel _Z28exclusive_scan_reduce_kernelILj162ELN6hipcub18BlockScanAlgorithmE0EiEvPT1_S3_S2_
		.amdhsa_group_segment_fixed_size 12
		.amdhsa_private_segment_fixed_size 0
		.amdhsa_kernarg_size 20
		.amdhsa_user_sgpr_count 6
		.amdhsa_user_sgpr_private_segment_buffer 1
		.amdhsa_user_sgpr_dispatch_ptr 0
		.amdhsa_user_sgpr_queue_ptr 0
		.amdhsa_user_sgpr_kernarg_segment_ptr 1
		.amdhsa_user_sgpr_dispatch_id 0
		.amdhsa_user_sgpr_flat_scratch_init 0
		.amdhsa_user_sgpr_kernarg_preload_length 0
		.amdhsa_user_sgpr_kernarg_preload_offset 0
		.amdhsa_user_sgpr_private_segment_size 0
		.amdhsa_uses_dynamic_stack 0
		.amdhsa_system_sgpr_private_segment_wavefront_offset 0
		.amdhsa_system_sgpr_workgroup_id_x 1
		.amdhsa_system_sgpr_workgroup_id_y 0
		.amdhsa_system_sgpr_workgroup_id_z 0
		.amdhsa_system_sgpr_workgroup_info 0
		.amdhsa_system_vgpr_workitem_id 0
		.amdhsa_next_free_vgpr 10
		.amdhsa_next_free_sgpr 8
		.amdhsa_accum_offset 12
		.amdhsa_reserve_vcc 1
		.amdhsa_reserve_flat_scratch 0
		.amdhsa_float_round_mode_32 0
		.amdhsa_float_round_mode_16_64 0
		.amdhsa_float_denorm_mode_32 3
		.amdhsa_float_denorm_mode_16_64 3
		.amdhsa_dx10_clamp 1
		.amdhsa_ieee_mode 1
		.amdhsa_fp16_overflow 0
		.amdhsa_tg_split 0
		.amdhsa_exception_fp_ieee_invalid_op 0
		.amdhsa_exception_fp_denorm_src 0
		.amdhsa_exception_fp_ieee_div_zero 0
		.amdhsa_exception_fp_ieee_overflow 0
		.amdhsa_exception_fp_ieee_underflow 0
		.amdhsa_exception_fp_ieee_inexact 0
		.amdhsa_exception_int_div_zero 0
	.end_amdhsa_kernel
	.section	.text._Z28exclusive_scan_reduce_kernelILj162ELN6hipcub18BlockScanAlgorithmE0EiEvPT1_S3_S2_,"axG",@progbits,_Z28exclusive_scan_reduce_kernelILj162ELN6hipcub18BlockScanAlgorithmE0EiEvPT1_S3_S2_,comdat
.Lfunc_end113:
	.size	_Z28exclusive_scan_reduce_kernelILj162ELN6hipcub18BlockScanAlgorithmE0EiEvPT1_S3_S2_, .Lfunc_end113-_Z28exclusive_scan_reduce_kernelILj162ELN6hipcub18BlockScanAlgorithmE0EiEvPT1_S3_S2_
                                        ; -- End function
	.section	.AMDGPU.csdata,"",@progbits
; Kernel info:
; codeLenInByte = 540
; NumSgprs: 12
; NumVgprs: 10
; NumAgprs: 0
; TotalNumVgprs: 10
; ScratchSize: 0
; MemoryBound: 0
; FloatMode: 240
; IeeeMode: 1
; LDSByteSize: 12 bytes/workgroup (compile time only)
; SGPRBlocks: 1
; VGPRBlocks: 1
; NumSGPRsForWavesPerEU: 12
; NumVGPRsForWavesPerEU: 10
; AccumOffset: 12
; Occupancy: 8
; WaveLimiterHint : 0
; COMPUTE_PGM_RSRC2:SCRATCH_EN: 0
; COMPUTE_PGM_RSRC2:USER_SGPR: 6
; COMPUTE_PGM_RSRC2:TRAP_HANDLER: 0
; COMPUTE_PGM_RSRC2:TGID_X_EN: 1
; COMPUTE_PGM_RSRC2:TGID_Y_EN: 0
; COMPUTE_PGM_RSRC2:TGID_Z_EN: 0
; COMPUTE_PGM_RSRC2:TIDIG_COMP_CNT: 0
; COMPUTE_PGM_RSRC3_GFX90A:ACCUM_OFFSET: 2
; COMPUTE_PGM_RSRC3_GFX90A:TG_SPLIT: 0
	.section	.text._Z28exclusive_scan_reduce_kernelILj37ELN6hipcub18BlockScanAlgorithmE0EiEvPT1_S3_S2_,"axG",@progbits,_Z28exclusive_scan_reduce_kernelILj37ELN6hipcub18BlockScanAlgorithmE0EiEvPT1_S3_S2_,comdat
	.protected	_Z28exclusive_scan_reduce_kernelILj37ELN6hipcub18BlockScanAlgorithmE0EiEvPT1_S3_S2_ ; -- Begin function _Z28exclusive_scan_reduce_kernelILj37ELN6hipcub18BlockScanAlgorithmE0EiEvPT1_S3_S2_
	.globl	_Z28exclusive_scan_reduce_kernelILj37ELN6hipcub18BlockScanAlgorithmE0EiEvPT1_S3_S2_
	.p2align	8
	.type	_Z28exclusive_scan_reduce_kernelILj37ELN6hipcub18BlockScanAlgorithmE0EiEvPT1_S3_S2_,@function
_Z28exclusive_scan_reduce_kernelILj37ELN6hipcub18BlockScanAlgorithmE0EiEvPT1_S3_S2_: ; @_Z28exclusive_scan_reduce_kernelILj37ELN6hipcub18BlockScanAlgorithmE0EiEvPT1_S3_S2_
; %bb.0:
	s_load_dwordx4 s[0:3], s[4:5], 0x0
	v_mad_u64_u32 v[4:5], s[8:9], s6, 37, v[0:1]
	v_mov_b32_e32 v5, 0
	v_lshlrev_b64 v[2:3], 2, v[4:5]
	s_waitcnt lgkmcnt(0)
	v_mov_b32_e32 v1, s1
	v_add_co_u32_e32 v2, vcc, s0, v2
	v_addc_co_u32_e32 v3, vcc, v1, v3, vcc
	global_load_dword v4, v[2:3], off
	v_mbcnt_lo_u32_b32 v1, -1, 0
	v_mbcnt_hi_u32_b32 v1, -1, v1
	v_and_b32_e32 v6, 15, v1
	v_cmp_ne_u32_e32 vcc, 0, v6
	v_bfe_i32 v7, v1, 4, 1
	s_waitcnt vmcnt(0)
	v_mov_b32_dpp v8, v4 row_shr:1 row_mask:0xf bank_mask:0xf
	v_cndmask_b32_e32 v8, 0, v8, vcc
	v_add_u32_e32 v4, v8, v4
	v_cmp_lt_u32_e32 vcc, 1, v6
	s_nop 0
	v_mov_b32_dpp v8, v4 row_shr:2 row_mask:0xf bank_mask:0xf
	v_cndmask_b32_e32 v8, 0, v8, vcc
	v_add_u32_e32 v4, v4, v8
	v_cmp_lt_u32_e32 vcc, 3, v6
	s_nop 0
	;; [unrolled: 5-line block ×4, first 2 shown]
	v_mov_b32_dpp v6, v4 row_bcast:15 row_mask:0xf bank_mask:0xf
	v_and_b32_e32 v6, v7, v6
	v_add_u32_e32 v4, v4, v6
	s_nop 1
	v_mov_b32_dpp v6, v4 row_bcast:31 row_mask:0xf bank_mask:0xf
	v_cndmask_b32_e32 v6, 0, v6, vcc
	v_add_u32_e32 v4, v4, v6
	v_cmp_eq_u32_e32 vcc, 36, v0
	s_and_saveexec_b64 s[0:1], vcc
	s_cbranch_execz .LBB114_2
; %bb.1:
	ds_write_b32 v5, v4
.LBB114_2:
	s_or_b64 exec, exec, s[0:1]
	s_load_dword s0, s[4:5], 0x10
	v_add_u32_e32 v5, -1, v1
	v_and_b32_e32 v6, 64, v1
	v_cmp_lt_i32_e32 vcc, v5, v6
	v_cndmask_b32_e32 v5, v5, v1, vcc
	s_waitcnt lgkmcnt(0)
	v_add_u32_e32 v4, s0, v4
	v_lshlrev_b32_e32 v5, 2, v5
	ds_bpermute_b32 v4, v5, v4
	v_mov_b32_e32 v5, s0
	v_cmp_eq_u32_e32 vcc, 0, v1
	s_waitcnt lgkmcnt(0)
	; wave barrier
	s_waitcnt lgkmcnt(0)
	v_cndmask_b32_e32 v1, v4, v5, vcc
	v_cmp_eq_u32_e32 vcc, 0, v0
	global_store_dword v[2:3], v1, off
	s_and_saveexec_b64 s[0:1], vcc
	s_cbranch_execz .LBB114_4
; %bb.3:
	v_mov_b32_e32 v0, 0
	ds_read_b32 v1, v0
	s_mov_b32 s7, 0
	s_lshl_b64 s[0:1], s[6:7], 2
	s_add_u32 s0, s2, s0
	s_addc_u32 s1, s3, s1
	s_waitcnt lgkmcnt(0)
	global_store_dword v0, v1, s[0:1]
.LBB114_4:
	s_endpgm
	.section	.rodata,"a",@progbits
	.p2align	6, 0x0
	.amdhsa_kernel _Z28exclusive_scan_reduce_kernelILj37ELN6hipcub18BlockScanAlgorithmE0EiEvPT1_S3_S2_
		.amdhsa_group_segment_fixed_size 4
		.amdhsa_private_segment_fixed_size 0
		.amdhsa_kernarg_size 20
		.amdhsa_user_sgpr_count 6
		.amdhsa_user_sgpr_private_segment_buffer 1
		.amdhsa_user_sgpr_dispatch_ptr 0
		.amdhsa_user_sgpr_queue_ptr 0
		.amdhsa_user_sgpr_kernarg_segment_ptr 1
		.amdhsa_user_sgpr_dispatch_id 0
		.amdhsa_user_sgpr_flat_scratch_init 0
		.amdhsa_user_sgpr_kernarg_preload_length 0
		.amdhsa_user_sgpr_kernarg_preload_offset 0
		.amdhsa_user_sgpr_private_segment_size 0
		.amdhsa_uses_dynamic_stack 0
		.amdhsa_system_sgpr_private_segment_wavefront_offset 0
		.amdhsa_system_sgpr_workgroup_id_x 1
		.amdhsa_system_sgpr_workgroup_id_y 0
		.amdhsa_system_sgpr_workgroup_id_z 0
		.amdhsa_system_sgpr_workgroup_info 0
		.amdhsa_system_vgpr_workitem_id 0
		.amdhsa_next_free_vgpr 9
		.amdhsa_next_free_sgpr 10
		.amdhsa_accum_offset 12
		.amdhsa_reserve_vcc 1
		.amdhsa_reserve_flat_scratch 0
		.amdhsa_float_round_mode_32 0
		.amdhsa_float_round_mode_16_64 0
		.amdhsa_float_denorm_mode_32 3
		.amdhsa_float_denorm_mode_16_64 3
		.amdhsa_dx10_clamp 1
		.amdhsa_ieee_mode 1
		.amdhsa_fp16_overflow 0
		.amdhsa_tg_split 0
		.amdhsa_exception_fp_ieee_invalid_op 0
		.amdhsa_exception_fp_denorm_src 0
		.amdhsa_exception_fp_ieee_div_zero 0
		.amdhsa_exception_fp_ieee_overflow 0
		.amdhsa_exception_fp_ieee_underflow 0
		.amdhsa_exception_fp_ieee_inexact 0
		.amdhsa_exception_int_div_zero 0
	.end_amdhsa_kernel
	.section	.text._Z28exclusive_scan_reduce_kernelILj37ELN6hipcub18BlockScanAlgorithmE0EiEvPT1_S3_S2_,"axG",@progbits,_Z28exclusive_scan_reduce_kernelILj37ELN6hipcub18BlockScanAlgorithmE0EiEvPT1_S3_S2_,comdat
.Lfunc_end114:
	.size	_Z28exclusive_scan_reduce_kernelILj37ELN6hipcub18BlockScanAlgorithmE0EiEvPT1_S3_S2_, .Lfunc_end114-_Z28exclusive_scan_reduce_kernelILj37ELN6hipcub18BlockScanAlgorithmE0EiEvPT1_S3_S2_
                                        ; -- End function
	.section	.AMDGPU.csdata,"",@progbits
; Kernel info:
; codeLenInByte = 372
; NumSgprs: 14
; NumVgprs: 9
; NumAgprs: 0
; TotalNumVgprs: 9
; ScratchSize: 0
; MemoryBound: 0
; FloatMode: 240
; IeeeMode: 1
; LDSByteSize: 4 bytes/workgroup (compile time only)
; SGPRBlocks: 1
; VGPRBlocks: 1
; NumSGPRsForWavesPerEU: 14
; NumVGPRsForWavesPerEU: 9
; AccumOffset: 12
; Occupancy: 8
; WaveLimiterHint : 0
; COMPUTE_PGM_RSRC2:SCRATCH_EN: 0
; COMPUTE_PGM_RSRC2:USER_SGPR: 6
; COMPUTE_PGM_RSRC2:TRAP_HANDLER: 0
; COMPUTE_PGM_RSRC2:TGID_X_EN: 1
; COMPUTE_PGM_RSRC2:TGID_Y_EN: 0
; COMPUTE_PGM_RSRC2:TGID_Z_EN: 0
; COMPUTE_PGM_RSRC2:TIDIG_COMP_CNT: 0
; COMPUTE_PGM_RSRC3_GFX90A:ACCUM_OFFSET: 2
; COMPUTE_PGM_RSRC3_GFX90A:TG_SPLIT: 0
	.section	.text._Z28exclusive_scan_reduce_kernelILj65ELN6hipcub18BlockScanAlgorithmE0EiEvPT1_S3_S2_,"axG",@progbits,_Z28exclusive_scan_reduce_kernelILj65ELN6hipcub18BlockScanAlgorithmE0EiEvPT1_S3_S2_,comdat
	.protected	_Z28exclusive_scan_reduce_kernelILj65ELN6hipcub18BlockScanAlgorithmE0EiEvPT1_S3_S2_ ; -- Begin function _Z28exclusive_scan_reduce_kernelILj65ELN6hipcub18BlockScanAlgorithmE0EiEvPT1_S3_S2_
	.globl	_Z28exclusive_scan_reduce_kernelILj65ELN6hipcub18BlockScanAlgorithmE0EiEvPT1_S3_S2_
	.p2align	8
	.type	_Z28exclusive_scan_reduce_kernelILj65ELN6hipcub18BlockScanAlgorithmE0EiEvPT1_S3_S2_,@function
_Z28exclusive_scan_reduce_kernelILj65ELN6hipcub18BlockScanAlgorithmE0EiEvPT1_S3_S2_: ; @_Z28exclusive_scan_reduce_kernelILj65ELN6hipcub18BlockScanAlgorithmE0EiEvPT1_S3_S2_
; %bb.0:
	s_load_dwordx4 s[0:3], s[4:5], 0x0
	s_mul_i32 s7, s6, 0x41
	v_add_u32_e32 v2, s7, v0
	v_mov_b32_e32 v3, 0
	v_lshlrev_b64 v[2:3], 2, v[2:3]
	s_waitcnt lgkmcnt(0)
	v_mov_b32_e32 v1, s1
	v_add_co_u32_e32 v2, vcc, s0, v2
	v_addc_co_u32_e32 v3, vcc, v1, v3, vcc
	global_load_dword v5, v[2:3], off
	v_mbcnt_lo_u32_b32 v1, -1, 0
	v_mbcnt_hi_u32_b32 v1, -1, v1
	v_cmp_gt_u32_e64 s[0:1], 64, v0
	v_and_b32_e32 v7, 15, v1
	v_cndmask_b32_e64 v6, 64, 63, s[0:1]
	v_cmp_ne_u32_e64 s[0:1], 0, v7
	v_bfe_i32 v8, v1, 4, 1
	v_lshrrev_b32_e32 v4, 6, v0
	v_cmp_lt_u32_e32 vcc, 63, v0
	s_waitcnt vmcnt(0)
	v_mov_b32_dpp v9, v5 row_shr:1 row_mask:0xf bank_mask:0xf
	v_cndmask_b32_e64 v9, 0, v9, s[0:1]
	v_add_u32_e32 v5, v9, v5
	v_cmp_lt_u32_e64 s[0:1], 1, v7
	s_nop 0
	v_mov_b32_dpp v9, v5 row_shr:2 row_mask:0xf bank_mask:0xf
	v_cndmask_b32_e64 v9, 0, v9, s[0:1]
	v_add_u32_e32 v5, v5, v9
	v_cmp_lt_u32_e64 s[0:1], 3, v7
	s_nop 0
	;; [unrolled: 5-line block ×4, first 2 shown]
	v_mov_b32_dpp v7, v5 row_bcast:15 row_mask:0xf bank_mask:0xf
	v_and_b32_e32 v7, v8, v7
	v_add_u32_e32 v5, v5, v7
	s_nop 1
	v_mov_b32_dpp v7, v5 row_bcast:31 row_mask:0xf bank_mask:0xf
	v_cndmask_b32_e64 v7, 0, v7, s[0:1]
	v_add_u32_e32 v5, v5, v7
	v_cmp_eq_u32_e64 s[0:1], v6, v0
	s_and_saveexec_b64 s[8:9], s[0:1]
	s_cbranch_execz .LBB115_2
; %bb.1:
	v_lshlrev_b32_e32 v6, 2, v4
	ds_write_b32 v6, v5
.LBB115_2:
	s_or_b64 exec, exec, s[8:9]
	v_cmp_gt_u32_e64 s[0:1], 2, v0
	s_waitcnt lgkmcnt(0)
	s_barrier
	s_and_saveexec_b64 s[8:9], s[0:1]
	s_cbranch_execz .LBB115_4
; %bb.3:
	v_lshlrev_b32_e32 v6, 2, v0
	ds_read_b32 v7, v6
	v_bfe_i32 v8, v1, 0, 1
	s_waitcnt lgkmcnt(0)
	v_mov_b32_dpp v9, v7 row_shr:1 row_mask:0xf bank_mask:0xf
	v_and_b32_e32 v8, v8, v9
	v_add_u32_e32 v7, v8, v7
	ds_write_b32 v6, v7
.LBB115_4:
	s_or_b64 exec, exec, s[8:9]
	s_load_dword s4, s[4:5], 0x10
	s_waitcnt lgkmcnt(0)
	s_barrier
	v_mov_b32_e32 v6, s4
	s_and_saveexec_b64 s[0:1], vcc
	s_cbranch_execz .LBB115_6
; %bb.5:
	v_lshl_add_u32 v4, v4, 2, -4
	ds_read_b32 v4, v4
	s_waitcnt lgkmcnt(0)
	v_add_u32_e32 v6, s4, v4
.LBB115_6:
	s_or_b64 exec, exec, s[0:1]
	v_add_u32_e32 v4, v6, v5
	v_add_u32_e32 v5, -1, v1
	v_and_b32_e32 v7, 64, v1
	v_cmp_lt_i32_e32 vcc, v5, v7
	v_cndmask_b32_e32 v5, v5, v1, vcc
	v_lshlrev_b32_e32 v5, 2, v5
	ds_bpermute_b32 v4, v5, v4
	v_cmp_eq_u32_e32 vcc, 0, v1
	s_mov_b32 s7, 0
	s_waitcnt lgkmcnt(0)
	v_cndmask_b32_e32 v1, v4, v6, vcc
	v_cmp_eq_u32_e32 vcc, 0, v0
	global_store_dword v[2:3], v1, off
	s_and_saveexec_b64 s[0:1], vcc
	s_cbranch_execz .LBB115_8
; %bb.7:
	v_mov_b32_e32 v0, 0
	ds_read_b32 v1, v0 offset:4
	s_lshl_b64 s[0:1], s[6:7], 2
	s_add_u32 s0, s2, s0
	s_addc_u32 s1, s3, s1
	s_waitcnt lgkmcnt(0)
	global_store_dword v0, v1, s[0:1]
.LBB115_8:
	s_endpgm
	.section	.rodata,"a",@progbits
	.p2align	6, 0x0
	.amdhsa_kernel _Z28exclusive_scan_reduce_kernelILj65ELN6hipcub18BlockScanAlgorithmE0EiEvPT1_S3_S2_
		.amdhsa_group_segment_fixed_size 8
		.amdhsa_private_segment_fixed_size 0
		.amdhsa_kernarg_size 20
		.amdhsa_user_sgpr_count 6
		.amdhsa_user_sgpr_private_segment_buffer 1
		.amdhsa_user_sgpr_dispatch_ptr 0
		.amdhsa_user_sgpr_queue_ptr 0
		.amdhsa_user_sgpr_kernarg_segment_ptr 1
		.amdhsa_user_sgpr_dispatch_id 0
		.amdhsa_user_sgpr_flat_scratch_init 0
		.amdhsa_user_sgpr_kernarg_preload_length 0
		.amdhsa_user_sgpr_kernarg_preload_offset 0
		.amdhsa_user_sgpr_private_segment_size 0
		.amdhsa_uses_dynamic_stack 0
		.amdhsa_system_sgpr_private_segment_wavefront_offset 0
		.amdhsa_system_sgpr_workgroup_id_x 1
		.amdhsa_system_sgpr_workgroup_id_y 0
		.amdhsa_system_sgpr_workgroup_id_z 0
		.amdhsa_system_sgpr_workgroup_info 0
		.amdhsa_system_vgpr_workitem_id 0
		.amdhsa_next_free_vgpr 10
		.amdhsa_next_free_sgpr 10
		.amdhsa_accum_offset 12
		.amdhsa_reserve_vcc 1
		.amdhsa_reserve_flat_scratch 0
		.amdhsa_float_round_mode_32 0
		.amdhsa_float_round_mode_16_64 0
		.amdhsa_float_denorm_mode_32 3
		.amdhsa_float_denorm_mode_16_64 3
		.amdhsa_dx10_clamp 1
		.amdhsa_ieee_mode 1
		.amdhsa_fp16_overflow 0
		.amdhsa_tg_split 0
		.amdhsa_exception_fp_ieee_invalid_op 0
		.amdhsa_exception_fp_denorm_src 0
		.amdhsa_exception_fp_ieee_div_zero 0
		.amdhsa_exception_fp_ieee_overflow 0
		.amdhsa_exception_fp_ieee_underflow 0
		.amdhsa_exception_fp_ieee_inexact 0
		.amdhsa_exception_int_div_zero 0
	.end_amdhsa_kernel
	.section	.text._Z28exclusive_scan_reduce_kernelILj65ELN6hipcub18BlockScanAlgorithmE0EiEvPT1_S3_S2_,"axG",@progbits,_Z28exclusive_scan_reduce_kernelILj65ELN6hipcub18BlockScanAlgorithmE0EiEvPT1_S3_S2_,comdat
.Lfunc_end115:
	.size	_Z28exclusive_scan_reduce_kernelILj65ELN6hipcub18BlockScanAlgorithmE0EiEvPT1_S3_S2_, .Lfunc_end115-_Z28exclusive_scan_reduce_kernelILj65ELN6hipcub18BlockScanAlgorithmE0EiEvPT1_S3_S2_
                                        ; -- End function
	.section	.AMDGPU.csdata,"",@progbits
; Kernel info:
; codeLenInByte = 560
; NumSgprs: 14
; NumVgprs: 10
; NumAgprs: 0
; TotalNumVgprs: 10
; ScratchSize: 0
; MemoryBound: 0
; FloatMode: 240
; IeeeMode: 1
; LDSByteSize: 8 bytes/workgroup (compile time only)
; SGPRBlocks: 1
; VGPRBlocks: 1
; NumSGPRsForWavesPerEU: 14
; NumVGPRsForWavesPerEU: 10
; AccumOffset: 12
; Occupancy: 8
; WaveLimiterHint : 0
; COMPUTE_PGM_RSRC2:SCRATCH_EN: 0
; COMPUTE_PGM_RSRC2:USER_SGPR: 6
; COMPUTE_PGM_RSRC2:TRAP_HANDLER: 0
; COMPUTE_PGM_RSRC2:TGID_X_EN: 1
; COMPUTE_PGM_RSRC2:TGID_Y_EN: 0
; COMPUTE_PGM_RSRC2:TGID_Z_EN: 0
; COMPUTE_PGM_RSRC2:TIDIG_COMP_CNT: 0
; COMPUTE_PGM_RSRC3_GFX90A:ACCUM_OFFSET: 2
; COMPUTE_PGM_RSRC3_GFX90A:TG_SPLIT: 0
	.section	.text._Z28exclusive_scan_reduce_kernelILj512ELN6hipcub18BlockScanAlgorithmE0EiEvPT1_S3_S2_,"axG",@progbits,_Z28exclusive_scan_reduce_kernelILj512ELN6hipcub18BlockScanAlgorithmE0EiEvPT1_S3_S2_,comdat
	.protected	_Z28exclusive_scan_reduce_kernelILj512ELN6hipcub18BlockScanAlgorithmE0EiEvPT1_S3_S2_ ; -- Begin function _Z28exclusive_scan_reduce_kernelILj512ELN6hipcub18BlockScanAlgorithmE0EiEvPT1_S3_S2_
	.globl	_Z28exclusive_scan_reduce_kernelILj512ELN6hipcub18BlockScanAlgorithmE0EiEvPT1_S3_S2_
	.p2align	8
	.type	_Z28exclusive_scan_reduce_kernelILj512ELN6hipcub18BlockScanAlgorithmE0EiEvPT1_S3_S2_,@function
_Z28exclusive_scan_reduce_kernelILj512ELN6hipcub18BlockScanAlgorithmE0EiEvPT1_S3_S2_: ; @_Z28exclusive_scan_reduce_kernelILj512ELN6hipcub18BlockScanAlgorithmE0EiEvPT1_S3_S2_
; %bb.0:
	s_load_dwordx4 s[0:3], s[4:5], 0x0
	v_lshl_or_b32 v2, s6, 9, v0
	v_mov_b32_e32 v3, 0
	v_lshlrev_b64 v[2:3], 2, v[2:3]
	v_or_b32_e32 v6, 63, v0
	s_waitcnt lgkmcnt(0)
	v_mov_b32_e32 v1, s1
	v_add_co_u32_e32 v2, vcc, s0, v2
	v_addc_co_u32_e32 v3, vcc, v1, v3, vcc
	global_load_dword v5, v[2:3], off
	v_mbcnt_lo_u32_b32 v1, -1, 0
	v_mbcnt_hi_u32_b32 v1, -1, v1
	v_and_b32_e32 v7, 15, v1
	v_cmp_ne_u32_e32 vcc, 0, v7
	v_bfe_i32 v8, v1, 4, 1
	v_lshrrev_b32_e32 v4, 6, v0
	s_waitcnt vmcnt(0)
	v_mov_b32_dpp v9, v5 row_shr:1 row_mask:0xf bank_mask:0xf
	v_cndmask_b32_e32 v9, 0, v9, vcc
	v_add_u32_e32 v5, v9, v5
	v_cmp_lt_u32_e32 vcc, 1, v7
	s_nop 0
	v_mov_b32_dpp v9, v5 row_shr:2 row_mask:0xf bank_mask:0xf
	v_cndmask_b32_e32 v9, 0, v9, vcc
	v_add_u32_e32 v5, v5, v9
	v_cmp_lt_u32_e32 vcc, 3, v7
	s_nop 0
	;; [unrolled: 5-line block ×4, first 2 shown]
	v_mov_b32_dpp v7, v5 row_bcast:15 row_mask:0xf bank_mask:0xf
	v_and_b32_e32 v7, v8, v7
	v_add_u32_e32 v5, v5, v7
	s_nop 1
	v_mov_b32_dpp v7, v5 row_bcast:31 row_mask:0xf bank_mask:0xf
	v_cndmask_b32_e32 v7, 0, v7, vcc
	v_add_u32_e32 v5, v5, v7
	v_cmp_eq_u32_e32 vcc, v6, v0
	s_and_saveexec_b64 s[0:1], vcc
	s_cbranch_execz .LBB116_2
; %bb.1:
	v_lshlrev_b32_e32 v6, 2, v4
	ds_write_b32 v6, v5
.LBB116_2:
	s_or_b64 exec, exec, s[0:1]
	v_cmp_gt_u32_e32 vcc, 8, v0
	s_waitcnt lgkmcnt(0)
	s_barrier
	s_and_saveexec_b64 s[0:1], vcc
	s_cbranch_execz .LBB116_4
; %bb.3:
	v_lshlrev_b32_e32 v6, 2, v0
	ds_read_b32 v7, v6
	v_and_b32_e32 v8, 7, v1
	v_cmp_ne_u32_e32 vcc, 0, v8
	s_waitcnt lgkmcnt(0)
	v_mov_b32_dpp v9, v7 row_shr:1 row_mask:0xf bank_mask:0xf
	v_cndmask_b32_e32 v9, 0, v9, vcc
	v_add_u32_e32 v7, v9, v7
	v_cmp_lt_u32_e32 vcc, 1, v8
	s_nop 0
	v_mov_b32_dpp v9, v7 row_shr:2 row_mask:0xf bank_mask:0xf
	v_cndmask_b32_e32 v9, 0, v9, vcc
	v_add_u32_e32 v7, v7, v9
	v_cmp_lt_u32_e32 vcc, 3, v8
	s_nop 0
	v_mov_b32_dpp v9, v7 row_shr:4 row_mask:0xf bank_mask:0xf
	v_cndmask_b32_e32 v8, 0, v9, vcc
	v_add_u32_e32 v7, v7, v8
	ds_write_b32 v6, v7
.LBB116_4:
	s_or_b64 exec, exec, s[0:1]
	s_load_dword s4, s[4:5], 0x10
	v_cmp_lt_u32_e32 vcc, 63, v0
	s_waitcnt lgkmcnt(0)
	s_barrier
	v_mov_b32_e32 v6, s4
	s_and_saveexec_b64 s[0:1], vcc
	s_cbranch_execz .LBB116_6
; %bb.5:
	v_lshl_add_u32 v4, v4, 2, -4
	ds_read_b32 v4, v4
	s_waitcnt lgkmcnt(0)
	v_add_u32_e32 v6, s4, v4
.LBB116_6:
	s_or_b64 exec, exec, s[0:1]
	v_add_u32_e32 v4, v6, v5
	v_add_u32_e32 v5, -1, v1
	v_and_b32_e32 v7, 64, v1
	v_cmp_lt_i32_e32 vcc, v5, v7
	v_cndmask_b32_e32 v5, v5, v1, vcc
	v_lshlrev_b32_e32 v5, 2, v5
	ds_bpermute_b32 v4, v5, v4
	v_cmp_eq_u32_e32 vcc, 0, v1
	s_mov_b32 s7, 0
	s_waitcnt lgkmcnt(0)
	v_cndmask_b32_e32 v1, v4, v6, vcc
	v_cmp_eq_u32_e32 vcc, 0, v0
	global_store_dword v[2:3], v1, off
	s_and_saveexec_b64 s[0:1], vcc
	s_cbranch_execz .LBB116_8
; %bb.7:
	v_mov_b32_e32 v0, 0
	ds_read_b32 v1, v0 offset:28
	s_lshl_b64 s[0:1], s[6:7], 2
	s_add_u32 s0, s2, s0
	s_addc_u32 s1, s3, s1
	s_waitcnt lgkmcnt(0)
	global_store_dword v0, v1, s[0:1]
.LBB116_8:
	s_endpgm
	.section	.rodata,"a",@progbits
	.p2align	6, 0x0
	.amdhsa_kernel _Z28exclusive_scan_reduce_kernelILj512ELN6hipcub18BlockScanAlgorithmE0EiEvPT1_S3_S2_
		.amdhsa_group_segment_fixed_size 32
		.amdhsa_private_segment_fixed_size 0
		.amdhsa_kernarg_size 20
		.amdhsa_user_sgpr_count 6
		.amdhsa_user_sgpr_private_segment_buffer 1
		.amdhsa_user_sgpr_dispatch_ptr 0
		.amdhsa_user_sgpr_queue_ptr 0
		.amdhsa_user_sgpr_kernarg_segment_ptr 1
		.amdhsa_user_sgpr_dispatch_id 0
		.amdhsa_user_sgpr_flat_scratch_init 0
		.amdhsa_user_sgpr_kernarg_preload_length 0
		.amdhsa_user_sgpr_kernarg_preload_offset 0
		.amdhsa_user_sgpr_private_segment_size 0
		.amdhsa_uses_dynamic_stack 0
		.amdhsa_system_sgpr_private_segment_wavefront_offset 0
		.amdhsa_system_sgpr_workgroup_id_x 1
		.amdhsa_system_sgpr_workgroup_id_y 0
		.amdhsa_system_sgpr_workgroup_id_z 0
		.amdhsa_system_sgpr_workgroup_info 0
		.amdhsa_system_vgpr_workitem_id 0
		.amdhsa_next_free_vgpr 10
		.amdhsa_next_free_sgpr 8
		.amdhsa_accum_offset 12
		.amdhsa_reserve_vcc 1
		.amdhsa_reserve_flat_scratch 0
		.amdhsa_float_round_mode_32 0
		.amdhsa_float_round_mode_16_64 0
		.amdhsa_float_denorm_mode_32 3
		.amdhsa_float_denorm_mode_16_64 3
		.amdhsa_dx10_clamp 1
		.amdhsa_ieee_mode 1
		.amdhsa_fp16_overflow 0
		.amdhsa_tg_split 0
		.amdhsa_exception_fp_ieee_invalid_op 0
		.amdhsa_exception_fp_denorm_src 0
		.amdhsa_exception_fp_ieee_div_zero 0
		.amdhsa_exception_fp_ieee_overflow 0
		.amdhsa_exception_fp_ieee_underflow 0
		.amdhsa_exception_fp_ieee_inexact 0
		.amdhsa_exception_int_div_zero 0
	.end_amdhsa_kernel
	.section	.text._Z28exclusive_scan_reduce_kernelILj512ELN6hipcub18BlockScanAlgorithmE0EiEvPT1_S3_S2_,"axG",@progbits,_Z28exclusive_scan_reduce_kernelILj512ELN6hipcub18BlockScanAlgorithmE0EiEvPT1_S3_S2_,comdat
.Lfunc_end116:
	.size	_Z28exclusive_scan_reduce_kernelILj512ELN6hipcub18BlockScanAlgorithmE0EiEvPT1_S3_S2_, .Lfunc_end116-_Z28exclusive_scan_reduce_kernelILj512ELN6hipcub18BlockScanAlgorithmE0EiEvPT1_S3_S2_
                                        ; -- End function
	.section	.AMDGPU.csdata,"",@progbits
; Kernel info:
; codeLenInByte = 544
; NumSgprs: 12
; NumVgprs: 10
; NumAgprs: 0
; TotalNumVgprs: 10
; ScratchSize: 0
; MemoryBound: 0
; FloatMode: 240
; IeeeMode: 1
; LDSByteSize: 32 bytes/workgroup (compile time only)
; SGPRBlocks: 1
; VGPRBlocks: 1
; NumSGPRsForWavesPerEU: 12
; NumVGPRsForWavesPerEU: 10
; AccumOffset: 12
; Occupancy: 8
; WaveLimiterHint : 0
; COMPUTE_PGM_RSRC2:SCRATCH_EN: 0
; COMPUTE_PGM_RSRC2:USER_SGPR: 6
; COMPUTE_PGM_RSRC2:TRAP_HANDLER: 0
; COMPUTE_PGM_RSRC2:TGID_X_EN: 1
; COMPUTE_PGM_RSRC2:TGID_Y_EN: 0
; COMPUTE_PGM_RSRC2:TGID_Z_EN: 0
; COMPUTE_PGM_RSRC2:TIDIG_COMP_CNT: 0
; COMPUTE_PGM_RSRC3_GFX90A:ACCUM_OFFSET: 2
; COMPUTE_PGM_RSRC3_GFX90A:TG_SPLIT: 0
	.section	.text._Z28exclusive_scan_reduce_kernelILj256ELN6hipcub18BlockScanAlgorithmE0EiEvPT1_S3_S2_,"axG",@progbits,_Z28exclusive_scan_reduce_kernelILj256ELN6hipcub18BlockScanAlgorithmE0EiEvPT1_S3_S2_,comdat
	.protected	_Z28exclusive_scan_reduce_kernelILj256ELN6hipcub18BlockScanAlgorithmE0EiEvPT1_S3_S2_ ; -- Begin function _Z28exclusive_scan_reduce_kernelILj256ELN6hipcub18BlockScanAlgorithmE0EiEvPT1_S3_S2_
	.globl	_Z28exclusive_scan_reduce_kernelILj256ELN6hipcub18BlockScanAlgorithmE0EiEvPT1_S3_S2_
	.p2align	8
	.type	_Z28exclusive_scan_reduce_kernelILj256ELN6hipcub18BlockScanAlgorithmE0EiEvPT1_S3_S2_,@function
_Z28exclusive_scan_reduce_kernelILj256ELN6hipcub18BlockScanAlgorithmE0EiEvPT1_S3_S2_: ; @_Z28exclusive_scan_reduce_kernelILj256ELN6hipcub18BlockScanAlgorithmE0EiEvPT1_S3_S2_
; %bb.0:
	s_load_dwordx4 s[0:3], s[4:5], 0x0
	v_lshl_or_b32 v2, s6, 8, v0
	v_mov_b32_e32 v3, 0
	v_lshlrev_b64 v[2:3], 2, v[2:3]
	v_or_b32_e32 v6, 63, v0
	s_waitcnt lgkmcnt(0)
	v_mov_b32_e32 v1, s1
	v_add_co_u32_e32 v2, vcc, s0, v2
	v_addc_co_u32_e32 v3, vcc, v1, v3, vcc
	global_load_dword v5, v[2:3], off
	v_mbcnt_lo_u32_b32 v1, -1, 0
	v_mbcnt_hi_u32_b32 v1, -1, v1
	v_and_b32_e32 v7, 15, v1
	v_cmp_ne_u32_e32 vcc, 0, v7
	v_bfe_i32 v8, v1, 4, 1
	v_lshrrev_b32_e32 v4, 6, v0
	s_waitcnt vmcnt(0)
	v_mov_b32_dpp v9, v5 row_shr:1 row_mask:0xf bank_mask:0xf
	v_cndmask_b32_e32 v9, 0, v9, vcc
	v_add_u32_e32 v5, v9, v5
	v_cmp_lt_u32_e32 vcc, 1, v7
	s_nop 0
	v_mov_b32_dpp v9, v5 row_shr:2 row_mask:0xf bank_mask:0xf
	v_cndmask_b32_e32 v9, 0, v9, vcc
	v_add_u32_e32 v5, v5, v9
	v_cmp_lt_u32_e32 vcc, 3, v7
	s_nop 0
	v_mov_b32_dpp v9, v5 row_shr:4 row_mask:0xf bank_mask:0xf
	v_cndmask_b32_e32 v9, 0, v9, vcc
	v_add_u32_e32 v5, v5, v9
	v_cmp_lt_u32_e32 vcc, 7, v7
	s_nop 0
	v_mov_b32_dpp v9, v5 row_shr:8 row_mask:0xf bank_mask:0xf
	v_cndmask_b32_e32 v7, 0, v9, vcc
	v_add_u32_e32 v5, v5, v7
	v_cmp_lt_u32_e32 vcc, 31, v1
	s_nop 0
	v_mov_b32_dpp v7, v5 row_bcast:15 row_mask:0xf bank_mask:0xf
	v_and_b32_e32 v7, v8, v7
	v_add_u32_e32 v5, v5, v7
	s_nop 1
	v_mov_b32_dpp v7, v5 row_bcast:31 row_mask:0xf bank_mask:0xf
	v_cndmask_b32_e32 v7, 0, v7, vcc
	v_add_u32_e32 v5, v5, v7
	v_cmp_eq_u32_e32 vcc, v6, v0
	s_and_saveexec_b64 s[0:1], vcc
	s_cbranch_execz .LBB117_2
; %bb.1:
	v_lshlrev_b32_e32 v6, 2, v4
	ds_write_b32 v6, v5
.LBB117_2:
	s_or_b64 exec, exec, s[0:1]
	v_cmp_gt_u32_e32 vcc, 4, v0
	s_waitcnt lgkmcnt(0)
	s_barrier
	s_and_saveexec_b64 s[0:1], vcc
	s_cbranch_execz .LBB117_4
; %bb.3:
	v_lshlrev_b32_e32 v6, 2, v0
	ds_read_b32 v7, v6
	v_and_b32_e32 v8, 3, v1
	v_cmp_ne_u32_e32 vcc, 0, v8
	s_waitcnt lgkmcnt(0)
	v_mov_b32_dpp v9, v7 row_shr:1 row_mask:0xf bank_mask:0xf
	v_cndmask_b32_e32 v9, 0, v9, vcc
	v_add_u32_e32 v7, v9, v7
	v_cmp_lt_u32_e32 vcc, 1, v8
	s_nop 0
	v_mov_b32_dpp v9, v7 row_shr:2 row_mask:0xf bank_mask:0xf
	v_cndmask_b32_e32 v8, 0, v9, vcc
	v_add_u32_e32 v7, v7, v8
	ds_write_b32 v6, v7
.LBB117_4:
	s_or_b64 exec, exec, s[0:1]
	s_load_dword s4, s[4:5], 0x10
	v_cmp_lt_u32_e32 vcc, 63, v0
	s_waitcnt lgkmcnt(0)
	s_barrier
	v_mov_b32_e32 v6, s4
	s_and_saveexec_b64 s[0:1], vcc
	s_cbranch_execz .LBB117_6
; %bb.5:
	v_lshl_add_u32 v4, v4, 2, -4
	ds_read_b32 v4, v4
	s_waitcnt lgkmcnt(0)
	v_add_u32_e32 v6, s4, v4
.LBB117_6:
	s_or_b64 exec, exec, s[0:1]
	v_add_u32_e32 v4, v6, v5
	v_add_u32_e32 v5, -1, v1
	v_and_b32_e32 v7, 64, v1
	v_cmp_lt_i32_e32 vcc, v5, v7
	v_cndmask_b32_e32 v5, v5, v1, vcc
	v_lshlrev_b32_e32 v5, 2, v5
	ds_bpermute_b32 v4, v5, v4
	v_cmp_eq_u32_e32 vcc, 0, v1
	s_mov_b32 s7, 0
	s_waitcnt lgkmcnt(0)
	v_cndmask_b32_e32 v1, v4, v6, vcc
	v_cmp_eq_u32_e32 vcc, 0, v0
	global_store_dword v[2:3], v1, off
	s_and_saveexec_b64 s[0:1], vcc
	s_cbranch_execz .LBB117_8
; %bb.7:
	v_mov_b32_e32 v0, 0
	ds_read_b32 v1, v0 offset:12
	s_lshl_b64 s[0:1], s[6:7], 2
	s_add_u32 s0, s2, s0
	s_addc_u32 s1, s3, s1
	s_waitcnt lgkmcnt(0)
	global_store_dword v0, v1, s[0:1]
.LBB117_8:
	s_endpgm
	.section	.rodata,"a",@progbits
	.p2align	6, 0x0
	.amdhsa_kernel _Z28exclusive_scan_reduce_kernelILj256ELN6hipcub18BlockScanAlgorithmE0EiEvPT1_S3_S2_
		.amdhsa_group_segment_fixed_size 16
		.amdhsa_private_segment_fixed_size 0
		.amdhsa_kernarg_size 20
		.amdhsa_user_sgpr_count 6
		.amdhsa_user_sgpr_private_segment_buffer 1
		.amdhsa_user_sgpr_dispatch_ptr 0
		.amdhsa_user_sgpr_queue_ptr 0
		.amdhsa_user_sgpr_kernarg_segment_ptr 1
		.amdhsa_user_sgpr_dispatch_id 0
		.amdhsa_user_sgpr_flat_scratch_init 0
		.amdhsa_user_sgpr_kernarg_preload_length 0
		.amdhsa_user_sgpr_kernarg_preload_offset 0
		.amdhsa_user_sgpr_private_segment_size 0
		.amdhsa_uses_dynamic_stack 0
		.amdhsa_system_sgpr_private_segment_wavefront_offset 0
		.amdhsa_system_sgpr_workgroup_id_x 1
		.amdhsa_system_sgpr_workgroup_id_y 0
		.amdhsa_system_sgpr_workgroup_id_z 0
		.amdhsa_system_sgpr_workgroup_info 0
		.amdhsa_system_vgpr_workitem_id 0
		.amdhsa_next_free_vgpr 10
		.amdhsa_next_free_sgpr 8
		.amdhsa_accum_offset 12
		.amdhsa_reserve_vcc 1
		.amdhsa_reserve_flat_scratch 0
		.amdhsa_float_round_mode_32 0
		.amdhsa_float_round_mode_16_64 0
		.amdhsa_float_denorm_mode_32 3
		.amdhsa_float_denorm_mode_16_64 3
		.amdhsa_dx10_clamp 1
		.amdhsa_ieee_mode 1
		.amdhsa_fp16_overflow 0
		.amdhsa_tg_split 0
		.amdhsa_exception_fp_ieee_invalid_op 0
		.amdhsa_exception_fp_denorm_src 0
		.amdhsa_exception_fp_ieee_div_zero 0
		.amdhsa_exception_fp_ieee_overflow 0
		.amdhsa_exception_fp_ieee_underflow 0
		.amdhsa_exception_fp_ieee_inexact 0
		.amdhsa_exception_int_div_zero 0
	.end_amdhsa_kernel
	.section	.text._Z28exclusive_scan_reduce_kernelILj256ELN6hipcub18BlockScanAlgorithmE0EiEvPT1_S3_S2_,"axG",@progbits,_Z28exclusive_scan_reduce_kernelILj256ELN6hipcub18BlockScanAlgorithmE0EiEvPT1_S3_S2_,comdat
.Lfunc_end117:
	.size	_Z28exclusive_scan_reduce_kernelILj256ELN6hipcub18BlockScanAlgorithmE0EiEvPT1_S3_S2_, .Lfunc_end117-_Z28exclusive_scan_reduce_kernelILj256ELN6hipcub18BlockScanAlgorithmE0EiEvPT1_S3_S2_
                                        ; -- End function
	.section	.AMDGPU.csdata,"",@progbits
; Kernel info:
; codeLenInByte = 520
; NumSgprs: 12
; NumVgprs: 10
; NumAgprs: 0
; TotalNumVgprs: 10
; ScratchSize: 0
; MemoryBound: 0
; FloatMode: 240
; IeeeMode: 1
; LDSByteSize: 16 bytes/workgroup (compile time only)
; SGPRBlocks: 1
; VGPRBlocks: 1
; NumSGPRsForWavesPerEU: 12
; NumVGPRsForWavesPerEU: 10
; AccumOffset: 12
; Occupancy: 8
; WaveLimiterHint : 0
; COMPUTE_PGM_RSRC2:SCRATCH_EN: 0
; COMPUTE_PGM_RSRC2:USER_SGPR: 6
; COMPUTE_PGM_RSRC2:TRAP_HANDLER: 0
; COMPUTE_PGM_RSRC2:TGID_X_EN: 1
; COMPUTE_PGM_RSRC2:TGID_Y_EN: 0
; COMPUTE_PGM_RSRC2:TGID_Z_EN: 0
; COMPUTE_PGM_RSRC2:TIDIG_COMP_CNT: 0
; COMPUTE_PGM_RSRC3_GFX90A:ACCUM_OFFSET: 2
; COMPUTE_PGM_RSRC3_GFX90A:TG_SPLIT: 0
	.section	.text._Z28exclusive_scan_reduce_kernelILj128ELN6hipcub18BlockScanAlgorithmE0EiEvPT1_S3_S2_,"axG",@progbits,_Z28exclusive_scan_reduce_kernelILj128ELN6hipcub18BlockScanAlgorithmE0EiEvPT1_S3_S2_,comdat
	.protected	_Z28exclusive_scan_reduce_kernelILj128ELN6hipcub18BlockScanAlgorithmE0EiEvPT1_S3_S2_ ; -- Begin function _Z28exclusive_scan_reduce_kernelILj128ELN6hipcub18BlockScanAlgorithmE0EiEvPT1_S3_S2_
	.globl	_Z28exclusive_scan_reduce_kernelILj128ELN6hipcub18BlockScanAlgorithmE0EiEvPT1_S3_S2_
	.p2align	8
	.type	_Z28exclusive_scan_reduce_kernelILj128ELN6hipcub18BlockScanAlgorithmE0EiEvPT1_S3_S2_,@function
_Z28exclusive_scan_reduce_kernelILj128ELN6hipcub18BlockScanAlgorithmE0EiEvPT1_S3_S2_: ; @_Z28exclusive_scan_reduce_kernelILj128ELN6hipcub18BlockScanAlgorithmE0EiEvPT1_S3_S2_
; %bb.0:
	s_load_dwordx4 s[0:3], s[4:5], 0x0
	v_lshl_or_b32 v2, s6, 7, v0
	v_mov_b32_e32 v3, 0
	v_lshlrev_b64 v[2:3], 2, v[2:3]
	v_or_b32_e32 v6, 63, v0
	s_waitcnt lgkmcnt(0)
	v_mov_b32_e32 v1, s1
	v_add_co_u32_e32 v2, vcc, s0, v2
	v_addc_co_u32_e32 v3, vcc, v1, v3, vcc
	global_load_dword v5, v[2:3], off
	v_mbcnt_lo_u32_b32 v1, -1, 0
	v_mbcnt_hi_u32_b32 v1, -1, v1
	v_and_b32_e32 v7, 15, v1
	v_cmp_ne_u32_e32 vcc, 0, v7
	v_bfe_i32 v8, v1, 4, 1
	v_lshrrev_b32_e32 v4, 6, v0
	s_waitcnt vmcnt(0)
	v_mov_b32_dpp v9, v5 row_shr:1 row_mask:0xf bank_mask:0xf
	v_cndmask_b32_e32 v9, 0, v9, vcc
	v_add_u32_e32 v5, v9, v5
	v_cmp_lt_u32_e32 vcc, 1, v7
	s_nop 0
	v_mov_b32_dpp v9, v5 row_shr:2 row_mask:0xf bank_mask:0xf
	v_cndmask_b32_e32 v9, 0, v9, vcc
	v_add_u32_e32 v5, v5, v9
	v_cmp_lt_u32_e32 vcc, 3, v7
	s_nop 0
	;; [unrolled: 5-line block ×4, first 2 shown]
	v_mov_b32_dpp v7, v5 row_bcast:15 row_mask:0xf bank_mask:0xf
	v_and_b32_e32 v7, v8, v7
	v_add_u32_e32 v5, v5, v7
	s_nop 1
	v_mov_b32_dpp v7, v5 row_bcast:31 row_mask:0xf bank_mask:0xf
	v_cndmask_b32_e32 v7, 0, v7, vcc
	v_add_u32_e32 v5, v5, v7
	v_cmp_eq_u32_e32 vcc, v6, v0
	s_and_saveexec_b64 s[0:1], vcc
	s_cbranch_execz .LBB118_2
; %bb.1:
	v_lshlrev_b32_e32 v6, 2, v4
	ds_write_b32 v6, v5
.LBB118_2:
	s_or_b64 exec, exec, s[0:1]
	v_cmp_gt_u32_e32 vcc, 2, v0
	s_waitcnt lgkmcnt(0)
	s_barrier
	s_and_saveexec_b64 s[0:1], vcc
	s_cbranch_execz .LBB118_4
; %bb.3:
	v_lshlrev_b32_e32 v6, 2, v0
	ds_read_b32 v7, v6
	v_bfe_i32 v8, v1, 0, 1
	s_waitcnt lgkmcnt(0)
	v_mov_b32_dpp v9, v7 row_shr:1 row_mask:0xf bank_mask:0xf
	v_and_b32_e32 v8, v8, v9
	v_add_u32_e32 v7, v8, v7
	ds_write_b32 v6, v7
.LBB118_4:
	s_or_b64 exec, exec, s[0:1]
	s_load_dword s4, s[4:5], 0x10
	v_cmp_lt_u32_e32 vcc, 63, v0
	s_waitcnt lgkmcnt(0)
	s_barrier
	v_mov_b32_e32 v6, s4
	s_and_saveexec_b64 s[0:1], vcc
	s_cbranch_execz .LBB118_6
; %bb.5:
	v_lshl_add_u32 v4, v4, 2, -4
	ds_read_b32 v4, v4
	s_waitcnt lgkmcnt(0)
	v_add_u32_e32 v6, s4, v4
.LBB118_6:
	s_or_b64 exec, exec, s[0:1]
	v_add_u32_e32 v4, v6, v5
	v_add_u32_e32 v5, -1, v1
	v_and_b32_e32 v7, 64, v1
	v_cmp_lt_i32_e32 vcc, v5, v7
	v_cndmask_b32_e32 v5, v5, v1, vcc
	v_lshlrev_b32_e32 v5, 2, v5
	ds_bpermute_b32 v4, v5, v4
	v_cmp_eq_u32_e32 vcc, 0, v1
	s_mov_b32 s7, 0
	s_waitcnt lgkmcnt(0)
	v_cndmask_b32_e32 v1, v4, v6, vcc
	v_cmp_eq_u32_e32 vcc, 0, v0
	global_store_dword v[2:3], v1, off
	s_and_saveexec_b64 s[0:1], vcc
	s_cbranch_execz .LBB118_8
; %bb.7:
	v_mov_b32_e32 v0, 0
	ds_read_b32 v1, v0 offset:4
	s_lshl_b64 s[0:1], s[6:7], 2
	s_add_u32 s0, s2, s0
	s_addc_u32 s1, s3, s1
	s_waitcnt lgkmcnt(0)
	global_store_dword v0, v1, s[0:1]
.LBB118_8:
	s_endpgm
	.section	.rodata,"a",@progbits
	.p2align	6, 0x0
	.amdhsa_kernel _Z28exclusive_scan_reduce_kernelILj128ELN6hipcub18BlockScanAlgorithmE0EiEvPT1_S3_S2_
		.amdhsa_group_segment_fixed_size 8
		.amdhsa_private_segment_fixed_size 0
		.amdhsa_kernarg_size 20
		.amdhsa_user_sgpr_count 6
		.amdhsa_user_sgpr_private_segment_buffer 1
		.amdhsa_user_sgpr_dispatch_ptr 0
		.amdhsa_user_sgpr_queue_ptr 0
		.amdhsa_user_sgpr_kernarg_segment_ptr 1
		.amdhsa_user_sgpr_dispatch_id 0
		.amdhsa_user_sgpr_flat_scratch_init 0
		.amdhsa_user_sgpr_kernarg_preload_length 0
		.amdhsa_user_sgpr_kernarg_preload_offset 0
		.amdhsa_user_sgpr_private_segment_size 0
		.amdhsa_uses_dynamic_stack 0
		.amdhsa_system_sgpr_private_segment_wavefront_offset 0
		.amdhsa_system_sgpr_workgroup_id_x 1
		.amdhsa_system_sgpr_workgroup_id_y 0
		.amdhsa_system_sgpr_workgroup_id_z 0
		.amdhsa_system_sgpr_workgroup_info 0
		.amdhsa_system_vgpr_workitem_id 0
		.amdhsa_next_free_vgpr 10
		.amdhsa_next_free_sgpr 8
		.amdhsa_accum_offset 12
		.amdhsa_reserve_vcc 1
		.amdhsa_reserve_flat_scratch 0
		.amdhsa_float_round_mode_32 0
		.amdhsa_float_round_mode_16_64 0
		.amdhsa_float_denorm_mode_32 3
		.amdhsa_float_denorm_mode_16_64 3
		.amdhsa_dx10_clamp 1
		.amdhsa_ieee_mode 1
		.amdhsa_fp16_overflow 0
		.amdhsa_tg_split 0
		.amdhsa_exception_fp_ieee_invalid_op 0
		.amdhsa_exception_fp_denorm_src 0
		.amdhsa_exception_fp_ieee_div_zero 0
		.amdhsa_exception_fp_ieee_overflow 0
		.amdhsa_exception_fp_ieee_underflow 0
		.amdhsa_exception_fp_ieee_inexact 0
		.amdhsa_exception_int_div_zero 0
	.end_amdhsa_kernel
	.section	.text._Z28exclusive_scan_reduce_kernelILj128ELN6hipcub18BlockScanAlgorithmE0EiEvPT1_S3_S2_,"axG",@progbits,_Z28exclusive_scan_reduce_kernelILj128ELN6hipcub18BlockScanAlgorithmE0EiEvPT1_S3_S2_,comdat
.Lfunc_end118:
	.size	_Z28exclusive_scan_reduce_kernelILj128ELN6hipcub18BlockScanAlgorithmE0EiEvPT1_S3_S2_, .Lfunc_end118-_Z28exclusive_scan_reduce_kernelILj128ELN6hipcub18BlockScanAlgorithmE0EiEvPT1_S3_S2_
                                        ; -- End function
	.section	.AMDGPU.csdata,"",@progbits
; Kernel info:
; codeLenInByte = 496
; NumSgprs: 12
; NumVgprs: 10
; NumAgprs: 0
; TotalNumVgprs: 10
; ScratchSize: 0
; MemoryBound: 0
; FloatMode: 240
; IeeeMode: 1
; LDSByteSize: 8 bytes/workgroup (compile time only)
; SGPRBlocks: 1
; VGPRBlocks: 1
; NumSGPRsForWavesPerEU: 12
; NumVGPRsForWavesPerEU: 10
; AccumOffset: 12
; Occupancy: 8
; WaveLimiterHint : 0
; COMPUTE_PGM_RSRC2:SCRATCH_EN: 0
; COMPUTE_PGM_RSRC2:USER_SGPR: 6
; COMPUTE_PGM_RSRC2:TRAP_HANDLER: 0
; COMPUTE_PGM_RSRC2:TGID_X_EN: 1
; COMPUTE_PGM_RSRC2:TGID_Y_EN: 0
; COMPUTE_PGM_RSRC2:TGID_Z_EN: 0
; COMPUTE_PGM_RSRC2:TIDIG_COMP_CNT: 0
; COMPUTE_PGM_RSRC3_GFX90A:ACCUM_OFFSET: 2
; COMPUTE_PGM_RSRC3_GFX90A:TG_SPLIT: 0
	.section	.text._Z28exclusive_scan_reduce_kernelILj64ELN6hipcub18BlockScanAlgorithmE0EiEvPT1_S3_S2_,"axG",@progbits,_Z28exclusive_scan_reduce_kernelILj64ELN6hipcub18BlockScanAlgorithmE0EiEvPT1_S3_S2_,comdat
	.protected	_Z28exclusive_scan_reduce_kernelILj64ELN6hipcub18BlockScanAlgorithmE0EiEvPT1_S3_S2_ ; -- Begin function _Z28exclusive_scan_reduce_kernelILj64ELN6hipcub18BlockScanAlgorithmE0EiEvPT1_S3_S2_
	.globl	_Z28exclusive_scan_reduce_kernelILj64ELN6hipcub18BlockScanAlgorithmE0EiEvPT1_S3_S2_
	.p2align	8
	.type	_Z28exclusive_scan_reduce_kernelILj64ELN6hipcub18BlockScanAlgorithmE0EiEvPT1_S3_S2_,@function
_Z28exclusive_scan_reduce_kernelILj64ELN6hipcub18BlockScanAlgorithmE0EiEvPT1_S3_S2_: ; @_Z28exclusive_scan_reduce_kernelILj64ELN6hipcub18BlockScanAlgorithmE0EiEvPT1_S3_S2_
; %bb.0:
	s_load_dwordx4 s[0:3], s[4:5], 0x0
	v_lshl_or_b32 v4, s6, 6, v0
	v_mov_b32_e32 v5, 0
	v_lshlrev_b64 v[2:3], 2, v[4:5]
	s_waitcnt lgkmcnt(0)
	v_mov_b32_e32 v1, s1
	v_add_co_u32_e32 v2, vcc, s0, v2
	v_addc_co_u32_e32 v3, vcc, v1, v3, vcc
	global_load_dword v4, v[2:3], off
	v_mbcnt_lo_u32_b32 v1, -1, 0
	v_mbcnt_hi_u32_b32 v1, -1, v1
	v_and_b32_e32 v6, 15, v1
	v_cmp_ne_u32_e32 vcc, 0, v6
	v_bfe_i32 v7, v1, 4, 1
	s_waitcnt vmcnt(0)
	v_mov_b32_dpp v8, v4 row_shr:1 row_mask:0xf bank_mask:0xf
	v_cndmask_b32_e32 v8, 0, v8, vcc
	v_add_u32_e32 v4, v8, v4
	v_cmp_lt_u32_e32 vcc, 1, v6
	s_nop 0
	v_mov_b32_dpp v8, v4 row_shr:2 row_mask:0xf bank_mask:0xf
	v_cndmask_b32_e32 v8, 0, v8, vcc
	v_add_u32_e32 v4, v4, v8
	v_cmp_lt_u32_e32 vcc, 3, v6
	s_nop 0
	;; [unrolled: 5-line block ×4, first 2 shown]
	v_mov_b32_dpp v6, v4 row_bcast:15 row_mask:0xf bank_mask:0xf
	v_and_b32_e32 v6, v7, v6
	v_add_u32_e32 v4, v4, v6
	s_nop 1
	v_mov_b32_dpp v6, v4 row_bcast:31 row_mask:0xf bank_mask:0xf
	v_cndmask_b32_e32 v6, 0, v6, vcc
	v_add_u32_e32 v4, v4, v6
	v_cmp_eq_u32_e32 vcc, 63, v0
	s_and_saveexec_b64 s[0:1], vcc
	s_cbranch_execz .LBB119_2
; %bb.1:
	ds_write_b32 v5, v4
.LBB119_2:
	s_or_b64 exec, exec, s[0:1]
	s_load_dword s0, s[4:5], 0x10
	v_add_u32_e32 v5, -1, v1
	v_and_b32_e32 v6, 64, v1
	v_cmp_lt_i32_e32 vcc, v5, v6
	v_cndmask_b32_e32 v5, v5, v1, vcc
	s_waitcnt lgkmcnt(0)
	v_add_u32_e32 v4, s0, v4
	v_lshlrev_b32_e32 v5, 2, v5
	ds_bpermute_b32 v4, v5, v4
	v_mov_b32_e32 v5, s0
	v_cmp_eq_u32_e32 vcc, 0, v1
	s_waitcnt lgkmcnt(0)
	; wave barrier
	s_waitcnt lgkmcnt(0)
	v_cndmask_b32_e32 v1, v4, v5, vcc
	v_cmp_eq_u32_e32 vcc, 0, v0
	global_store_dword v[2:3], v1, off
	s_and_saveexec_b64 s[0:1], vcc
	s_cbranch_execz .LBB119_4
; %bb.3:
	v_mov_b32_e32 v0, 0
	ds_read_b32 v1, v0
	s_mov_b32 s7, 0
	s_lshl_b64 s[0:1], s[6:7], 2
	s_add_u32 s0, s2, s0
	s_addc_u32 s1, s3, s1
	s_waitcnt lgkmcnt(0)
	global_store_dword v0, v1, s[0:1]
.LBB119_4:
	s_endpgm
	.section	.rodata,"a",@progbits
	.p2align	6, 0x0
	.amdhsa_kernel _Z28exclusive_scan_reduce_kernelILj64ELN6hipcub18BlockScanAlgorithmE0EiEvPT1_S3_S2_
		.amdhsa_group_segment_fixed_size 4
		.amdhsa_private_segment_fixed_size 0
		.amdhsa_kernarg_size 20
		.amdhsa_user_sgpr_count 6
		.amdhsa_user_sgpr_private_segment_buffer 1
		.amdhsa_user_sgpr_dispatch_ptr 0
		.amdhsa_user_sgpr_queue_ptr 0
		.amdhsa_user_sgpr_kernarg_segment_ptr 1
		.amdhsa_user_sgpr_dispatch_id 0
		.amdhsa_user_sgpr_flat_scratch_init 0
		.amdhsa_user_sgpr_kernarg_preload_length 0
		.amdhsa_user_sgpr_kernarg_preload_offset 0
		.amdhsa_user_sgpr_private_segment_size 0
		.amdhsa_uses_dynamic_stack 0
		.amdhsa_system_sgpr_private_segment_wavefront_offset 0
		.amdhsa_system_sgpr_workgroup_id_x 1
		.amdhsa_system_sgpr_workgroup_id_y 0
		.amdhsa_system_sgpr_workgroup_id_z 0
		.amdhsa_system_sgpr_workgroup_info 0
		.amdhsa_system_vgpr_workitem_id 0
		.amdhsa_next_free_vgpr 9
		.amdhsa_next_free_sgpr 8
		.amdhsa_accum_offset 12
		.amdhsa_reserve_vcc 1
		.amdhsa_reserve_flat_scratch 0
		.amdhsa_float_round_mode_32 0
		.amdhsa_float_round_mode_16_64 0
		.amdhsa_float_denorm_mode_32 3
		.amdhsa_float_denorm_mode_16_64 3
		.amdhsa_dx10_clamp 1
		.amdhsa_ieee_mode 1
		.amdhsa_fp16_overflow 0
		.amdhsa_tg_split 0
		.amdhsa_exception_fp_ieee_invalid_op 0
		.amdhsa_exception_fp_denorm_src 0
		.amdhsa_exception_fp_ieee_div_zero 0
		.amdhsa_exception_fp_ieee_overflow 0
		.amdhsa_exception_fp_ieee_underflow 0
		.amdhsa_exception_fp_ieee_inexact 0
		.amdhsa_exception_int_div_zero 0
	.end_amdhsa_kernel
	.section	.text._Z28exclusive_scan_reduce_kernelILj64ELN6hipcub18BlockScanAlgorithmE0EiEvPT1_S3_S2_,"axG",@progbits,_Z28exclusive_scan_reduce_kernelILj64ELN6hipcub18BlockScanAlgorithmE0EiEvPT1_S3_S2_,comdat
.Lfunc_end119:
	.size	_Z28exclusive_scan_reduce_kernelILj64ELN6hipcub18BlockScanAlgorithmE0EiEvPT1_S3_S2_, .Lfunc_end119-_Z28exclusive_scan_reduce_kernelILj64ELN6hipcub18BlockScanAlgorithmE0EiEvPT1_S3_S2_
                                        ; -- End function
	.section	.AMDGPU.csdata,"",@progbits
; Kernel info:
; codeLenInByte = 372
; NumSgprs: 12
; NumVgprs: 9
; NumAgprs: 0
; TotalNumVgprs: 9
; ScratchSize: 0
; MemoryBound: 0
; FloatMode: 240
; IeeeMode: 1
; LDSByteSize: 4 bytes/workgroup (compile time only)
; SGPRBlocks: 1
; VGPRBlocks: 1
; NumSGPRsForWavesPerEU: 12
; NumVGPRsForWavesPerEU: 9
; AccumOffset: 12
; Occupancy: 8
; WaveLimiterHint : 0
; COMPUTE_PGM_RSRC2:SCRATCH_EN: 0
; COMPUTE_PGM_RSRC2:USER_SGPR: 6
; COMPUTE_PGM_RSRC2:TRAP_HANDLER: 0
; COMPUTE_PGM_RSRC2:TGID_X_EN: 1
; COMPUTE_PGM_RSRC2:TGID_Y_EN: 0
; COMPUTE_PGM_RSRC2:TGID_Z_EN: 0
; COMPUTE_PGM_RSRC2:TIDIG_COMP_CNT: 0
; COMPUTE_PGM_RSRC3_GFX90A:ACCUM_OFFSET: 2
; COMPUTE_PGM_RSRC3_GFX90A:TG_SPLIT: 0
	.section	.text._Z37exclusive_scan_prefix_callback_kernelILj377ELN6hipcub18BlockScanAlgorithmE1EhEvPT1_S3_S2_,"axG",@progbits,_Z37exclusive_scan_prefix_callback_kernelILj377ELN6hipcub18BlockScanAlgorithmE1EhEvPT1_S3_S2_,comdat
	.protected	_Z37exclusive_scan_prefix_callback_kernelILj377ELN6hipcub18BlockScanAlgorithmE1EhEvPT1_S3_S2_ ; -- Begin function _Z37exclusive_scan_prefix_callback_kernelILj377ELN6hipcub18BlockScanAlgorithmE1EhEvPT1_S3_S2_
	.globl	_Z37exclusive_scan_prefix_callback_kernelILj377ELN6hipcub18BlockScanAlgorithmE1EhEvPT1_S3_S2_
	.p2align	8
	.type	_Z37exclusive_scan_prefix_callback_kernelILj377ELN6hipcub18BlockScanAlgorithmE1EhEvPT1_S3_S2_,@function
_Z37exclusive_scan_prefix_callback_kernelILj377ELN6hipcub18BlockScanAlgorithmE1EhEvPT1_S3_S2_: ; @_Z37exclusive_scan_prefix_callback_kernelILj377ELN6hipcub18BlockScanAlgorithmE1EhEvPT1_S3_S2_
; %bb.0:
	s_load_dwordx4 s[8:11], s[4:5], 0x0
	s_mul_i32 s0, s6, 0x179
	v_add_u32_e32 v2, s0, v0
	v_mov_b32_e32 v1, 0
	v_cmp_gt_u32_e32 vcc, 64, v0
	s_waitcnt lgkmcnt(0)
	global_load_ubyte v4, v2, s[8:9]
	v_mov_b32_e32 v3, s9
	s_waitcnt vmcnt(0)
	ds_write_b8 v0, v4
	s_waitcnt lgkmcnt(0)
	s_barrier
	s_and_saveexec_b64 s[2:3], vcc
	s_cbranch_execz .LBB120_2
; %bb.1:
	v_mul_u32_u24_e32 v5, 6, v0
	ds_read_u8 v6, v5
	ds_read_u8 v7, v5 offset:1
	ds_read_u8 v8, v5 offset:2
	;; [unrolled: 1-line block ×5, first 2 shown]
	s_waitcnt lgkmcnt(4)
	v_add_u16_e32 v12, v7, v6
	s_waitcnt lgkmcnt(3)
	v_add_u16_e32 v12, v12, v8
	;; [unrolled: 2-line block ×4, first 2 shown]
	v_mbcnt_lo_u32_b32 v13, -1, 0
	s_waitcnt lgkmcnt(0)
	v_add_u16_e32 v12, v12, v11
	v_mbcnt_hi_u32_b32 v13, -1, v13
	v_and_b32_e32 v14, 15, v13
	v_and_b32_e32 v15, 0xff, v12
	v_cmp_ne_u32_e64 s[0:1], 0, v14
	s_nop 0
	v_mov_b32_dpp v15, v15 row_shr:1 row_mask:0xf bank_mask:0xf
	v_cndmask_b32_e64 v15, 0, v15, s[0:1]
	v_add_u16_e32 v12, v15, v12
	v_and_b32_e32 v15, 0xff, v12
	v_cmp_lt_u32_e64 s[0:1], 1, v14
	s_nop 0
	v_mov_b32_dpp v15, v15 row_shr:2 row_mask:0xf bank_mask:0xf
	v_cndmask_b32_e64 v15, 0, v15, s[0:1]
	v_add_u16_e32 v12, v12, v15
	v_and_b32_e32 v15, 0xff, v12
	v_cmp_lt_u32_e64 s[0:1], 3, v14
	;; [unrolled: 6-line block ×3, first 2 shown]
	s_nop 0
	v_mov_b32_dpp v15, v15 row_shr:8 row_mask:0xf bank_mask:0xf
	v_cndmask_b32_e64 v14, 0, v15, s[0:1]
	v_add_u16_e32 v12, v12, v14
	v_and_b32_e32 v14, 0xff, v12
	v_and_b32_e32 v15, 16, v13
	v_cmp_ne_u32_e64 s[0:1], 0, v15
	v_mov_b32_dpp v14, v14 row_bcast:15 row_mask:0xf bank_mask:0xf
	v_cndmask_b32_e64 v14, 0, v14, s[0:1]
	v_add_u16_e32 v12, v12, v14
	v_and_b32_e32 v14, 0xff, v12
	v_cmp_lt_u32_e64 s[0:1], 31, v13
	v_and_b32_e32 v15, 64, v13
	v_mov_b32_dpp v14, v14 row_bcast:31 row_mask:0xf bank_mask:0xf
	v_cndmask_b32_e64 v14, 0, v14, s[0:1]
	v_add_u16_e32 v12, v12, v14
	v_add_u32_e32 v14, -1, v13
	v_cmp_lt_i32_e64 s[0:1], v14, v15
	v_cndmask_b32_e64 v13, v14, v13, s[0:1]
	v_and_b32_e32 v12, 0xff, v12
	v_lshlrev_b32_e32 v13, 2, v13
	ds_bpermute_b32 v12, v13, v12
	v_cmp_eq_u32_e64 s[0:1], 0, v0
	s_waitcnt lgkmcnt(0)
	v_add_u16_e32 v6, v6, v12
	v_cndmask_b32_e64 v4, v6, v4, s[0:1]
	ds_write_b8 v5, v4
	v_add_u16_e32 v4, v4, v7
	ds_write_b8 v5, v4 offset:1
	v_add_u16_e32 v4, v4, v8
	ds_write_b8 v5, v4 offset:2
	;; [unrolled: 2-line block ×5, first 2 shown]
.LBB120_2:
	s_or_b64 exec, exec, s[2:3]
	v_add_co_u32_e64 v2, s[0:1], s8, v2
	v_addc_co_u32_e64 v3, s[0:1], 0, v3, s[0:1]
	v_cmp_eq_u32_e64 s[0:1], 0, v0
	v_cmp_ne_u32_e64 s[2:3], 0, v0
	s_waitcnt lgkmcnt(0)
	s_barrier
	s_and_saveexec_b64 s[8:9], s[2:3]
	s_cbranch_execz .LBB120_4
; %bb.3:
	v_add_u32_e32 v0, -1, v0
	ds_read_u8 v1, v0
.LBB120_4:
	s_or_b64 exec, exec, s[8:9]
	s_load_dword s7, s[4:5], 0x10
	s_waitcnt lgkmcnt(0)
	v_mov_b32_e32 v0, s7
	s_and_saveexec_b64 s[2:3], vcc
	s_cbranch_execz .LBB120_8
; %bb.5:
	v_mov_b32_e32 v4, 0
	ds_read_u8 v0, v4 offset:376
	s_and_b32 s8, s7, 0xff
	s_and_saveexec_b64 s[4:5], s[0:1]
	s_cbranch_execz .LBB120_7
; %bb.6:
	v_mov_b32_e32 v5, s7
	ds_write_b8 v4, v5
.LBB120_7:
	s_or_b64 exec, exec, s[4:5]
	s_waitcnt lgkmcnt(0)
	v_add_u32_e32 v0, s8, v0
.LBB120_8:
	s_or_b64 exec, exec, s[2:3]
	v_mov_b32_e32 v4, 0
	s_barrier
	ds_read_u8 v4, v4
	s_waitcnt lgkmcnt(0)
	v_add_u16_e32 v1, v4, v1
	global_store_byte v[2:3], v1, off
	s_and_saveexec_b64 s[2:3], s[0:1]
	s_cbranch_execz .LBB120_10
; %bb.9:
	v_mov_b32_e32 v1, s6
	global_store_byte v1, v0, s[10:11]
.LBB120_10:
	s_endpgm
	.section	.rodata,"a",@progbits
	.p2align	6, 0x0
	.amdhsa_kernel _Z37exclusive_scan_prefix_callback_kernelILj377ELN6hipcub18BlockScanAlgorithmE1EhEvPT1_S3_S2_
		.amdhsa_group_segment_fixed_size 384
		.amdhsa_private_segment_fixed_size 0
		.amdhsa_kernarg_size 20
		.amdhsa_user_sgpr_count 6
		.amdhsa_user_sgpr_private_segment_buffer 1
		.amdhsa_user_sgpr_dispatch_ptr 0
		.amdhsa_user_sgpr_queue_ptr 0
		.amdhsa_user_sgpr_kernarg_segment_ptr 1
		.amdhsa_user_sgpr_dispatch_id 0
		.amdhsa_user_sgpr_flat_scratch_init 0
		.amdhsa_user_sgpr_kernarg_preload_length 0
		.amdhsa_user_sgpr_kernarg_preload_offset 0
		.amdhsa_user_sgpr_private_segment_size 0
		.amdhsa_uses_dynamic_stack 0
		.amdhsa_system_sgpr_private_segment_wavefront_offset 0
		.amdhsa_system_sgpr_workgroup_id_x 1
		.amdhsa_system_sgpr_workgroup_id_y 0
		.amdhsa_system_sgpr_workgroup_id_z 0
		.amdhsa_system_sgpr_workgroup_info 0
		.amdhsa_system_vgpr_workitem_id 0
		.amdhsa_next_free_vgpr 16
		.amdhsa_next_free_sgpr 12
		.amdhsa_accum_offset 16
		.amdhsa_reserve_vcc 1
		.amdhsa_reserve_flat_scratch 0
		.amdhsa_float_round_mode_32 0
		.amdhsa_float_round_mode_16_64 0
		.amdhsa_float_denorm_mode_32 3
		.amdhsa_float_denorm_mode_16_64 3
		.amdhsa_dx10_clamp 1
		.amdhsa_ieee_mode 1
		.amdhsa_fp16_overflow 0
		.amdhsa_tg_split 0
		.amdhsa_exception_fp_ieee_invalid_op 0
		.amdhsa_exception_fp_denorm_src 0
		.amdhsa_exception_fp_ieee_div_zero 0
		.amdhsa_exception_fp_ieee_overflow 0
		.amdhsa_exception_fp_ieee_underflow 0
		.amdhsa_exception_fp_ieee_inexact 0
		.amdhsa_exception_int_div_zero 0
	.end_amdhsa_kernel
	.section	.text._Z37exclusive_scan_prefix_callback_kernelILj377ELN6hipcub18BlockScanAlgorithmE1EhEvPT1_S3_S2_,"axG",@progbits,_Z37exclusive_scan_prefix_callback_kernelILj377ELN6hipcub18BlockScanAlgorithmE1EhEvPT1_S3_S2_,comdat
.Lfunc_end120:
	.size	_Z37exclusive_scan_prefix_callback_kernelILj377ELN6hipcub18BlockScanAlgorithmE1EhEvPT1_S3_S2_, .Lfunc_end120-_Z37exclusive_scan_prefix_callback_kernelILj377ELN6hipcub18BlockScanAlgorithmE1EhEvPT1_S3_S2_
                                        ; -- End function
	.section	.AMDGPU.csdata,"",@progbits
; Kernel info:
; codeLenInByte = 760
; NumSgprs: 16
; NumVgprs: 16
; NumAgprs: 0
; TotalNumVgprs: 16
; ScratchSize: 0
; MemoryBound: 0
; FloatMode: 240
; IeeeMode: 1
; LDSByteSize: 384 bytes/workgroup (compile time only)
; SGPRBlocks: 1
; VGPRBlocks: 1
; NumSGPRsForWavesPerEU: 16
; NumVGPRsForWavesPerEU: 16
; AccumOffset: 16
; Occupancy: 8
; WaveLimiterHint : 0
; COMPUTE_PGM_RSRC2:SCRATCH_EN: 0
; COMPUTE_PGM_RSRC2:USER_SGPR: 6
; COMPUTE_PGM_RSRC2:TRAP_HANDLER: 0
; COMPUTE_PGM_RSRC2:TGID_X_EN: 1
; COMPUTE_PGM_RSRC2:TGID_Y_EN: 0
; COMPUTE_PGM_RSRC2:TGID_Z_EN: 0
; COMPUTE_PGM_RSRC2:TIDIG_COMP_CNT: 0
; COMPUTE_PGM_RSRC3_GFX90A:ACCUM_OFFSET: 3
; COMPUTE_PGM_RSRC3_GFX90A:TG_SPLIT: 0
	.section	.text._Z37exclusive_scan_prefix_callback_kernelILj377ELN6hipcub18BlockScanAlgorithmE1EiEvPT1_S3_S2_,"axG",@progbits,_Z37exclusive_scan_prefix_callback_kernelILj377ELN6hipcub18BlockScanAlgorithmE1EiEvPT1_S3_S2_,comdat
	.protected	_Z37exclusive_scan_prefix_callback_kernelILj377ELN6hipcub18BlockScanAlgorithmE1EiEvPT1_S3_S2_ ; -- Begin function _Z37exclusive_scan_prefix_callback_kernelILj377ELN6hipcub18BlockScanAlgorithmE1EiEvPT1_S3_S2_
	.globl	_Z37exclusive_scan_prefix_callback_kernelILj377ELN6hipcub18BlockScanAlgorithmE1EiEvPT1_S3_S2_
	.p2align	8
	.type	_Z37exclusive_scan_prefix_callback_kernelILj377ELN6hipcub18BlockScanAlgorithmE1EiEvPT1_S3_S2_,@function
_Z37exclusive_scan_prefix_callback_kernelILj377ELN6hipcub18BlockScanAlgorithmE1EiEvPT1_S3_S2_: ; @_Z37exclusive_scan_prefix_callback_kernelILj377ELN6hipcub18BlockScanAlgorithmE1EiEvPT1_S3_S2_
; %bb.0:
	s_load_dwordx4 s[8:11], s[4:5], 0x0
	s_mul_i32 s0, s6, 0x179
	v_add_u32_e32 v2, s0, v0
	v_mov_b32_e32 v3, 0
	v_lshlrev_b64 v[4:5], 2, v[2:3]
	s_waitcnt lgkmcnt(0)
	v_mov_b32_e32 v1, s9
	v_add_co_u32_e32 v4, vcc, s8, v4
	v_addc_co_u32_e32 v5, vcc, v1, v5, vcc
	global_load_dword v2, v[4:5], off
	v_lshlrev_b32_e32 v1, 2, v0
	v_cmp_gt_u32_e32 vcc, 64, v0
	s_waitcnt vmcnt(0)
	ds_write_b32 v1, v2
	s_waitcnt lgkmcnt(0)
	s_barrier
	s_and_saveexec_b64 s[2:3], vcc
	s_cbranch_execz .LBB121_2
; %bb.1:
	v_mul_u32_u24_e32 v6, 6, v0
	v_lshlrev_b32_e32 v12, 2, v6
	ds_read2_b32 v[6:7], v12 offset1:1
	ds_read2_b32 v[8:9], v12 offset0:2 offset1:3
	ds_read2_b32 v[10:11], v12 offset0:4 offset1:5
	v_mbcnt_lo_u32_b32 v13, -1, 0
	v_mbcnt_hi_u32_b32 v13, -1, v13
	s_waitcnt lgkmcnt(2)
	v_add_u32_e32 v14, v7, v6
	s_waitcnt lgkmcnt(1)
	v_add3_u32 v14, v14, v8, v9
	s_waitcnt lgkmcnt(0)
	v_add3_u32 v14, v14, v10, v11
	v_and_b32_e32 v15, 15, v13
	v_cmp_ne_u32_e64 s[0:1], 0, v15
	v_mov_b32_dpp v16, v14 row_shr:1 row_mask:0xf bank_mask:0xf
	v_cndmask_b32_e64 v16, 0, v16, s[0:1]
	v_add_u32_e32 v14, v16, v14
	v_cmp_lt_u32_e64 s[0:1], 1, v15
	s_nop 0
	v_mov_b32_dpp v16, v14 row_shr:2 row_mask:0xf bank_mask:0xf
	v_cndmask_b32_e64 v16, 0, v16, s[0:1]
	v_add_u32_e32 v14, v14, v16
	v_cmp_lt_u32_e64 s[0:1], 3, v15
	s_nop 0
	;; [unrolled: 5-line block ×3, first 2 shown]
	v_mov_b32_dpp v16, v14 row_shr:8 row_mask:0xf bank_mask:0xf
	v_cndmask_b32_e64 v15, 0, v16, s[0:1]
	v_add_u32_e32 v14, v14, v15
	v_bfe_i32 v16, v13, 4, 1
	v_cmp_lt_u32_e64 s[0:1], 31, v13
	v_mov_b32_dpp v15, v14 row_bcast:15 row_mask:0xf bank_mask:0xf
	v_and_b32_e32 v15, v16, v15
	v_add_u32_e32 v14, v14, v15
	v_and_b32_e32 v16, 64, v13
	s_nop 0
	v_mov_b32_dpp v15, v14 row_bcast:31 row_mask:0xf bank_mask:0xf
	v_cndmask_b32_e64 v15, 0, v15, s[0:1]
	v_add_u32_e32 v14, v14, v15
	v_add_u32_e32 v15, -1, v13
	v_cmp_lt_i32_e64 s[0:1], v15, v16
	v_cndmask_b32_e64 v13, v15, v13, s[0:1]
	v_lshlrev_b32_e32 v13, 2, v13
	ds_bpermute_b32 v13, v13, v14
	v_cmp_eq_u32_e64 s[0:1], 0, v0
	s_waitcnt lgkmcnt(0)
	v_add_u32_e32 v6, v13, v6
	v_cndmask_b32_e64 v2, v6, v2, s[0:1]
	v_add_u32_e32 v6, v2, v7
	ds_write2_b32 v12, v2, v6 offset1:1
	v_add_u32_e32 v2, v6, v8
	v_add_u32_e32 v6, v2, v9
	ds_write2_b32 v12, v2, v6 offset0:2 offset1:3
	v_add_u32_e32 v2, v6, v10
	v_add_u32_e32 v6, v2, v11
	ds_write2_b32 v12, v2, v6 offset0:4 offset1:5
.LBB121_2:
	s_or_b64 exec, exec, s[2:3]
	v_cmp_eq_u32_e64 s[0:1], 0, v0
	v_cmp_ne_u32_e64 s[2:3], 0, v0
	s_waitcnt lgkmcnt(0)
	s_barrier
	s_and_saveexec_b64 s[8:9], s[2:3]
	s_cbranch_execz .LBB121_4
; %bb.3:
	v_add_u32_e32 v0, -4, v1
	ds_read_b32 v3, v0
.LBB121_4:
	s_or_b64 exec, exec, s[8:9]
	s_load_dword s7, s[4:5], 0x10
	s_waitcnt lgkmcnt(0)
	v_mov_b32_e32 v0, s7
	s_and_saveexec_b64 s[2:3], vcc
	s_cbranch_execz .LBB121_8
; %bb.5:
	v_mov_b32_e32 v1, 0
	ds_read_b32 v0, v1 offset:1504
	s_and_saveexec_b64 s[4:5], s[0:1]
	s_cbranch_execz .LBB121_7
; %bb.6:
	v_mov_b32_e32 v2, s7
	ds_write_b32 v1, v2
.LBB121_7:
	s_or_b64 exec, exec, s[4:5]
	s_waitcnt lgkmcnt(0)
	v_add_u32_e32 v0, s7, v0
.LBB121_8:
	s_or_b64 exec, exec, s[2:3]
	v_mov_b32_e32 v1, 0
	s_barrier
	ds_read_b32 v2, v1
	s_waitcnt lgkmcnt(0)
	v_add_u32_e32 v2, v2, v3
	global_store_dword v[4:5], v2, off
	s_and_saveexec_b64 s[2:3], s[0:1]
	s_cbranch_execz .LBB121_10
; %bb.9:
	s_mov_b32 s7, 0
	s_lshl_b64 s[0:1], s[6:7], 2
	s_add_u32 s0, s10, s0
	s_addc_u32 s1, s11, s1
	global_store_dword v1, v0, s[0:1]
.LBB121_10:
	s_endpgm
	.section	.rodata,"a",@progbits
	.p2align	6, 0x0
	.amdhsa_kernel _Z37exclusive_scan_prefix_callback_kernelILj377ELN6hipcub18BlockScanAlgorithmE1EiEvPT1_S3_S2_
		.amdhsa_group_segment_fixed_size 1536
		.amdhsa_private_segment_fixed_size 0
		.amdhsa_kernarg_size 20
		.amdhsa_user_sgpr_count 6
		.amdhsa_user_sgpr_private_segment_buffer 1
		.amdhsa_user_sgpr_dispatch_ptr 0
		.amdhsa_user_sgpr_queue_ptr 0
		.amdhsa_user_sgpr_kernarg_segment_ptr 1
		.amdhsa_user_sgpr_dispatch_id 0
		.amdhsa_user_sgpr_flat_scratch_init 0
		.amdhsa_user_sgpr_kernarg_preload_length 0
		.amdhsa_user_sgpr_kernarg_preload_offset 0
		.amdhsa_user_sgpr_private_segment_size 0
		.amdhsa_uses_dynamic_stack 0
		.amdhsa_system_sgpr_private_segment_wavefront_offset 0
		.amdhsa_system_sgpr_workgroup_id_x 1
		.amdhsa_system_sgpr_workgroup_id_y 0
		.amdhsa_system_sgpr_workgroup_id_z 0
		.amdhsa_system_sgpr_workgroup_info 0
		.amdhsa_system_vgpr_workitem_id 0
		.amdhsa_next_free_vgpr 17
		.amdhsa_next_free_sgpr 12
		.amdhsa_accum_offset 20
		.amdhsa_reserve_vcc 1
		.amdhsa_reserve_flat_scratch 0
		.amdhsa_float_round_mode_32 0
		.amdhsa_float_round_mode_16_64 0
		.amdhsa_float_denorm_mode_32 3
		.amdhsa_float_denorm_mode_16_64 3
		.amdhsa_dx10_clamp 1
		.amdhsa_ieee_mode 1
		.amdhsa_fp16_overflow 0
		.amdhsa_tg_split 0
		.amdhsa_exception_fp_ieee_invalid_op 0
		.amdhsa_exception_fp_denorm_src 0
		.amdhsa_exception_fp_ieee_div_zero 0
		.amdhsa_exception_fp_ieee_overflow 0
		.amdhsa_exception_fp_ieee_underflow 0
		.amdhsa_exception_fp_ieee_inexact 0
		.amdhsa_exception_int_div_zero 0
	.end_amdhsa_kernel
	.section	.text._Z37exclusive_scan_prefix_callback_kernelILj377ELN6hipcub18BlockScanAlgorithmE1EiEvPT1_S3_S2_,"axG",@progbits,_Z37exclusive_scan_prefix_callback_kernelILj377ELN6hipcub18BlockScanAlgorithmE1EiEvPT1_S3_S2_,comdat
.Lfunc_end121:
	.size	_Z37exclusive_scan_prefix_callback_kernelILj377ELN6hipcub18BlockScanAlgorithmE1EiEvPT1_S3_S2_, .Lfunc_end121-_Z37exclusive_scan_prefix_callback_kernelILj377ELN6hipcub18BlockScanAlgorithmE1EiEvPT1_S3_S2_
                                        ; -- End function
	.section	.AMDGPU.csdata,"",@progbits
; Kernel info:
; codeLenInByte = 652
; NumSgprs: 16
; NumVgprs: 17
; NumAgprs: 0
; TotalNumVgprs: 17
; ScratchSize: 0
; MemoryBound: 0
; FloatMode: 240
; IeeeMode: 1
; LDSByteSize: 1536 bytes/workgroup (compile time only)
; SGPRBlocks: 1
; VGPRBlocks: 2
; NumSGPRsForWavesPerEU: 16
; NumVGPRsForWavesPerEU: 17
; AccumOffset: 20
; Occupancy: 8
; WaveLimiterHint : 0
; COMPUTE_PGM_RSRC2:SCRATCH_EN: 0
; COMPUTE_PGM_RSRC2:USER_SGPR: 6
; COMPUTE_PGM_RSRC2:TRAP_HANDLER: 0
; COMPUTE_PGM_RSRC2:TGID_X_EN: 1
; COMPUTE_PGM_RSRC2:TGID_Y_EN: 0
; COMPUTE_PGM_RSRC2:TGID_Z_EN: 0
; COMPUTE_PGM_RSRC2:TIDIG_COMP_CNT: 0
; COMPUTE_PGM_RSRC3_GFX90A:ACCUM_OFFSET: 4
; COMPUTE_PGM_RSRC3_GFX90A:TG_SPLIT: 0
	.section	.text._Z37exclusive_scan_prefix_callback_kernelILj255ELN6hipcub18BlockScanAlgorithmE1EjEvPT1_S3_S2_,"axG",@progbits,_Z37exclusive_scan_prefix_callback_kernelILj255ELN6hipcub18BlockScanAlgorithmE1EjEvPT1_S3_S2_,comdat
	.protected	_Z37exclusive_scan_prefix_callback_kernelILj255ELN6hipcub18BlockScanAlgorithmE1EjEvPT1_S3_S2_ ; -- Begin function _Z37exclusive_scan_prefix_callback_kernelILj255ELN6hipcub18BlockScanAlgorithmE1EjEvPT1_S3_S2_
	.globl	_Z37exclusive_scan_prefix_callback_kernelILj255ELN6hipcub18BlockScanAlgorithmE1EjEvPT1_S3_S2_
	.p2align	8
	.type	_Z37exclusive_scan_prefix_callback_kernelILj255ELN6hipcub18BlockScanAlgorithmE1EjEvPT1_S3_S2_,@function
_Z37exclusive_scan_prefix_callback_kernelILj255ELN6hipcub18BlockScanAlgorithmE1EjEvPT1_S3_S2_: ; @_Z37exclusive_scan_prefix_callback_kernelILj255ELN6hipcub18BlockScanAlgorithmE1EjEvPT1_S3_S2_
; %bb.0:
	s_load_dwordx4 s[8:11], s[4:5], 0x0
	s_mul_i32 s0, s6, 0xff
	v_add_u32_e32 v2, s0, v0
	v_mov_b32_e32 v3, 0
	v_lshlrev_b64 v[4:5], 2, v[2:3]
	s_waitcnt lgkmcnt(0)
	v_mov_b32_e32 v1, s9
	v_add_co_u32_e32 v4, vcc, s8, v4
	v_addc_co_u32_e32 v5, vcc, v1, v5, vcc
	global_load_dword v1, v[4:5], off
	v_lshrrev_b32_e32 v2, 5, v0
	v_add_lshl_u32 v2, v2, v0, 2
	v_cmp_gt_u32_e32 vcc, 64, v0
	s_waitcnt vmcnt(0)
	ds_write_b32 v2, v1
	s_waitcnt lgkmcnt(0)
	s_barrier
	s_and_saveexec_b64 s[2:3], vcc
	s_cbranch_execz .LBB122_2
; %bb.1:
	v_lshlrev_b32_e32 v2, 2, v0
	v_lshrrev_b32_e32 v6, 3, v0
	v_add_lshl_u32 v2, v6, v2, 2
	ds_read2_b32 v[6:7], v2 offset1:1
	ds_read2_b32 v[8:9], v2 offset0:2 offset1:3
	v_mbcnt_lo_u32_b32 v10, -1, 0
	v_mbcnt_hi_u32_b32 v10, -1, v10
	v_and_b32_e32 v12, 15, v10
	s_waitcnt lgkmcnt(1)
	v_add_u32_e32 v11, v7, v6
	s_waitcnt lgkmcnt(0)
	v_add3_u32 v11, v11, v8, v9
	v_cmp_ne_u32_e64 s[0:1], 0, v12
	s_nop 0
	v_mov_b32_dpp v13, v11 row_shr:1 row_mask:0xf bank_mask:0xf
	v_cndmask_b32_e64 v13, 0, v13, s[0:1]
	v_add_u32_e32 v11, v13, v11
	v_cmp_lt_u32_e64 s[0:1], 1, v12
	s_nop 0
	v_mov_b32_dpp v13, v11 row_shr:2 row_mask:0xf bank_mask:0xf
	v_cndmask_b32_e64 v13, 0, v13, s[0:1]
	v_add_u32_e32 v11, v11, v13
	v_cmp_lt_u32_e64 s[0:1], 3, v12
	s_nop 0
	v_mov_b32_dpp v13, v11 row_shr:4 row_mask:0xf bank_mask:0xf
	v_cndmask_b32_e64 v13, 0, v13, s[0:1]
	v_add_u32_e32 v11, v11, v13
	v_cmp_lt_u32_e64 s[0:1], 7, v12
	s_nop 0
	v_mov_b32_dpp v13, v11 row_shr:8 row_mask:0xf bank_mask:0xf
	v_cndmask_b32_e64 v12, 0, v13, s[0:1]
	v_add_u32_e32 v11, v11, v12
	v_bfe_i32 v13, v10, 4, 1
	v_cmp_lt_u32_e64 s[0:1], 31, v10
	v_mov_b32_dpp v12, v11 row_bcast:15 row_mask:0xf bank_mask:0xf
	v_and_b32_e32 v12, v13, v12
	v_add_u32_e32 v11, v11, v12
	v_and_b32_e32 v13, 64, v10
	s_nop 0
	v_mov_b32_dpp v12, v11 row_bcast:31 row_mask:0xf bank_mask:0xf
	v_cndmask_b32_e64 v12, 0, v12, s[0:1]
	v_add_u32_e32 v11, v11, v12
	v_add_u32_e32 v12, -1, v10
	v_cmp_lt_i32_e64 s[0:1], v12, v13
	v_cndmask_b32_e64 v10, v12, v10, s[0:1]
	v_lshlrev_b32_e32 v10, 2, v10
	ds_bpermute_b32 v10, v10, v11
	v_cmp_eq_u32_e64 s[0:1], 0, v0
	s_waitcnt lgkmcnt(0)
	v_add_u32_e32 v6, v10, v6
	v_cndmask_b32_e64 v1, v6, v1, s[0:1]
	v_add_u32_e32 v6, v1, v7
	ds_write2_b32 v2, v1, v6 offset1:1
	v_add_u32_e32 v1, v6, v8
	v_add_u32_e32 v6, v1, v9
	ds_write2_b32 v2, v1, v6 offset0:2 offset1:3
.LBB122_2:
	s_or_b64 exec, exec, s[2:3]
	v_cmp_eq_u32_e64 s[0:1], 0, v0
	v_cmp_ne_u32_e64 s[2:3], 0, v0
	s_waitcnt lgkmcnt(0)
	s_barrier
	s_and_saveexec_b64 s[8:9], s[2:3]
	s_cbranch_execz .LBB122_4
; %bb.3:
	v_add_u32_e32 v0, -1, v0
	v_lshrrev_b32_e32 v1, 5, v0
	v_add_lshl_u32 v0, v1, v0, 2
	ds_read_b32 v3, v0
.LBB122_4:
	s_or_b64 exec, exec, s[8:9]
	s_load_dword s7, s[4:5], 0x10
	s_waitcnt lgkmcnt(0)
	v_mov_b32_e32 v0, s7
	s_and_saveexec_b64 s[2:3], vcc
	s_cbranch_execz .LBB122_8
; %bb.5:
	v_mov_b32_e32 v1, 0
	ds_read_b32 v0, v1 offset:1044
	s_and_saveexec_b64 s[4:5], s[0:1]
	s_cbranch_execz .LBB122_7
; %bb.6:
	v_mov_b32_e32 v2, s7
	ds_write_b32 v1, v2
.LBB122_7:
	s_or_b64 exec, exec, s[4:5]
	s_waitcnt lgkmcnt(0)
	v_add_u32_e32 v0, s7, v0
.LBB122_8:
	s_or_b64 exec, exec, s[2:3]
	v_mov_b32_e32 v1, 0
	s_barrier
	ds_read_b32 v2, v1
	s_waitcnt lgkmcnt(0)
	v_add_u32_e32 v2, v2, v3
	global_store_dword v[4:5], v2, off
	s_and_saveexec_b64 s[2:3], s[0:1]
	s_cbranch_execz .LBB122_10
; %bb.9:
	s_mov_b32 s7, 0
	s_lshl_b64 s[0:1], s[6:7], 2
	s_add_u32 s0, s10, s0
	s_addc_u32 s1, s11, s1
	global_store_dword v1, v0, s[0:1]
.LBB122_10:
	s_endpgm
	.section	.rodata,"a",@progbits
	.p2align	6, 0x0
	.amdhsa_kernel _Z37exclusive_scan_prefix_callback_kernelILj255ELN6hipcub18BlockScanAlgorithmE1EjEvPT1_S3_S2_
		.amdhsa_group_segment_fixed_size 1056
		.amdhsa_private_segment_fixed_size 0
		.amdhsa_kernarg_size 20
		.amdhsa_user_sgpr_count 6
		.amdhsa_user_sgpr_private_segment_buffer 1
		.amdhsa_user_sgpr_dispatch_ptr 0
		.amdhsa_user_sgpr_queue_ptr 0
		.amdhsa_user_sgpr_kernarg_segment_ptr 1
		.amdhsa_user_sgpr_dispatch_id 0
		.amdhsa_user_sgpr_flat_scratch_init 0
		.amdhsa_user_sgpr_kernarg_preload_length 0
		.amdhsa_user_sgpr_kernarg_preload_offset 0
		.amdhsa_user_sgpr_private_segment_size 0
		.amdhsa_uses_dynamic_stack 0
		.amdhsa_system_sgpr_private_segment_wavefront_offset 0
		.amdhsa_system_sgpr_workgroup_id_x 1
		.amdhsa_system_sgpr_workgroup_id_y 0
		.amdhsa_system_sgpr_workgroup_id_z 0
		.amdhsa_system_sgpr_workgroup_info 0
		.amdhsa_system_vgpr_workitem_id 0
		.amdhsa_next_free_vgpr 14
		.amdhsa_next_free_sgpr 12
		.amdhsa_accum_offset 16
		.amdhsa_reserve_vcc 1
		.amdhsa_reserve_flat_scratch 0
		.amdhsa_float_round_mode_32 0
		.amdhsa_float_round_mode_16_64 0
		.amdhsa_float_denorm_mode_32 3
		.amdhsa_float_denorm_mode_16_64 3
		.amdhsa_dx10_clamp 1
		.amdhsa_ieee_mode 1
		.amdhsa_fp16_overflow 0
		.amdhsa_tg_split 0
		.amdhsa_exception_fp_ieee_invalid_op 0
		.amdhsa_exception_fp_denorm_src 0
		.amdhsa_exception_fp_ieee_div_zero 0
		.amdhsa_exception_fp_ieee_overflow 0
		.amdhsa_exception_fp_ieee_underflow 0
		.amdhsa_exception_fp_ieee_inexact 0
		.amdhsa_exception_int_div_zero 0
	.end_amdhsa_kernel
	.section	.text._Z37exclusive_scan_prefix_callback_kernelILj255ELN6hipcub18BlockScanAlgorithmE1EjEvPT1_S3_S2_,"axG",@progbits,_Z37exclusive_scan_prefix_callback_kernelILj255ELN6hipcub18BlockScanAlgorithmE1EjEvPT1_S3_S2_,comdat
.Lfunc_end122:
	.size	_Z37exclusive_scan_prefix_callback_kernelILj255ELN6hipcub18BlockScanAlgorithmE1EjEvPT1_S3_S2_, .Lfunc_end122-_Z37exclusive_scan_prefix_callback_kernelILj255ELN6hipcub18BlockScanAlgorithmE1EjEvPT1_S3_S2_
                                        ; -- End function
	.section	.AMDGPU.csdata,"",@progbits
; Kernel info:
; codeLenInByte = 648
; NumSgprs: 16
; NumVgprs: 14
; NumAgprs: 0
; TotalNumVgprs: 14
; ScratchSize: 0
; MemoryBound: 0
; FloatMode: 240
; IeeeMode: 1
; LDSByteSize: 1056 bytes/workgroup (compile time only)
; SGPRBlocks: 1
; VGPRBlocks: 1
; NumSGPRsForWavesPerEU: 16
; NumVGPRsForWavesPerEU: 14
; AccumOffset: 16
; Occupancy: 8
; WaveLimiterHint : 0
; COMPUTE_PGM_RSRC2:SCRATCH_EN: 0
; COMPUTE_PGM_RSRC2:USER_SGPR: 6
; COMPUTE_PGM_RSRC2:TRAP_HANDLER: 0
; COMPUTE_PGM_RSRC2:TGID_X_EN: 1
; COMPUTE_PGM_RSRC2:TGID_Y_EN: 0
; COMPUTE_PGM_RSRC2:TGID_Z_EN: 0
; COMPUTE_PGM_RSRC2:TIDIG_COMP_CNT: 0
; COMPUTE_PGM_RSRC3_GFX90A:ACCUM_OFFSET: 3
; COMPUTE_PGM_RSRC3_GFX90A:TG_SPLIT: 0
	.section	.text._Z37exclusive_scan_prefix_callback_kernelILj162ELN6hipcub18BlockScanAlgorithmE1EsEvPT1_S3_S2_,"axG",@progbits,_Z37exclusive_scan_prefix_callback_kernelILj162ELN6hipcub18BlockScanAlgorithmE1EsEvPT1_S3_S2_,comdat
	.protected	_Z37exclusive_scan_prefix_callback_kernelILj162ELN6hipcub18BlockScanAlgorithmE1EsEvPT1_S3_S2_ ; -- Begin function _Z37exclusive_scan_prefix_callback_kernelILj162ELN6hipcub18BlockScanAlgorithmE1EsEvPT1_S3_S2_
	.globl	_Z37exclusive_scan_prefix_callback_kernelILj162ELN6hipcub18BlockScanAlgorithmE1EsEvPT1_S3_S2_
	.p2align	8
	.type	_Z37exclusive_scan_prefix_callback_kernelILj162ELN6hipcub18BlockScanAlgorithmE1EsEvPT1_S3_S2_,@function
_Z37exclusive_scan_prefix_callback_kernelILj162ELN6hipcub18BlockScanAlgorithmE1EsEvPT1_S3_S2_: ; @_Z37exclusive_scan_prefix_callback_kernelILj162ELN6hipcub18BlockScanAlgorithmE1EsEvPT1_S3_S2_
; %bb.0:
	s_load_dwordx4 s[8:11], s[4:5], 0x0
	s_mul_i32 s0, s6, 0xa2
	v_add_u32_e32 v2, s0, v0
	v_mov_b32_e32 v3, 0
	v_lshlrev_b64 v[4:5], 1, v[2:3]
	s_waitcnt lgkmcnt(0)
	v_mov_b32_e32 v1, s9
	v_add_co_u32_e32 v4, vcc, s8, v4
	v_addc_co_u32_e32 v5, vcc, v1, v5, vcc
	global_load_ushort v2, v[4:5], off
	v_lshlrev_b32_e32 v1, 1, v0
	v_cmp_gt_u32_e32 vcc, 64, v0
	s_waitcnt vmcnt(0)
	ds_write_b16 v1, v2
	s_waitcnt lgkmcnt(0)
	s_barrier
	s_and_saveexec_b64 s[2:3], vcc
	s_cbranch_execz .LBB123_2
; %bb.1:
	v_mul_u32_u24_e32 v6, 3, v0
	v_lshlrev_b32_e32 v6, 1, v6
	ds_read_u16 v7, v6
	ds_read_u16 v8, v6 offset:2
	ds_read_u16 v9, v6 offset:4
	v_mbcnt_lo_u32_b32 v10, -1, 0
	v_mbcnt_hi_u32_b32 v10, -1, v10
	v_and_b32_e32 v12, 15, v10
	s_waitcnt lgkmcnt(1)
	v_add_u16_e32 v11, v8, v7
	s_waitcnt lgkmcnt(0)
	v_add_u16_e32 v11, v11, v9
	v_cmp_ne_u32_e64 s[0:1], 0, v12
	s_nop 0
	v_mov_b32_dpp v13, v11 row_shr:1 row_mask:0xf bank_mask:0xf
	v_cndmask_b32_e64 v13, 0, v13, s[0:1]
	v_add_u16_e32 v11, v13, v11
	v_cmp_lt_u32_e64 s[0:1], 1, v12
	s_nop 0
	v_mov_b32_dpp v13, v11 row_shr:2 row_mask:0xf bank_mask:0xf
	v_cndmask_b32_e64 v13, 0, v13, s[0:1]
	v_add_u16_e32 v11, v11, v13
	v_cmp_lt_u32_e64 s[0:1], 3, v12
	s_nop 0
	v_mov_b32_dpp v13, v11 row_shr:4 row_mask:0xf bank_mask:0xf
	v_cndmask_b32_e64 v13, 0, v13, s[0:1]
	v_add_u16_e32 v11, v11, v13
	v_cmp_lt_u32_e64 s[0:1], 7, v12
	s_nop 0
	v_mov_b32_dpp v13, v11 row_shr:8 row_mask:0xf bank_mask:0xf
	v_cndmask_b32_e64 v12, 0, v13, s[0:1]
	v_add_u16_e32 v11, v11, v12
	v_and_b32_e32 v13, 16, v10
	v_cmp_ne_u32_e64 s[0:1], 0, v13
	v_mov_b32_dpp v12, v11 row_bcast:15 row_mask:0xf bank_mask:0xf
	v_cndmask_b32_e64 v12, 0, v12, s[0:1]
	v_add_u16_e32 v11, v11, v12
	v_cmp_lt_u32_e64 s[0:1], 31, v10
	v_and_b32_e32 v13, 64, v10
	v_mov_b32_dpp v12, v11 row_bcast:31 row_mask:0xf bank_mask:0xf
	v_cndmask_b32_e64 v12, 0, v12, s[0:1]
	v_add_u16_e32 v11, v11, v12
	v_add_u32_e32 v12, -1, v10
	v_cmp_lt_i32_e64 s[0:1], v12, v13
	v_cndmask_b32_e64 v10, v12, v10, s[0:1]
	v_lshlrev_b32_e32 v10, 2, v10
	ds_bpermute_b32 v10, v10, v11
	v_cmp_eq_u32_e64 s[0:1], 0, v0
	s_waitcnt lgkmcnt(0)
	v_add_u16_e32 v7, v7, v10
	v_cndmask_b32_e64 v2, v7, v2, s[0:1]
	ds_write_b16 v6, v2
	v_add_u16_e32 v2, v2, v8
	ds_write_b16 v6, v2 offset:2
	v_add_u16_e32 v2, v2, v9
	ds_write_b16 v6, v2 offset:4
.LBB123_2:
	s_or_b64 exec, exec, s[2:3]
	v_cmp_eq_u32_e64 s[0:1], 0, v0
	v_cmp_ne_u32_e64 s[2:3], 0, v0
	s_waitcnt lgkmcnt(0)
	s_barrier
	s_and_saveexec_b64 s[8:9], s[2:3]
	s_cbranch_execz .LBB123_4
; %bb.3:
	v_add_u32_e32 v0, -2, v1
	ds_read_u16 v3, v0
.LBB123_4:
	s_or_b64 exec, exec, s[8:9]
	s_load_dword s7, s[4:5], 0x10
	s_waitcnt lgkmcnt(0)
	v_mov_b32_e32 v0, s7
	s_and_saveexec_b64 s[2:3], vcc
	s_cbranch_execz .LBB123_8
; %bb.5:
	v_mov_b32_e32 v1, 0
	ds_read_u16 v0, v1 offset:322
	s_and_saveexec_b64 s[4:5], s[0:1]
	s_cbranch_execz .LBB123_7
; %bb.6:
	v_mov_b32_e32 v2, s7
	ds_write_b16 v1, v2
.LBB123_7:
	s_or_b64 exec, exec, s[4:5]
	s_waitcnt lgkmcnt(0)
	v_add_u32_e32 v0, s7, v0
.LBB123_8:
	s_or_b64 exec, exec, s[2:3]
	v_mov_b32_e32 v1, 0
	s_barrier
	ds_read_u16 v2, v1
	s_waitcnt lgkmcnt(0)
	v_add_u16_e32 v2, v2, v3
	global_store_short v[4:5], v2, off
	s_and_saveexec_b64 s[2:3], s[0:1]
	s_cbranch_execz .LBB123_10
; %bb.9:
	s_mov_b32 s7, 0
	s_lshl_b64 s[0:1], s[6:7], 1
	s_add_u32 s0, s10, s0
	s_addc_u32 s1, s11, s1
	global_store_short v1, v0, s[0:1]
.LBB123_10:
	s_endpgm
	.section	.rodata,"a",@progbits
	.p2align	6, 0x0
	.amdhsa_kernel _Z37exclusive_scan_prefix_callback_kernelILj162ELN6hipcub18BlockScanAlgorithmE1EsEvPT1_S3_S2_
		.amdhsa_group_segment_fixed_size 384
		.amdhsa_private_segment_fixed_size 0
		.amdhsa_kernarg_size 20
		.amdhsa_user_sgpr_count 6
		.amdhsa_user_sgpr_private_segment_buffer 1
		.amdhsa_user_sgpr_dispatch_ptr 0
		.amdhsa_user_sgpr_queue_ptr 0
		.amdhsa_user_sgpr_kernarg_segment_ptr 1
		.amdhsa_user_sgpr_dispatch_id 0
		.amdhsa_user_sgpr_flat_scratch_init 0
		.amdhsa_user_sgpr_kernarg_preload_length 0
		.amdhsa_user_sgpr_kernarg_preload_offset 0
		.amdhsa_user_sgpr_private_segment_size 0
		.amdhsa_uses_dynamic_stack 0
		.amdhsa_system_sgpr_private_segment_wavefront_offset 0
		.amdhsa_system_sgpr_workgroup_id_x 1
		.amdhsa_system_sgpr_workgroup_id_y 0
		.amdhsa_system_sgpr_workgroup_id_z 0
		.amdhsa_system_sgpr_workgroup_info 0
		.amdhsa_system_vgpr_workitem_id 0
		.amdhsa_next_free_vgpr 14
		.amdhsa_next_free_sgpr 12
		.amdhsa_accum_offset 16
		.amdhsa_reserve_vcc 1
		.amdhsa_reserve_flat_scratch 0
		.amdhsa_float_round_mode_32 0
		.amdhsa_float_round_mode_16_64 0
		.amdhsa_float_denorm_mode_32 3
		.amdhsa_float_denorm_mode_16_64 3
		.amdhsa_dx10_clamp 1
		.amdhsa_ieee_mode 1
		.amdhsa_fp16_overflow 0
		.amdhsa_tg_split 0
		.amdhsa_exception_fp_ieee_invalid_op 0
		.amdhsa_exception_fp_denorm_src 0
		.amdhsa_exception_fp_ieee_div_zero 0
		.amdhsa_exception_fp_ieee_overflow 0
		.amdhsa_exception_fp_ieee_underflow 0
		.amdhsa_exception_fp_ieee_inexact 0
		.amdhsa_exception_int_div_zero 0
	.end_amdhsa_kernel
	.section	.text._Z37exclusive_scan_prefix_callback_kernelILj162ELN6hipcub18BlockScanAlgorithmE1EsEvPT1_S3_S2_,"axG",@progbits,_Z37exclusive_scan_prefix_callback_kernelILj162ELN6hipcub18BlockScanAlgorithmE1EsEvPT1_S3_S2_,comdat
.Lfunc_end123:
	.size	_Z37exclusive_scan_prefix_callback_kernelILj162ELN6hipcub18BlockScanAlgorithmE1EsEvPT1_S3_S2_, .Lfunc_end123-_Z37exclusive_scan_prefix_callback_kernelILj162ELN6hipcub18BlockScanAlgorithmE1EsEvPT1_S3_S2_
                                        ; -- End function
	.section	.AMDGPU.csdata,"",@progbits
; Kernel info:
; codeLenInByte = 632
; NumSgprs: 16
; NumVgprs: 14
; NumAgprs: 0
; TotalNumVgprs: 14
; ScratchSize: 0
; MemoryBound: 0
; FloatMode: 240
; IeeeMode: 1
; LDSByteSize: 384 bytes/workgroup (compile time only)
; SGPRBlocks: 1
; VGPRBlocks: 1
; NumSGPRsForWavesPerEU: 16
; NumVGPRsForWavesPerEU: 14
; AccumOffset: 16
; Occupancy: 8
; WaveLimiterHint : 0
; COMPUTE_PGM_RSRC2:SCRATCH_EN: 0
; COMPUTE_PGM_RSRC2:USER_SGPR: 6
; COMPUTE_PGM_RSRC2:TRAP_HANDLER: 0
; COMPUTE_PGM_RSRC2:TGID_X_EN: 1
; COMPUTE_PGM_RSRC2:TGID_Y_EN: 0
; COMPUTE_PGM_RSRC2:TGID_Z_EN: 0
; COMPUTE_PGM_RSRC2:TIDIG_COMP_CNT: 0
; COMPUTE_PGM_RSRC3_GFX90A:ACCUM_OFFSET: 3
; COMPUTE_PGM_RSRC3_GFX90A:TG_SPLIT: 0
	.section	.text._Z37exclusive_scan_prefix_callback_kernelILj37ELN6hipcub18BlockScanAlgorithmE1ElEvPT1_S3_S2_,"axG",@progbits,_Z37exclusive_scan_prefix_callback_kernelILj37ELN6hipcub18BlockScanAlgorithmE1ElEvPT1_S3_S2_,comdat
	.protected	_Z37exclusive_scan_prefix_callback_kernelILj37ELN6hipcub18BlockScanAlgorithmE1ElEvPT1_S3_S2_ ; -- Begin function _Z37exclusive_scan_prefix_callback_kernelILj37ELN6hipcub18BlockScanAlgorithmE1ElEvPT1_S3_S2_
	.globl	_Z37exclusive_scan_prefix_callback_kernelILj37ELN6hipcub18BlockScanAlgorithmE1ElEvPT1_S3_S2_
	.p2align	8
	.type	_Z37exclusive_scan_prefix_callback_kernelILj37ELN6hipcub18BlockScanAlgorithmE1ElEvPT1_S3_S2_,@function
_Z37exclusive_scan_prefix_callback_kernelILj37ELN6hipcub18BlockScanAlgorithmE1ElEvPT1_S3_S2_: ; @_Z37exclusive_scan_prefix_callback_kernelILj37ELN6hipcub18BlockScanAlgorithmE1ElEvPT1_S3_S2_
; %bb.0:
	s_load_dwordx4 s[0:3], s[4:5], 0x0
	s_load_dwordx2 s[8:9], s[4:5], 0x10
	v_mad_u64_u32 v[2:3], s[4:5], s6, 37, v[0:1]
	v_mov_b32_e32 v3, 0
	v_lshlrev_b64 v[2:3], 3, v[2:3]
	s_waitcnt lgkmcnt(0)
	v_mov_b32_e32 v1, s1
	v_add_co_u32_e32 v2, vcc, s0, v2
	v_addc_co_u32_e32 v3, vcc, v1, v3, vcc
	global_load_dwordx2 v[4:5], v[2:3], off
	v_mbcnt_lo_u32_b32 v1, -1, 0
	v_mbcnt_hi_u32_b32 v7, -1, v1
	v_and_b32_e32 v1, 15, v7
	v_and_b32_e32 v9, 16, v7
	v_cmp_ne_u32_e64 s[0:1], 0, v7
	s_waitcnt vmcnt(0)
	v_mov_b32_dpp v6, v4 row_shr:1 row_mask:0xf bank_mask:0xf
	v_add_co_u32_e32 v6, vcc, v4, v6
	v_addc_co_u32_e32 v10, vcc, 0, v5, vcc
	v_mov_b32_dpp v8, v5 row_shr:1 row_mask:0xf bank_mask:0xf
	v_add_co_u32_e32 v11, vcc, 0, v6
	v_addc_co_u32_e32 v8, vcc, v8, v10, vcc
	v_cmp_eq_u32_e32 vcc, 0, v1
	v_cndmask_b32_e32 v6, v6, v4, vcc
	v_cndmask_b32_e32 v8, v8, v5, vcc
	v_cndmask_b32_e32 v10, v11, v4, vcc
	v_mov_b32_dpp v11, v6 row_shr:2 row_mask:0xf bank_mask:0xf
	v_mov_b32_dpp v12, v8 row_shr:2 row_mask:0xf bank_mask:0xf
	v_add_co_u32_e32 v11, vcc, v11, v10
	v_addc_co_u32_e32 v12, vcc, v12, v8, vcc
	v_cmp_lt_u32_e32 vcc, 1, v1
	v_cndmask_b32_e32 v6, v6, v11, vcc
	v_cndmask_b32_e32 v8, v8, v12, vcc
	v_cndmask_b32_e32 v10, v10, v11, vcc
	v_mov_b32_dpp v11, v6 row_shr:4 row_mask:0xf bank_mask:0xf
	v_mov_b32_dpp v12, v8 row_shr:4 row_mask:0xf bank_mask:0xf
	v_add_co_u32_e32 v11, vcc, v11, v10
	v_addc_co_u32_e32 v12, vcc, v12, v8, vcc
	v_cmp_lt_u32_e32 vcc, 3, v1
	;; [unrolled: 8-line block ×3, first 2 shown]
	v_cndmask_b32_e32 v13, v6, v11, vcc
	v_cndmask_b32_e32 v1, v8, v12, vcc
	;; [unrolled: 1-line block ×3, first 2 shown]
	v_mov_b32_dpp v8, v13 row_bcast:15 row_mask:0xf bank_mask:0xf
	v_mov_b32_dpp v10, v1 row_bcast:15 row_mask:0xf bank_mask:0xf
	v_add_co_u32_e32 v8, vcc, v8, v6
	v_addc_co_u32_e32 v10, vcc, v10, v1, vcc
	v_cmp_eq_u32_e32 vcc, 0, v9
	v_cndmask_b32_e32 v11, v10, v1, vcc
	v_cndmask_b32_e32 v9, v8, v13, vcc
	s_nop 0
	v_mov_b32_dpp v11, v11 row_bcast:31 row_mask:0xf bank_mask:0xf
	v_mov_b32_dpp v9, v9 row_bcast:31 row_mask:0xf bank_mask:0xf
	s_and_saveexec_b64 s[4:5], s[0:1]
; %bb.1:
	v_cndmask_b32_e32 v1, v10, v1, vcc
	v_cndmask_b32_e32 v4, v8, v6, vcc
	v_cmp_lt_u32_e32 vcc, 31, v7
	v_cndmask_b32_e32 v6, 0, v9, vcc
	v_cndmask_b32_e32 v5, 0, v11, vcc
	v_add_co_u32_e32 v4, vcc, v6, v4
	v_addc_co_u32_e32 v5, vcc, v5, v1, vcc
; %bb.2:
	s_or_b64 exec, exec, s[4:5]
	v_cmp_eq_u32_e32 vcc, 36, v0
	s_and_saveexec_b64 s[0:1], vcc
	s_cbranch_execz .LBB124_4
; %bb.3:
	v_mov_b32_e32 v1, 0
	ds_write_b64 v1, v[4:5]
.LBB124_4:
	s_or_b64 exec, exec, s[0:1]
	v_add_u32_e32 v1, -1, v7
	v_and_b32_e32 v6, 64, v7
	v_cmp_lt_i32_e32 vcc, v1, v6
	v_cndmask_b32_e32 v1, v1, v7, vcc
	v_lshlrev_b32_e32 v6, 2, v1
	ds_bpermute_b32 v1, v6, v4
	ds_bpermute_b32 v6, v6, v5
	v_cmp_gt_u32_e32 vcc, 64, v0
	v_pk_mov_b32 v[4:5], s[8:9], s[8:9] op_sel:[0,1]
	s_waitcnt lgkmcnt(0)
	; wave barrier
	s_waitcnt lgkmcnt(0)
	s_and_saveexec_b64 s[0:1], vcc
	s_cbranch_execz .LBB124_8
; %bb.5:
	v_mov_b32_e32 v7, 0
	ds_read_b64 v[4:5], v7
	v_mov_b32_e32 v8, s9
	s_waitcnt lgkmcnt(0)
	v_add_co_u32_e32 v4, vcc, s8, v4
	v_addc_co_u32_e32 v5, vcc, v5, v8, vcc
	v_cmp_eq_u32_e32 vcc, 0, v0
	s_and_saveexec_b64 s[4:5], vcc
	s_cbranch_execz .LBB124_7
; %bb.6:
	v_pk_mov_b32 v[8:9], s[8:9], s[8:9] op_sel:[0,1]
	ds_write_b64 v7, v[8:9]
.LBB124_7:
	s_or_b64 exec, exec, s[4:5]
.LBB124_8:
	s_or_b64 exec, exec, s[0:1]
	v_mov_b32_e32 v7, 0
	s_waitcnt lgkmcnt(0)
	; wave barrier
	s_waitcnt lgkmcnt(0)
	ds_read_b64 v[8:9], v7
	v_cmp_eq_u32_e32 vcc, 0, v0
	v_cndmask_b32_e64 v0, v1, 0, vcc
	v_cndmask_b32_e64 v6, v6, 0, vcc
	s_mov_b32 s7, 0
	s_waitcnt lgkmcnt(0)
	v_add_co_u32_e64 v0, s[0:1], v8, v0
	v_addc_co_u32_e64 v1, s[0:1], v9, v6, s[0:1]
	global_store_dwordx2 v[2:3], v[0:1], off
	s_and_saveexec_b64 s[0:1], vcc
	s_cbranch_execz .LBB124_10
; %bb.9:
	s_lshl_b64 s[0:1], s[6:7], 3
	s_add_u32 s0, s2, s0
	s_addc_u32 s1, s3, s1
	global_store_dwordx2 v7, v[4:5], s[0:1]
.LBB124_10:
	s_endpgm
	.section	.rodata,"a",@progbits
	.p2align	6, 0x0
	.amdhsa_kernel _Z37exclusive_scan_prefix_callback_kernelILj37ELN6hipcub18BlockScanAlgorithmE1ElEvPT1_S3_S2_
		.amdhsa_group_segment_fixed_size 8
		.amdhsa_private_segment_fixed_size 0
		.amdhsa_kernarg_size 24
		.amdhsa_user_sgpr_count 6
		.amdhsa_user_sgpr_private_segment_buffer 1
		.amdhsa_user_sgpr_dispatch_ptr 0
		.amdhsa_user_sgpr_queue_ptr 0
		.amdhsa_user_sgpr_kernarg_segment_ptr 1
		.amdhsa_user_sgpr_dispatch_id 0
		.amdhsa_user_sgpr_flat_scratch_init 0
		.amdhsa_user_sgpr_kernarg_preload_length 0
		.amdhsa_user_sgpr_kernarg_preload_offset 0
		.amdhsa_user_sgpr_private_segment_size 0
		.amdhsa_uses_dynamic_stack 0
		.amdhsa_system_sgpr_private_segment_wavefront_offset 0
		.amdhsa_system_sgpr_workgroup_id_x 1
		.amdhsa_system_sgpr_workgroup_id_y 0
		.amdhsa_system_sgpr_workgroup_id_z 0
		.amdhsa_system_sgpr_workgroup_info 0
		.amdhsa_system_vgpr_workitem_id 0
		.amdhsa_next_free_vgpr 14
		.amdhsa_next_free_sgpr 10
		.amdhsa_accum_offset 16
		.amdhsa_reserve_vcc 1
		.amdhsa_reserve_flat_scratch 0
		.amdhsa_float_round_mode_32 0
		.amdhsa_float_round_mode_16_64 0
		.amdhsa_float_denorm_mode_32 3
		.amdhsa_float_denorm_mode_16_64 3
		.amdhsa_dx10_clamp 1
		.amdhsa_ieee_mode 1
		.amdhsa_fp16_overflow 0
		.amdhsa_tg_split 0
		.amdhsa_exception_fp_ieee_invalid_op 0
		.amdhsa_exception_fp_denorm_src 0
		.amdhsa_exception_fp_ieee_div_zero 0
		.amdhsa_exception_fp_ieee_overflow 0
		.amdhsa_exception_fp_ieee_underflow 0
		.amdhsa_exception_fp_ieee_inexact 0
		.amdhsa_exception_int_div_zero 0
	.end_amdhsa_kernel
	.section	.text._Z37exclusive_scan_prefix_callback_kernelILj37ELN6hipcub18BlockScanAlgorithmE1ElEvPT1_S3_S2_,"axG",@progbits,_Z37exclusive_scan_prefix_callback_kernelILj37ELN6hipcub18BlockScanAlgorithmE1ElEvPT1_S3_S2_,comdat
.Lfunc_end124:
	.size	_Z37exclusive_scan_prefix_callback_kernelILj37ELN6hipcub18BlockScanAlgorithmE1ElEvPT1_S3_S2_, .Lfunc_end124-_Z37exclusive_scan_prefix_callback_kernelILj37ELN6hipcub18BlockScanAlgorithmE1ElEvPT1_S3_S2_
                                        ; -- End function
	.section	.AMDGPU.csdata,"",@progbits
; Kernel info:
; codeLenInByte = 616
; NumSgprs: 14
; NumVgprs: 14
; NumAgprs: 0
; TotalNumVgprs: 14
; ScratchSize: 0
; MemoryBound: 0
; FloatMode: 240
; IeeeMode: 1
; LDSByteSize: 8 bytes/workgroup (compile time only)
; SGPRBlocks: 1
; VGPRBlocks: 1
; NumSGPRsForWavesPerEU: 14
; NumVGPRsForWavesPerEU: 14
; AccumOffset: 16
; Occupancy: 8
; WaveLimiterHint : 0
; COMPUTE_PGM_RSRC2:SCRATCH_EN: 0
; COMPUTE_PGM_RSRC2:USER_SGPR: 6
; COMPUTE_PGM_RSRC2:TRAP_HANDLER: 0
; COMPUTE_PGM_RSRC2:TGID_X_EN: 1
; COMPUTE_PGM_RSRC2:TGID_Y_EN: 0
; COMPUTE_PGM_RSRC2:TGID_Z_EN: 0
; COMPUTE_PGM_RSRC2:TIDIG_COMP_CNT: 0
; COMPUTE_PGM_RSRC3_GFX90A:ACCUM_OFFSET: 3
; COMPUTE_PGM_RSRC3_GFX90A:TG_SPLIT: 0
	.section	.text._Z37exclusive_scan_prefix_callback_kernelILj65ELN6hipcub18BlockScanAlgorithmE1EmEvPT1_S3_S2_,"axG",@progbits,_Z37exclusive_scan_prefix_callback_kernelILj65ELN6hipcub18BlockScanAlgorithmE1EmEvPT1_S3_S2_,comdat
	.protected	_Z37exclusive_scan_prefix_callback_kernelILj65ELN6hipcub18BlockScanAlgorithmE1EmEvPT1_S3_S2_ ; -- Begin function _Z37exclusive_scan_prefix_callback_kernelILj65ELN6hipcub18BlockScanAlgorithmE1EmEvPT1_S3_S2_
	.globl	_Z37exclusive_scan_prefix_callback_kernelILj65ELN6hipcub18BlockScanAlgorithmE1EmEvPT1_S3_S2_
	.p2align	8
	.type	_Z37exclusive_scan_prefix_callback_kernelILj65ELN6hipcub18BlockScanAlgorithmE1EmEvPT1_S3_S2_,@function
_Z37exclusive_scan_prefix_callback_kernelILj65ELN6hipcub18BlockScanAlgorithmE1EmEvPT1_S3_S2_: ; @_Z37exclusive_scan_prefix_callback_kernelILj65ELN6hipcub18BlockScanAlgorithmE1EmEvPT1_S3_S2_
; %bb.0:
	s_load_dwordx4 s[8:11], s[4:5], 0x0
	s_load_dwordx2 s[12:13], s[4:5], 0x10
	s_mul_i32 s0, s6, 0x41
	v_add_u32_e32 v2, s0, v0
	v_mov_b32_e32 v3, 0
	v_lshlrev_b64 v[2:3], 3, v[2:3]
	s_waitcnt lgkmcnt(0)
	v_mov_b32_e32 v1, s9
	v_add_co_u32_e32 v2, vcc, s8, v2
	v_addc_co_u32_e32 v3, vcc, v1, v3, vcc
	global_load_dwordx2 v[4:5], v[2:3], off
	v_lshrrev_b32_e32 v1, 5, v0
	v_add_lshl_u32 v1, v1, v0, 3
	v_cmp_gt_u32_e32 vcc, 64, v0
	s_waitcnt vmcnt(0)
	ds_write_b64 v1, v[4:5]
	s_waitcnt lgkmcnt(0)
	s_barrier
	s_and_saveexec_b64 s[4:5], vcc
	s_cbranch_execz .LBB125_2
; %bb.1:
	v_lshlrev_b32_e32 v1, 1, v0
	v_lshrrev_b32_e32 v6, 4, v0
	v_add_lshl_u32 v1, v6, v1, 3
	ds_read2_b64 v[6:9], v1 offset1:1
	v_mbcnt_lo_u32_b32 v12, -1, 0
	v_mbcnt_hi_u32_b32 v12, -1, v12
	v_and_b32_e32 v13, 15, v12
	s_waitcnt lgkmcnt(0)
	v_add_co_u32_e64 v10, s[0:1], v8, v6
	v_addc_co_u32_e64 v11, s[0:1], v9, v7, s[0:1]
	s_nop 0
	v_mov_b32_dpp v14, v10 row_shr:1 row_mask:0xf bank_mask:0xf
	v_add_co_u32_e64 v14, s[0:1], v10, v14
	v_addc_co_u32_e64 v16, s[0:1], 0, v11, s[0:1]
	v_mov_b32_dpp v15, v11 row_shr:1 row_mask:0xf bank_mask:0xf
	v_add_co_u32_e64 v17, s[0:1], 0, v14
	v_addc_co_u32_e64 v15, s[0:1], v15, v16, s[0:1]
	v_cmp_eq_u32_e64 s[0:1], 0, v13
	v_cndmask_b32_e64 v14, v14, v10, s[0:1]
	v_cndmask_b32_e64 v11, v15, v11, s[0:1]
	v_cndmask_b32_e64 v10, v17, v10, s[0:1]
	v_mov_b32_dpp v15, v14 row_shr:2 row_mask:0xf bank_mask:0xf
	v_add_co_u32_e64 v15, s[0:1], v10, v15
	v_addc_co_u32_e64 v17, s[0:1], 0, v11, s[0:1]
	v_mov_b32_dpp v16, v11 row_shr:2 row_mask:0xf bank_mask:0xf
	v_add_co_u32_e64 v18, s[0:1], 0, v15
	v_addc_co_u32_e64 v16, s[0:1], v17, v16, s[0:1]
	v_cmp_lt_u32_e64 s[0:1], 1, v13
	v_cndmask_b32_e64 v14, v14, v15, s[0:1]
	v_cndmask_b32_e64 v10, v10, v18, s[0:1]
	v_cndmask_b32_e64 v11, v11, v16, s[0:1]
	v_mov_b32_dpp v15, v14 row_shr:4 row_mask:0xf bank_mask:0xf
	v_add_co_u32_e64 v15, s[0:1], v10, v15
	v_addc_co_u32_e64 v17, s[0:1], 0, v11, s[0:1]
	v_mov_b32_dpp v16, v11 row_shr:4 row_mask:0xf bank_mask:0xf
	v_add_co_u32_e64 v18, s[0:1], 0, v15
	v_addc_co_u32_e64 v16, s[0:1], v17, v16, s[0:1]
	v_cmp_lt_u32_e64 s[0:1], 3, v13
	;; [unrolled: 10-line block ×3, first 2 shown]
	v_cndmask_b32_e64 v13, v14, v15, s[0:1]
	v_cndmask_b32_e64 v10, v10, v18, s[0:1]
	;; [unrolled: 1-line block ×3, first 2 shown]
	v_mov_b32_dpp v14, v13 row_bcast:15 row_mask:0xf bank_mask:0xf
	v_add_co_u32_e64 v14, s[0:1], v10, v14
	v_addc_co_u32_e64 v17, s[0:1], 0, v11, s[0:1]
	v_mov_b32_dpp v15, v11 row_bcast:15 row_mask:0xf bank_mask:0xf
	v_add_co_u32_e64 v18, s[0:1], 0, v14
	v_and_b32_e32 v16, 16, v12
	v_addc_co_u32_e64 v15, s[0:1], v17, v15, s[0:1]
	v_cmp_eq_u32_e64 s[0:1], 0, v16
	v_cndmask_b32_e64 v13, v14, v13, s[0:1]
	v_cndmask_b32_e64 v10, v18, v10, s[0:1]
	;; [unrolled: 1-line block ×3, first 2 shown]
	v_mov_b32_dpp v14, v13 row_bcast:31 row_mask:0xf bank_mask:0xf
	v_add_co_u32_e64 v10, s[0:1], v10, v14
	v_addc_co_u32_e64 v14, s[0:1], 0, v11, s[0:1]
	v_cmp_lt_u32_e64 s[0:1], 31, v12
	v_cndmask_b32_e64 v10, v13, v10, s[0:1]
	v_add_u32_e32 v13, -1, v12
	v_and_b32_e32 v16, 64, v12
	v_cmp_lt_i32_e64 s[2:3], v13, v16
	v_cndmask_b32_e64 v12, v13, v12, s[2:3]
	v_lshlrev_b32_e32 v12, 2, v12
	v_mov_b32_dpp v15, v11 row_bcast:31 row_mask:0xf bank_mask:0xf
	ds_bpermute_b32 v10, v12, v10
	v_add_u32_e32 v13, v15, v14
	v_cndmask_b32_e64 v11, v11, v13, s[0:1]
	ds_bpermute_b32 v11, v12, v11
	s_waitcnt lgkmcnt(1)
	v_add_co_u32_e64 v6, s[0:1], v6, v10
	v_addc_co_u32_e64 v7, s[0:1], 0, v7, s[0:1]
	v_add_co_u32_e64 v6, s[0:1], 0, v6
	s_waitcnt lgkmcnt(0)
	v_addc_co_u32_e64 v7, s[0:1], v7, v11, s[0:1]
	v_cmp_eq_u32_e64 s[0:1], 0, v0
	v_cndmask_b32_e64 v4, v6, v4, s[0:1]
	v_cndmask_b32_e64 v5, v7, v5, s[0:1]
	v_add_co_u32_e64 v6, s[0:1], v4, v8
	v_addc_co_u32_e64 v7, s[0:1], v5, v9, s[0:1]
	ds_write2_b64 v1, v[4:5], v[6:7] offset1:1
.LBB125_2:
	s_or_b64 exec, exec, s[4:5]
	v_cmp_eq_u32_e64 s[0:1], 0, v0
	v_cmp_ne_u32_e64 s[2:3], 0, v0
	v_pk_mov_b32 v[4:5], 0, 0
	s_waitcnt lgkmcnt(0)
	s_barrier
	s_and_saveexec_b64 s[4:5], s[2:3]
	s_cbranch_execz .LBB125_4
; %bb.3:
	v_add_u32_e32 v0, -1, v0
	v_lshrrev_b32_e32 v1, 5, v0
	v_add_lshl_u32 v0, v1, v0, 3
	ds_read_b64 v[4:5], v0
.LBB125_4:
	s_or_b64 exec, exec, s[4:5]
	v_pk_mov_b32 v[0:1], s[12:13], s[12:13] op_sel:[0,1]
	s_and_saveexec_b64 s[2:3], vcc
	s_cbranch_execz .LBB125_8
; %bb.5:
	v_mov_b32_e32 v6, 0
	ds_read_b64 v[0:1], v6 offset:528
	v_mov_b32_e32 v7, s13
	s_waitcnt lgkmcnt(0)
	v_add_co_u32_e32 v0, vcc, s12, v0
	v_addc_co_u32_e32 v1, vcc, v1, v7, vcc
	s_and_saveexec_b64 s[4:5], s[0:1]
	s_cbranch_execz .LBB125_7
; %bb.6:
	v_pk_mov_b32 v[8:9], s[12:13], s[12:13] op_sel:[0,1]
	ds_write_b64 v6, v[8:9]
.LBB125_7:
	s_or_b64 exec, exec, s[4:5]
.LBB125_8:
	s_or_b64 exec, exec, s[2:3]
	v_mov_b32_e32 v6, 0
	s_waitcnt lgkmcnt(0)
	s_barrier
	ds_read_b64 v[8:9], v6
	s_waitcnt lgkmcnt(0)
	v_add_co_u32_e32 v4, vcc, v8, v4
	v_addc_co_u32_e32 v5, vcc, v9, v5, vcc
	global_store_dwordx2 v[2:3], v[4:5], off
	s_and_saveexec_b64 s[2:3], s[0:1]
	s_cbranch_execz .LBB125_10
; %bb.9:
	s_mov_b32 s7, 0
	s_lshl_b64 s[0:1], s[6:7], 3
	s_add_u32 s0, s10, s0
	s_addc_u32 s1, s11, s1
	global_store_dwordx2 v6, v[0:1], s[0:1]
.LBB125_10:
	s_endpgm
	.section	.rodata,"a",@progbits
	.p2align	6, 0x0
	.amdhsa_kernel _Z37exclusive_scan_prefix_callback_kernelILj65ELN6hipcub18BlockScanAlgorithmE1EmEvPT1_S3_S2_
		.amdhsa_group_segment_fixed_size 1056
		.amdhsa_private_segment_fixed_size 0
		.amdhsa_kernarg_size 24
		.amdhsa_user_sgpr_count 6
		.amdhsa_user_sgpr_private_segment_buffer 1
		.amdhsa_user_sgpr_dispatch_ptr 0
		.amdhsa_user_sgpr_queue_ptr 0
		.amdhsa_user_sgpr_kernarg_segment_ptr 1
		.amdhsa_user_sgpr_dispatch_id 0
		.amdhsa_user_sgpr_flat_scratch_init 0
		.amdhsa_user_sgpr_kernarg_preload_length 0
		.amdhsa_user_sgpr_kernarg_preload_offset 0
		.amdhsa_user_sgpr_private_segment_size 0
		.amdhsa_uses_dynamic_stack 0
		.amdhsa_system_sgpr_private_segment_wavefront_offset 0
		.amdhsa_system_sgpr_workgroup_id_x 1
		.amdhsa_system_sgpr_workgroup_id_y 0
		.amdhsa_system_sgpr_workgroup_id_z 0
		.amdhsa_system_sgpr_workgroup_info 0
		.amdhsa_system_vgpr_workitem_id 0
		.amdhsa_next_free_vgpr 19
		.amdhsa_next_free_sgpr 14
		.amdhsa_accum_offset 20
		.amdhsa_reserve_vcc 1
		.amdhsa_reserve_flat_scratch 0
		.amdhsa_float_round_mode_32 0
		.amdhsa_float_round_mode_16_64 0
		.amdhsa_float_denorm_mode_32 3
		.amdhsa_float_denorm_mode_16_64 3
		.amdhsa_dx10_clamp 1
		.amdhsa_ieee_mode 1
		.amdhsa_fp16_overflow 0
		.amdhsa_tg_split 0
		.amdhsa_exception_fp_ieee_invalid_op 0
		.amdhsa_exception_fp_denorm_src 0
		.amdhsa_exception_fp_ieee_div_zero 0
		.amdhsa_exception_fp_ieee_overflow 0
		.amdhsa_exception_fp_ieee_underflow 0
		.amdhsa_exception_fp_ieee_inexact 0
		.amdhsa_exception_int_div_zero 0
	.end_amdhsa_kernel
	.section	.text._Z37exclusive_scan_prefix_callback_kernelILj65ELN6hipcub18BlockScanAlgorithmE1EmEvPT1_S3_S2_,"axG",@progbits,_Z37exclusive_scan_prefix_callback_kernelILj65ELN6hipcub18BlockScanAlgorithmE1EmEvPT1_S3_S2_,comdat
.Lfunc_end125:
	.size	_Z37exclusive_scan_prefix_callback_kernelILj65ELN6hipcub18BlockScanAlgorithmE1EmEvPT1_S3_S2_, .Lfunc_end125-_Z37exclusive_scan_prefix_callback_kernelILj65ELN6hipcub18BlockScanAlgorithmE1EmEvPT1_S3_S2_
                                        ; -- End function
	.section	.AMDGPU.csdata,"",@progbits
; Kernel info:
; codeLenInByte = 996
; NumSgprs: 18
; NumVgprs: 19
; NumAgprs: 0
; TotalNumVgprs: 19
; ScratchSize: 0
; MemoryBound: 0
; FloatMode: 240
; IeeeMode: 1
; LDSByteSize: 1056 bytes/workgroup (compile time only)
; SGPRBlocks: 2
; VGPRBlocks: 2
; NumSGPRsForWavesPerEU: 18
; NumVGPRsForWavesPerEU: 19
; AccumOffset: 20
; Occupancy: 8
; WaveLimiterHint : 0
; COMPUTE_PGM_RSRC2:SCRATCH_EN: 0
; COMPUTE_PGM_RSRC2:USER_SGPR: 6
; COMPUTE_PGM_RSRC2:TRAP_HANDLER: 0
; COMPUTE_PGM_RSRC2:TGID_X_EN: 1
; COMPUTE_PGM_RSRC2:TGID_Y_EN: 0
; COMPUTE_PGM_RSRC2:TGID_Z_EN: 0
; COMPUTE_PGM_RSRC2:TIDIG_COMP_CNT: 0
; COMPUTE_PGM_RSRC3_GFX90A:ACCUM_OFFSET: 4
; COMPUTE_PGM_RSRC3_GFX90A:TG_SPLIT: 0
	.section	.text._Z37exclusive_scan_prefix_callback_kernelILj512ELN6hipcub18BlockScanAlgorithmE1EiEvPT1_S3_S2_,"axG",@progbits,_Z37exclusive_scan_prefix_callback_kernelILj512ELN6hipcub18BlockScanAlgorithmE1EiEvPT1_S3_S2_,comdat
	.protected	_Z37exclusive_scan_prefix_callback_kernelILj512ELN6hipcub18BlockScanAlgorithmE1EiEvPT1_S3_S2_ ; -- Begin function _Z37exclusive_scan_prefix_callback_kernelILj512ELN6hipcub18BlockScanAlgorithmE1EiEvPT1_S3_S2_
	.globl	_Z37exclusive_scan_prefix_callback_kernelILj512ELN6hipcub18BlockScanAlgorithmE1EiEvPT1_S3_S2_
	.p2align	8
	.type	_Z37exclusive_scan_prefix_callback_kernelILj512ELN6hipcub18BlockScanAlgorithmE1EiEvPT1_S3_S2_,@function
_Z37exclusive_scan_prefix_callback_kernelILj512ELN6hipcub18BlockScanAlgorithmE1EiEvPT1_S3_S2_: ; @_Z37exclusive_scan_prefix_callback_kernelILj512ELN6hipcub18BlockScanAlgorithmE1EiEvPT1_S3_S2_
; %bb.0:
	s_load_dwordx4 s[8:11], s[4:5], 0x0
	v_lshl_or_b32 v2, s6, 9, v0
	v_mov_b32_e32 v3, 0
	v_lshlrev_b64 v[4:5], 2, v[2:3]
	v_lshrrev_b32_e32 v2, 5, v0
	s_waitcnt lgkmcnt(0)
	v_mov_b32_e32 v1, s9
	v_add_co_u32_e32 v4, vcc, s8, v4
	v_addc_co_u32_e32 v5, vcc, v1, v5, vcc
	global_load_dword v1, v[4:5], off
	v_add_lshl_u32 v2, v2, v0, 2
	v_cmp_gt_u32_e32 vcc, 64, v0
	s_waitcnt vmcnt(0)
	ds_write_b32 v2, v1
	s_waitcnt lgkmcnt(0)
	s_barrier
	s_and_saveexec_b64 s[2:3], vcc
	s_cbranch_execz .LBB126_2
; %bb.1:
	v_lshlrev_b32_e32 v2, 3, v0
	v_lshrrev_b32_e32 v6, 2, v0
	v_add_lshl_u32 v2, v6, v2, 2
	ds_read2_b32 v[6:7], v2 offset1:1
	ds_read2_b32 v[8:9], v2 offset0:2 offset1:3
	ds_read2_b32 v[10:11], v2 offset0:4 offset1:5
	ds_read2_b32 v[12:13], v2 offset0:6 offset1:7
	v_mbcnt_lo_u32_b32 v15, -1, 0
	s_waitcnt lgkmcnt(3)
	v_add_u32_e32 v14, v7, v6
	s_waitcnt lgkmcnt(2)
	v_add3_u32 v14, v14, v8, v9
	s_waitcnt lgkmcnt(1)
	v_add3_u32 v14, v14, v10, v11
	v_mbcnt_hi_u32_b32 v15, -1, v15
	s_waitcnt lgkmcnt(0)
	v_add3_u32 v14, v14, v12, v13
	v_and_b32_e32 v16, 15, v15
	v_cmp_ne_u32_e64 s[0:1], 0, v16
	v_mov_b32_dpp v17, v14 row_shr:1 row_mask:0xf bank_mask:0xf
	v_cndmask_b32_e64 v17, 0, v17, s[0:1]
	v_add_u32_e32 v14, v17, v14
	v_cmp_lt_u32_e64 s[0:1], 1, v16
	s_nop 0
	v_mov_b32_dpp v17, v14 row_shr:2 row_mask:0xf bank_mask:0xf
	v_cndmask_b32_e64 v17, 0, v17, s[0:1]
	v_add_u32_e32 v14, v14, v17
	v_cmp_lt_u32_e64 s[0:1], 3, v16
	s_nop 0
	v_mov_b32_dpp v17, v14 row_shr:4 row_mask:0xf bank_mask:0xf
	v_cndmask_b32_e64 v17, 0, v17, s[0:1]
	v_add_u32_e32 v14, v14, v17
	v_cmp_lt_u32_e64 s[0:1], 7, v16
	s_nop 0
	v_mov_b32_dpp v17, v14 row_shr:8 row_mask:0xf bank_mask:0xf
	v_cndmask_b32_e64 v16, 0, v17, s[0:1]
	v_add_u32_e32 v14, v14, v16
	v_bfe_i32 v17, v15, 4, 1
	v_cmp_lt_u32_e64 s[0:1], 31, v15
	v_mov_b32_dpp v16, v14 row_bcast:15 row_mask:0xf bank_mask:0xf
	v_and_b32_e32 v16, v17, v16
	v_add_u32_e32 v14, v14, v16
	v_and_b32_e32 v17, 64, v15
	s_nop 0
	v_mov_b32_dpp v16, v14 row_bcast:31 row_mask:0xf bank_mask:0xf
	v_cndmask_b32_e64 v16, 0, v16, s[0:1]
	v_add_u32_e32 v14, v14, v16
	v_add_u32_e32 v16, -1, v15
	v_cmp_lt_i32_e64 s[0:1], v16, v17
	v_cndmask_b32_e64 v15, v16, v15, s[0:1]
	v_lshlrev_b32_e32 v15, 2, v15
	ds_bpermute_b32 v14, v15, v14
	v_cmp_eq_u32_e64 s[0:1], 0, v0
	s_waitcnt lgkmcnt(0)
	v_add_u32_e32 v6, v14, v6
	v_cndmask_b32_e64 v1, v6, v1, s[0:1]
	v_add_u32_e32 v6, v1, v7
	ds_write2_b32 v2, v1, v6 offset1:1
	v_add_u32_e32 v1, v6, v8
	v_add_u32_e32 v6, v1, v9
	ds_write2_b32 v2, v1, v6 offset0:2 offset1:3
	v_add_u32_e32 v1, v6, v10
	v_add_u32_e32 v6, v1, v11
	ds_write2_b32 v2, v1, v6 offset0:4 offset1:5
	;; [unrolled: 3-line block ×3, first 2 shown]
.LBB126_2:
	s_or_b64 exec, exec, s[2:3]
	v_cmp_eq_u32_e64 s[0:1], 0, v0
	v_cmp_ne_u32_e64 s[2:3], 0, v0
	s_waitcnt lgkmcnt(0)
	s_barrier
	s_and_saveexec_b64 s[8:9], s[2:3]
	s_cbranch_execz .LBB126_4
; %bb.3:
	v_add_u32_e32 v0, -1, v0
	v_lshrrev_b32_e32 v1, 5, v0
	v_add_lshl_u32 v0, v1, v0, 2
	ds_read_b32 v3, v0
.LBB126_4:
	s_or_b64 exec, exec, s[8:9]
	s_load_dword s7, s[4:5], 0x10
	s_waitcnt lgkmcnt(0)
	v_mov_b32_e32 v0, s7
	s_and_saveexec_b64 s[2:3], vcc
	s_cbranch_execz .LBB126_8
; %bb.5:
	v_mov_b32_e32 v1, 0
	ds_read_b32 v0, v1 offset:2104
	s_and_saveexec_b64 s[4:5], s[0:1]
	s_cbranch_execz .LBB126_7
; %bb.6:
	v_mov_b32_e32 v2, s7
	ds_write_b32 v1, v2
.LBB126_7:
	s_or_b64 exec, exec, s[4:5]
	s_waitcnt lgkmcnt(0)
	v_add_u32_e32 v0, s7, v0
.LBB126_8:
	s_or_b64 exec, exec, s[2:3]
	v_mov_b32_e32 v1, 0
	s_barrier
	ds_read_b32 v2, v1
	s_waitcnt lgkmcnt(0)
	v_add_u32_e32 v2, v2, v3
	global_store_dword v[4:5], v2, off
	s_and_saveexec_b64 s[2:3], s[0:1]
	s_cbranch_execz .LBB126_10
; %bb.9:
	s_mov_b32 s7, 0
	s_lshl_b64 s[0:1], s[6:7], 2
	s_add_u32 s0, s10, s0
	s_addc_u32 s1, s11, s1
	global_store_dword v1, v0, s[0:1]
.LBB126_10:
	s_endpgm
	.section	.rodata,"a",@progbits
	.p2align	6, 0x0
	.amdhsa_kernel _Z37exclusive_scan_prefix_callback_kernelILj512ELN6hipcub18BlockScanAlgorithmE1EiEvPT1_S3_S2_
		.amdhsa_group_segment_fixed_size 2112
		.amdhsa_private_segment_fixed_size 0
		.amdhsa_kernarg_size 20
		.amdhsa_user_sgpr_count 6
		.amdhsa_user_sgpr_private_segment_buffer 1
		.amdhsa_user_sgpr_dispatch_ptr 0
		.amdhsa_user_sgpr_queue_ptr 0
		.amdhsa_user_sgpr_kernarg_segment_ptr 1
		.amdhsa_user_sgpr_dispatch_id 0
		.amdhsa_user_sgpr_flat_scratch_init 0
		.amdhsa_user_sgpr_kernarg_preload_length 0
		.amdhsa_user_sgpr_kernarg_preload_offset 0
		.amdhsa_user_sgpr_private_segment_size 0
		.amdhsa_uses_dynamic_stack 0
		.amdhsa_system_sgpr_private_segment_wavefront_offset 0
		.amdhsa_system_sgpr_workgroup_id_x 1
		.amdhsa_system_sgpr_workgroup_id_y 0
		.amdhsa_system_sgpr_workgroup_id_z 0
		.amdhsa_system_sgpr_workgroup_info 0
		.amdhsa_system_vgpr_workitem_id 0
		.amdhsa_next_free_vgpr 18
		.amdhsa_next_free_sgpr 12
		.amdhsa_accum_offset 20
		.amdhsa_reserve_vcc 1
		.amdhsa_reserve_flat_scratch 0
		.amdhsa_float_round_mode_32 0
		.amdhsa_float_round_mode_16_64 0
		.amdhsa_float_denorm_mode_32 3
		.amdhsa_float_denorm_mode_16_64 3
		.amdhsa_dx10_clamp 1
		.amdhsa_ieee_mode 1
		.amdhsa_fp16_overflow 0
		.amdhsa_tg_split 0
		.amdhsa_exception_fp_ieee_invalid_op 0
		.amdhsa_exception_fp_denorm_src 0
		.amdhsa_exception_fp_ieee_div_zero 0
		.amdhsa_exception_fp_ieee_overflow 0
		.amdhsa_exception_fp_ieee_underflow 0
		.amdhsa_exception_fp_ieee_inexact 0
		.amdhsa_exception_int_div_zero 0
	.end_amdhsa_kernel
	.section	.text._Z37exclusive_scan_prefix_callback_kernelILj512ELN6hipcub18BlockScanAlgorithmE1EiEvPT1_S3_S2_,"axG",@progbits,_Z37exclusive_scan_prefix_callback_kernelILj512ELN6hipcub18BlockScanAlgorithmE1EiEvPT1_S3_S2_,comdat
.Lfunc_end126:
	.size	_Z37exclusive_scan_prefix_callback_kernelILj512ELN6hipcub18BlockScanAlgorithmE1EiEvPT1_S3_S2_, .Lfunc_end126-_Z37exclusive_scan_prefix_callback_kernelILj512ELN6hipcub18BlockScanAlgorithmE1EiEvPT1_S3_S2_
                                        ; -- End function
	.section	.AMDGPU.csdata,"",@progbits
; Kernel info:
; codeLenInByte = 712
; NumSgprs: 16
; NumVgprs: 18
; NumAgprs: 0
; TotalNumVgprs: 18
; ScratchSize: 0
; MemoryBound: 0
; FloatMode: 240
; IeeeMode: 1
; LDSByteSize: 2112 bytes/workgroup (compile time only)
; SGPRBlocks: 1
; VGPRBlocks: 2
; NumSGPRsForWavesPerEU: 16
; NumVGPRsForWavesPerEU: 18
; AccumOffset: 20
; Occupancy: 8
; WaveLimiterHint : 0
; COMPUTE_PGM_RSRC2:SCRATCH_EN: 0
; COMPUTE_PGM_RSRC2:USER_SGPR: 6
; COMPUTE_PGM_RSRC2:TRAP_HANDLER: 0
; COMPUTE_PGM_RSRC2:TGID_X_EN: 1
; COMPUTE_PGM_RSRC2:TGID_Y_EN: 0
; COMPUTE_PGM_RSRC2:TGID_Z_EN: 0
; COMPUTE_PGM_RSRC2:TIDIG_COMP_CNT: 0
; COMPUTE_PGM_RSRC3_GFX90A:ACCUM_OFFSET: 4
; COMPUTE_PGM_RSRC3_GFX90A:TG_SPLIT: 0
	.section	.text._Z37exclusive_scan_prefix_callback_kernelILj256ELN6hipcub18BlockScanAlgorithmE1EiEvPT1_S3_S2_,"axG",@progbits,_Z37exclusive_scan_prefix_callback_kernelILj256ELN6hipcub18BlockScanAlgorithmE1EiEvPT1_S3_S2_,comdat
	.protected	_Z37exclusive_scan_prefix_callback_kernelILj256ELN6hipcub18BlockScanAlgorithmE1EiEvPT1_S3_S2_ ; -- Begin function _Z37exclusive_scan_prefix_callback_kernelILj256ELN6hipcub18BlockScanAlgorithmE1EiEvPT1_S3_S2_
	.globl	_Z37exclusive_scan_prefix_callback_kernelILj256ELN6hipcub18BlockScanAlgorithmE1EiEvPT1_S3_S2_
	.p2align	8
	.type	_Z37exclusive_scan_prefix_callback_kernelILj256ELN6hipcub18BlockScanAlgorithmE1EiEvPT1_S3_S2_,@function
_Z37exclusive_scan_prefix_callback_kernelILj256ELN6hipcub18BlockScanAlgorithmE1EiEvPT1_S3_S2_: ; @_Z37exclusive_scan_prefix_callback_kernelILj256ELN6hipcub18BlockScanAlgorithmE1EiEvPT1_S3_S2_
; %bb.0:
	s_load_dwordx4 s[8:11], s[4:5], 0x0
	v_lshl_or_b32 v2, s6, 8, v0
	v_mov_b32_e32 v3, 0
	v_lshlrev_b64 v[4:5], 2, v[2:3]
	v_lshrrev_b32_e32 v2, 5, v0
	s_waitcnt lgkmcnt(0)
	v_mov_b32_e32 v1, s9
	v_add_co_u32_e32 v4, vcc, s8, v4
	v_addc_co_u32_e32 v5, vcc, v1, v5, vcc
	global_load_dword v1, v[4:5], off
	v_add_lshl_u32 v2, v2, v0, 2
	v_cmp_gt_u32_e32 vcc, 64, v0
	s_waitcnt vmcnt(0)
	ds_write_b32 v2, v1
	s_waitcnt lgkmcnt(0)
	s_barrier
	s_and_saveexec_b64 s[2:3], vcc
	s_cbranch_execz .LBB127_2
; %bb.1:
	v_lshlrev_b32_e32 v2, 2, v0
	v_lshrrev_b32_e32 v6, 3, v0
	v_add_lshl_u32 v2, v6, v2, 2
	ds_read2_b32 v[6:7], v2 offset1:1
	ds_read2_b32 v[8:9], v2 offset0:2 offset1:3
	v_mbcnt_lo_u32_b32 v10, -1, 0
	v_mbcnt_hi_u32_b32 v10, -1, v10
	v_and_b32_e32 v12, 15, v10
	s_waitcnt lgkmcnt(1)
	v_add_u32_e32 v11, v7, v6
	s_waitcnt lgkmcnt(0)
	v_add3_u32 v11, v11, v8, v9
	v_cmp_ne_u32_e64 s[0:1], 0, v12
	s_nop 0
	v_mov_b32_dpp v13, v11 row_shr:1 row_mask:0xf bank_mask:0xf
	v_cndmask_b32_e64 v13, 0, v13, s[0:1]
	v_add_u32_e32 v11, v13, v11
	v_cmp_lt_u32_e64 s[0:1], 1, v12
	s_nop 0
	v_mov_b32_dpp v13, v11 row_shr:2 row_mask:0xf bank_mask:0xf
	v_cndmask_b32_e64 v13, 0, v13, s[0:1]
	v_add_u32_e32 v11, v11, v13
	v_cmp_lt_u32_e64 s[0:1], 3, v12
	;; [unrolled: 5-line block ×3, first 2 shown]
	s_nop 0
	v_mov_b32_dpp v13, v11 row_shr:8 row_mask:0xf bank_mask:0xf
	v_cndmask_b32_e64 v12, 0, v13, s[0:1]
	v_add_u32_e32 v11, v11, v12
	v_bfe_i32 v13, v10, 4, 1
	v_cmp_lt_u32_e64 s[0:1], 31, v10
	v_mov_b32_dpp v12, v11 row_bcast:15 row_mask:0xf bank_mask:0xf
	v_and_b32_e32 v12, v13, v12
	v_add_u32_e32 v11, v11, v12
	v_and_b32_e32 v13, 64, v10
	s_nop 0
	v_mov_b32_dpp v12, v11 row_bcast:31 row_mask:0xf bank_mask:0xf
	v_cndmask_b32_e64 v12, 0, v12, s[0:1]
	v_add_u32_e32 v11, v11, v12
	v_add_u32_e32 v12, -1, v10
	v_cmp_lt_i32_e64 s[0:1], v12, v13
	v_cndmask_b32_e64 v10, v12, v10, s[0:1]
	v_lshlrev_b32_e32 v10, 2, v10
	ds_bpermute_b32 v10, v10, v11
	v_cmp_eq_u32_e64 s[0:1], 0, v0
	s_waitcnt lgkmcnt(0)
	v_add_u32_e32 v6, v10, v6
	v_cndmask_b32_e64 v1, v6, v1, s[0:1]
	v_add_u32_e32 v6, v1, v7
	ds_write2_b32 v2, v1, v6 offset1:1
	v_add_u32_e32 v1, v6, v8
	v_add_u32_e32 v6, v1, v9
	ds_write2_b32 v2, v1, v6 offset0:2 offset1:3
.LBB127_2:
	s_or_b64 exec, exec, s[2:3]
	v_cmp_eq_u32_e64 s[0:1], 0, v0
	v_cmp_ne_u32_e64 s[2:3], 0, v0
	s_waitcnt lgkmcnt(0)
	s_barrier
	s_and_saveexec_b64 s[8:9], s[2:3]
	s_cbranch_execz .LBB127_4
; %bb.3:
	v_add_u32_e32 v0, -1, v0
	v_lshrrev_b32_e32 v1, 5, v0
	v_add_lshl_u32 v0, v1, v0, 2
	ds_read_b32 v3, v0
.LBB127_4:
	s_or_b64 exec, exec, s[8:9]
	s_load_dword s7, s[4:5], 0x10
	s_waitcnt lgkmcnt(0)
	v_mov_b32_e32 v0, s7
	s_and_saveexec_b64 s[2:3], vcc
	s_cbranch_execz .LBB127_8
; %bb.5:
	v_mov_b32_e32 v1, 0
	ds_read_b32 v0, v1 offset:1048
	s_and_saveexec_b64 s[4:5], s[0:1]
	s_cbranch_execz .LBB127_7
; %bb.6:
	v_mov_b32_e32 v2, s7
	ds_write_b32 v1, v2
.LBB127_7:
	s_or_b64 exec, exec, s[4:5]
	s_waitcnt lgkmcnt(0)
	v_add_u32_e32 v0, s7, v0
.LBB127_8:
	s_or_b64 exec, exec, s[2:3]
	v_mov_b32_e32 v1, 0
	s_barrier
	ds_read_b32 v2, v1
	s_waitcnt lgkmcnt(0)
	v_add_u32_e32 v2, v2, v3
	global_store_dword v[4:5], v2, off
	s_and_saveexec_b64 s[2:3], s[0:1]
	s_cbranch_execz .LBB127_10
; %bb.9:
	s_mov_b32 s7, 0
	s_lshl_b64 s[0:1], s[6:7], 2
	s_add_u32 s0, s10, s0
	s_addc_u32 s1, s11, s1
	global_store_dword v1, v0, s[0:1]
.LBB127_10:
	s_endpgm
	.section	.rodata,"a",@progbits
	.p2align	6, 0x0
	.amdhsa_kernel _Z37exclusive_scan_prefix_callback_kernelILj256ELN6hipcub18BlockScanAlgorithmE1EiEvPT1_S3_S2_
		.amdhsa_group_segment_fixed_size 1056
		.amdhsa_private_segment_fixed_size 0
		.amdhsa_kernarg_size 20
		.amdhsa_user_sgpr_count 6
		.amdhsa_user_sgpr_private_segment_buffer 1
		.amdhsa_user_sgpr_dispatch_ptr 0
		.amdhsa_user_sgpr_queue_ptr 0
		.amdhsa_user_sgpr_kernarg_segment_ptr 1
		.amdhsa_user_sgpr_dispatch_id 0
		.amdhsa_user_sgpr_flat_scratch_init 0
		.amdhsa_user_sgpr_kernarg_preload_length 0
		.amdhsa_user_sgpr_kernarg_preload_offset 0
		.amdhsa_user_sgpr_private_segment_size 0
		.amdhsa_uses_dynamic_stack 0
		.amdhsa_system_sgpr_private_segment_wavefront_offset 0
		.amdhsa_system_sgpr_workgroup_id_x 1
		.amdhsa_system_sgpr_workgroup_id_y 0
		.amdhsa_system_sgpr_workgroup_id_z 0
		.amdhsa_system_sgpr_workgroup_info 0
		.amdhsa_system_vgpr_workitem_id 0
		.amdhsa_next_free_vgpr 14
		.amdhsa_next_free_sgpr 12
		.amdhsa_accum_offset 16
		.amdhsa_reserve_vcc 1
		.amdhsa_reserve_flat_scratch 0
		.amdhsa_float_round_mode_32 0
		.amdhsa_float_round_mode_16_64 0
		.amdhsa_float_denorm_mode_32 3
		.amdhsa_float_denorm_mode_16_64 3
		.amdhsa_dx10_clamp 1
		.amdhsa_ieee_mode 1
		.amdhsa_fp16_overflow 0
		.amdhsa_tg_split 0
		.amdhsa_exception_fp_ieee_invalid_op 0
		.amdhsa_exception_fp_denorm_src 0
		.amdhsa_exception_fp_ieee_div_zero 0
		.amdhsa_exception_fp_ieee_overflow 0
		.amdhsa_exception_fp_ieee_underflow 0
		.amdhsa_exception_fp_ieee_inexact 0
		.amdhsa_exception_int_div_zero 0
	.end_amdhsa_kernel
	.section	.text._Z37exclusive_scan_prefix_callback_kernelILj256ELN6hipcub18BlockScanAlgorithmE1EiEvPT1_S3_S2_,"axG",@progbits,_Z37exclusive_scan_prefix_callback_kernelILj256ELN6hipcub18BlockScanAlgorithmE1EiEvPT1_S3_S2_,comdat
.Lfunc_end127:
	.size	_Z37exclusive_scan_prefix_callback_kernelILj256ELN6hipcub18BlockScanAlgorithmE1EiEvPT1_S3_S2_, .Lfunc_end127-_Z37exclusive_scan_prefix_callback_kernelILj256ELN6hipcub18BlockScanAlgorithmE1EiEvPT1_S3_S2_
                                        ; -- End function
	.section	.AMDGPU.csdata,"",@progbits
; Kernel info:
; codeLenInByte = 644
; NumSgprs: 16
; NumVgprs: 14
; NumAgprs: 0
; TotalNumVgprs: 14
; ScratchSize: 0
; MemoryBound: 0
; FloatMode: 240
; IeeeMode: 1
; LDSByteSize: 1056 bytes/workgroup (compile time only)
; SGPRBlocks: 1
; VGPRBlocks: 1
; NumSGPRsForWavesPerEU: 16
; NumVGPRsForWavesPerEU: 14
; AccumOffset: 16
; Occupancy: 8
; WaveLimiterHint : 0
; COMPUTE_PGM_RSRC2:SCRATCH_EN: 0
; COMPUTE_PGM_RSRC2:USER_SGPR: 6
; COMPUTE_PGM_RSRC2:TRAP_HANDLER: 0
; COMPUTE_PGM_RSRC2:TGID_X_EN: 1
; COMPUTE_PGM_RSRC2:TGID_Y_EN: 0
; COMPUTE_PGM_RSRC2:TGID_Z_EN: 0
; COMPUTE_PGM_RSRC2:TIDIG_COMP_CNT: 0
; COMPUTE_PGM_RSRC3_GFX90A:ACCUM_OFFSET: 3
; COMPUTE_PGM_RSRC3_GFX90A:TG_SPLIT: 0
	.section	.text._Z37exclusive_scan_prefix_callback_kernelILj128ELN6hipcub18BlockScanAlgorithmE1EiEvPT1_S3_S2_,"axG",@progbits,_Z37exclusive_scan_prefix_callback_kernelILj128ELN6hipcub18BlockScanAlgorithmE1EiEvPT1_S3_S2_,comdat
	.protected	_Z37exclusive_scan_prefix_callback_kernelILj128ELN6hipcub18BlockScanAlgorithmE1EiEvPT1_S3_S2_ ; -- Begin function _Z37exclusive_scan_prefix_callback_kernelILj128ELN6hipcub18BlockScanAlgorithmE1EiEvPT1_S3_S2_
	.globl	_Z37exclusive_scan_prefix_callback_kernelILj128ELN6hipcub18BlockScanAlgorithmE1EiEvPT1_S3_S2_
	.p2align	8
	.type	_Z37exclusive_scan_prefix_callback_kernelILj128ELN6hipcub18BlockScanAlgorithmE1EiEvPT1_S3_S2_,@function
_Z37exclusive_scan_prefix_callback_kernelILj128ELN6hipcub18BlockScanAlgorithmE1EiEvPT1_S3_S2_: ; @_Z37exclusive_scan_prefix_callback_kernelILj128ELN6hipcub18BlockScanAlgorithmE1EiEvPT1_S3_S2_
; %bb.0:
	s_load_dwordx4 s[8:11], s[4:5], 0x0
	v_lshl_or_b32 v2, s6, 7, v0
	v_mov_b32_e32 v3, 0
	v_lshlrev_b64 v[4:5], 2, v[2:3]
	v_lshrrev_b32_e32 v2, 5, v0
	s_waitcnt lgkmcnt(0)
	v_mov_b32_e32 v1, s9
	v_add_co_u32_e32 v4, vcc, s8, v4
	v_addc_co_u32_e32 v5, vcc, v1, v5, vcc
	global_load_dword v1, v[4:5], off
	v_add_lshl_u32 v2, v2, v0, 2
	v_cmp_gt_u32_e32 vcc, 64, v0
	s_waitcnt vmcnt(0)
	ds_write_b32 v2, v1
	s_waitcnt lgkmcnt(0)
	s_barrier
	s_and_saveexec_b64 s[2:3], vcc
	s_cbranch_execz .LBB128_2
; %bb.1:
	v_lshlrev_b32_e32 v2, 1, v0
	v_lshrrev_b32_e32 v6, 4, v0
	v_add_lshl_u32 v2, v6, v2, 2
	ds_read2_b32 v[6:7], v2 offset1:1
	v_mbcnt_lo_u32_b32 v8, -1, 0
	v_mbcnt_hi_u32_b32 v8, -1, v8
	v_and_b32_e32 v9, 15, v8
	v_cmp_ne_u32_e64 s[0:1], 0, v9
	s_waitcnt lgkmcnt(0)
	v_add_u32_e32 v10, v7, v6
	s_nop 1
	v_mov_b32_dpp v11, v10 row_shr:1 row_mask:0xf bank_mask:0xf
	v_cndmask_b32_e64 v11, 0, v11, s[0:1]
	v_add_u32_e32 v10, v11, v10
	v_cmp_lt_u32_e64 s[0:1], 1, v9
	s_nop 0
	v_mov_b32_dpp v11, v10 row_shr:2 row_mask:0xf bank_mask:0xf
	v_cndmask_b32_e64 v11, 0, v11, s[0:1]
	v_add_u32_e32 v10, v10, v11
	v_cmp_lt_u32_e64 s[0:1], 3, v9
	;; [unrolled: 5-line block ×3, first 2 shown]
	s_nop 0
	v_mov_b32_dpp v11, v10 row_shr:8 row_mask:0xf bank_mask:0xf
	v_cndmask_b32_e64 v9, 0, v11, s[0:1]
	v_add_u32_e32 v9, v10, v9
	v_bfe_i32 v11, v8, 4, 1
	v_cmp_lt_u32_e64 s[0:1], 31, v8
	v_mov_b32_dpp v10, v9 row_bcast:15 row_mask:0xf bank_mask:0xf
	v_and_b32_e32 v10, v11, v10
	v_add_u32_e32 v9, v9, v10
	v_and_b32_e32 v11, 64, v8
	s_nop 0
	v_mov_b32_dpp v10, v9 row_bcast:31 row_mask:0xf bank_mask:0xf
	v_cndmask_b32_e64 v10, 0, v10, s[0:1]
	v_add_u32_e32 v9, v9, v10
	v_add_u32_e32 v10, -1, v8
	v_cmp_lt_i32_e64 s[0:1], v10, v11
	v_cndmask_b32_e64 v8, v10, v8, s[0:1]
	v_lshlrev_b32_e32 v8, 2, v8
	ds_bpermute_b32 v8, v8, v9
	v_cmp_eq_u32_e64 s[0:1], 0, v0
	s_waitcnt lgkmcnt(0)
	v_add_u32_e32 v6, v8, v6
	v_cndmask_b32_e64 v1, v6, v1, s[0:1]
	v_add_u32_e32 v6, v1, v7
	ds_write2_b32 v2, v1, v6 offset1:1
.LBB128_2:
	s_or_b64 exec, exec, s[2:3]
	v_cmp_eq_u32_e64 s[0:1], 0, v0
	v_cmp_ne_u32_e64 s[2:3], 0, v0
	s_waitcnt lgkmcnt(0)
	s_barrier
	s_and_saveexec_b64 s[8:9], s[2:3]
	s_cbranch_execz .LBB128_4
; %bb.3:
	v_add_u32_e32 v0, -1, v0
	v_lshrrev_b32_e32 v1, 5, v0
	v_add_lshl_u32 v0, v1, v0, 2
	ds_read_b32 v3, v0
.LBB128_4:
	s_or_b64 exec, exec, s[8:9]
	s_load_dword s7, s[4:5], 0x10
	s_waitcnt lgkmcnt(0)
	v_mov_b32_e32 v0, s7
	s_and_saveexec_b64 s[2:3], vcc
	s_cbranch_execz .LBB128_8
; %bb.5:
	v_mov_b32_e32 v1, 0
	ds_read_b32 v0, v1 offset:520
	s_and_saveexec_b64 s[4:5], s[0:1]
	s_cbranch_execz .LBB128_7
; %bb.6:
	v_mov_b32_e32 v2, s7
	ds_write_b32 v1, v2
.LBB128_7:
	s_or_b64 exec, exec, s[4:5]
	s_waitcnt lgkmcnt(0)
	v_add_u32_e32 v0, s7, v0
.LBB128_8:
	s_or_b64 exec, exec, s[2:3]
	v_mov_b32_e32 v1, 0
	s_barrier
	ds_read_b32 v2, v1
	s_waitcnt lgkmcnt(0)
	v_add_u32_e32 v2, v2, v3
	global_store_dword v[4:5], v2, off
	s_and_saveexec_b64 s[2:3], s[0:1]
	s_cbranch_execz .LBB128_10
; %bb.9:
	s_mov_b32 s7, 0
	s_lshl_b64 s[0:1], s[6:7], 2
	s_add_u32 s0, s10, s0
	s_addc_u32 s1, s11, s1
	global_store_dword v1, v0, s[0:1]
.LBB128_10:
	s_endpgm
	.section	.rodata,"a",@progbits
	.p2align	6, 0x0
	.amdhsa_kernel _Z37exclusive_scan_prefix_callback_kernelILj128ELN6hipcub18BlockScanAlgorithmE1EiEvPT1_S3_S2_
		.amdhsa_group_segment_fixed_size 528
		.amdhsa_private_segment_fixed_size 0
		.amdhsa_kernarg_size 20
		.amdhsa_user_sgpr_count 6
		.amdhsa_user_sgpr_private_segment_buffer 1
		.amdhsa_user_sgpr_dispatch_ptr 0
		.amdhsa_user_sgpr_queue_ptr 0
		.amdhsa_user_sgpr_kernarg_segment_ptr 1
		.amdhsa_user_sgpr_dispatch_id 0
		.amdhsa_user_sgpr_flat_scratch_init 0
		.amdhsa_user_sgpr_kernarg_preload_length 0
		.amdhsa_user_sgpr_kernarg_preload_offset 0
		.amdhsa_user_sgpr_private_segment_size 0
		.amdhsa_uses_dynamic_stack 0
		.amdhsa_system_sgpr_private_segment_wavefront_offset 0
		.amdhsa_system_sgpr_workgroup_id_x 1
		.amdhsa_system_sgpr_workgroup_id_y 0
		.amdhsa_system_sgpr_workgroup_id_z 0
		.amdhsa_system_sgpr_workgroup_info 0
		.amdhsa_system_vgpr_workitem_id 0
		.amdhsa_next_free_vgpr 12
		.amdhsa_next_free_sgpr 12
		.amdhsa_accum_offset 12
		.amdhsa_reserve_vcc 1
		.amdhsa_reserve_flat_scratch 0
		.amdhsa_float_round_mode_32 0
		.amdhsa_float_round_mode_16_64 0
		.amdhsa_float_denorm_mode_32 3
		.amdhsa_float_denorm_mode_16_64 3
		.amdhsa_dx10_clamp 1
		.amdhsa_ieee_mode 1
		.amdhsa_fp16_overflow 0
		.amdhsa_tg_split 0
		.amdhsa_exception_fp_ieee_invalid_op 0
		.amdhsa_exception_fp_denorm_src 0
		.amdhsa_exception_fp_ieee_div_zero 0
		.amdhsa_exception_fp_ieee_overflow 0
		.amdhsa_exception_fp_ieee_underflow 0
		.amdhsa_exception_fp_ieee_inexact 0
		.amdhsa_exception_int_div_zero 0
	.end_amdhsa_kernel
	.section	.text._Z37exclusive_scan_prefix_callback_kernelILj128ELN6hipcub18BlockScanAlgorithmE1EiEvPT1_S3_S2_,"axG",@progbits,_Z37exclusive_scan_prefix_callback_kernelILj128ELN6hipcub18BlockScanAlgorithmE1EiEvPT1_S3_S2_,comdat
.Lfunc_end128:
	.size	_Z37exclusive_scan_prefix_callback_kernelILj128ELN6hipcub18BlockScanAlgorithmE1EiEvPT1_S3_S2_, .Lfunc_end128-_Z37exclusive_scan_prefix_callback_kernelILj128ELN6hipcub18BlockScanAlgorithmE1EiEvPT1_S3_S2_
                                        ; -- End function
	.section	.AMDGPU.csdata,"",@progbits
; Kernel info:
; codeLenInByte = 608
; NumSgprs: 16
; NumVgprs: 12
; NumAgprs: 0
; TotalNumVgprs: 12
; ScratchSize: 0
; MemoryBound: 0
; FloatMode: 240
; IeeeMode: 1
; LDSByteSize: 528 bytes/workgroup (compile time only)
; SGPRBlocks: 1
; VGPRBlocks: 1
; NumSGPRsForWavesPerEU: 16
; NumVGPRsForWavesPerEU: 12
; AccumOffset: 12
; Occupancy: 8
; WaveLimiterHint : 0
; COMPUTE_PGM_RSRC2:SCRATCH_EN: 0
; COMPUTE_PGM_RSRC2:USER_SGPR: 6
; COMPUTE_PGM_RSRC2:TRAP_HANDLER: 0
; COMPUTE_PGM_RSRC2:TGID_X_EN: 1
; COMPUTE_PGM_RSRC2:TGID_Y_EN: 0
; COMPUTE_PGM_RSRC2:TGID_Z_EN: 0
; COMPUTE_PGM_RSRC2:TIDIG_COMP_CNT: 0
; COMPUTE_PGM_RSRC3_GFX90A:ACCUM_OFFSET: 2
; COMPUTE_PGM_RSRC3_GFX90A:TG_SPLIT: 0
	.section	.text._Z37exclusive_scan_prefix_callback_kernelILj64ELN6hipcub18BlockScanAlgorithmE1EiEvPT1_S3_S2_,"axG",@progbits,_Z37exclusive_scan_prefix_callback_kernelILj64ELN6hipcub18BlockScanAlgorithmE1EiEvPT1_S3_S2_,comdat
	.protected	_Z37exclusive_scan_prefix_callback_kernelILj64ELN6hipcub18BlockScanAlgorithmE1EiEvPT1_S3_S2_ ; -- Begin function _Z37exclusive_scan_prefix_callback_kernelILj64ELN6hipcub18BlockScanAlgorithmE1EiEvPT1_S3_S2_
	.globl	_Z37exclusive_scan_prefix_callback_kernelILj64ELN6hipcub18BlockScanAlgorithmE1EiEvPT1_S3_S2_
	.p2align	8
	.type	_Z37exclusive_scan_prefix_callback_kernelILj64ELN6hipcub18BlockScanAlgorithmE1EiEvPT1_S3_S2_,@function
_Z37exclusive_scan_prefix_callback_kernelILj64ELN6hipcub18BlockScanAlgorithmE1EiEvPT1_S3_S2_: ; @_Z37exclusive_scan_prefix_callback_kernelILj64ELN6hipcub18BlockScanAlgorithmE1EiEvPT1_S3_S2_
; %bb.0:
	s_load_dwordx4 s[0:3], s[4:5], 0x0
	v_lshl_or_b32 v4, s6, 6, v0
	v_mov_b32_e32 v5, 0
	v_lshlrev_b64 v[2:3], 2, v[4:5]
	s_waitcnt lgkmcnt(0)
	v_mov_b32_e32 v1, s1
	v_add_co_u32_e32 v2, vcc, s0, v2
	v_addc_co_u32_e32 v3, vcc, v1, v3, vcc
	global_load_dword v4, v[2:3], off
	v_mbcnt_lo_u32_b32 v1, -1, 0
	v_mbcnt_hi_u32_b32 v1, -1, v1
	v_and_b32_e32 v6, 15, v1
	v_cmp_ne_u32_e32 vcc, 0, v6
	v_bfe_i32 v7, v1, 4, 1
	s_waitcnt vmcnt(0)
	v_mov_b32_dpp v8, v4 row_shr:1 row_mask:0xf bank_mask:0xf
	v_cndmask_b32_e32 v8, 0, v8, vcc
	v_add_u32_e32 v4, v8, v4
	v_cmp_lt_u32_e32 vcc, 1, v6
	s_nop 0
	v_mov_b32_dpp v8, v4 row_shr:2 row_mask:0xf bank_mask:0xf
	v_cndmask_b32_e32 v8, 0, v8, vcc
	v_add_u32_e32 v4, v4, v8
	v_cmp_lt_u32_e32 vcc, 3, v6
	s_nop 0
	;; [unrolled: 5-line block ×4, first 2 shown]
	v_mov_b32_dpp v6, v4 row_bcast:15 row_mask:0xf bank_mask:0xf
	v_and_b32_e32 v6, v7, v6
	v_add_u32_e32 v4, v4, v6
	s_nop 1
	v_mov_b32_dpp v6, v4 row_bcast:31 row_mask:0xf bank_mask:0xf
	v_cndmask_b32_e32 v6, 0, v6, vcc
	v_add_u32_e32 v4, v4, v6
	v_cmp_eq_u32_e32 vcc, 63, v0
	s_and_saveexec_b64 s[0:1], vcc
	s_cbranch_execz .LBB129_2
; %bb.1:
	ds_write_b32 v5, v4
.LBB129_2:
	s_or_b64 exec, exec, s[0:1]
	v_add_u32_e32 v5, -1, v1
	v_and_b32_e32 v6, 64, v1
	v_cmp_lt_i32_e32 vcc, v5, v6
	v_cndmask_b32_e32 v1, v5, v1, vcc
	s_load_dword s7, s[4:5], 0x10
	v_lshlrev_b32_e32 v1, 2, v1
	ds_bpermute_b32 v1, v1, v4
	v_cmp_gt_u32_e32 vcc, 64, v0
	s_waitcnt lgkmcnt(0)
	v_mov_b32_e32 v4, s7
	; wave barrier
	s_and_saveexec_b64 s[0:1], vcc
	s_cbranch_execz .LBB129_6
; %bb.3:
	v_mov_b32_e32 v5, 0
	ds_read_b32 v4, v5
	v_cmp_eq_u32_e32 vcc, 0, v0
	s_and_saveexec_b64 s[4:5], vcc
	s_cbranch_execz .LBB129_5
; %bb.4:
	v_mov_b32_e32 v6, s7
	ds_write_b32 v5, v6
.LBB129_5:
	s_or_b64 exec, exec, s[4:5]
	s_waitcnt lgkmcnt(0)
	v_add_u32_e32 v4, s7, v4
.LBB129_6:
	s_or_b64 exec, exec, s[0:1]
	v_mov_b32_e32 v5, 0
	s_waitcnt lgkmcnt(0)
	; wave barrier
	ds_read_b32 v6, v5
	v_cmp_eq_u32_e32 vcc, 0, v0
	v_cndmask_b32_e64 v0, v1, 0, vcc
	s_mov_b32 s7, 0
	s_waitcnt lgkmcnt(0)
	v_add_u32_e32 v0, v6, v0
	global_store_dword v[2:3], v0, off
	s_and_saveexec_b64 s[0:1], vcc
	s_cbranch_execz .LBB129_8
; %bb.7:
	s_lshl_b64 s[0:1], s[6:7], 2
	s_add_u32 s0, s2, s0
	s_addc_u32 s1, s3, s1
	global_store_dword v5, v4, s[0:1]
.LBB129_8:
	s_endpgm
	.section	.rodata,"a",@progbits
	.p2align	6, 0x0
	.amdhsa_kernel _Z37exclusive_scan_prefix_callback_kernelILj64ELN6hipcub18BlockScanAlgorithmE1EiEvPT1_S3_S2_
		.amdhsa_group_segment_fixed_size 4
		.amdhsa_private_segment_fixed_size 0
		.amdhsa_kernarg_size 20
		.amdhsa_user_sgpr_count 6
		.amdhsa_user_sgpr_private_segment_buffer 1
		.amdhsa_user_sgpr_dispatch_ptr 0
		.amdhsa_user_sgpr_queue_ptr 0
		.amdhsa_user_sgpr_kernarg_segment_ptr 1
		.amdhsa_user_sgpr_dispatch_id 0
		.amdhsa_user_sgpr_flat_scratch_init 0
		.amdhsa_user_sgpr_kernarg_preload_length 0
		.amdhsa_user_sgpr_kernarg_preload_offset 0
		.amdhsa_user_sgpr_private_segment_size 0
		.amdhsa_uses_dynamic_stack 0
		.amdhsa_system_sgpr_private_segment_wavefront_offset 0
		.amdhsa_system_sgpr_workgroup_id_x 1
		.amdhsa_system_sgpr_workgroup_id_y 0
		.amdhsa_system_sgpr_workgroup_id_z 0
		.amdhsa_system_sgpr_workgroup_info 0
		.amdhsa_system_vgpr_workitem_id 0
		.amdhsa_next_free_vgpr 9
		.amdhsa_next_free_sgpr 8
		.amdhsa_accum_offset 12
		.amdhsa_reserve_vcc 1
		.amdhsa_reserve_flat_scratch 0
		.amdhsa_float_round_mode_32 0
		.amdhsa_float_round_mode_16_64 0
		.amdhsa_float_denorm_mode_32 3
		.amdhsa_float_denorm_mode_16_64 3
		.amdhsa_dx10_clamp 1
		.amdhsa_ieee_mode 1
		.amdhsa_fp16_overflow 0
		.amdhsa_tg_split 0
		.amdhsa_exception_fp_ieee_invalid_op 0
		.amdhsa_exception_fp_denorm_src 0
		.amdhsa_exception_fp_ieee_div_zero 0
		.amdhsa_exception_fp_ieee_overflow 0
		.amdhsa_exception_fp_ieee_underflow 0
		.amdhsa_exception_fp_ieee_inexact 0
		.amdhsa_exception_int_div_zero 0
	.end_amdhsa_kernel
	.section	.text._Z37exclusive_scan_prefix_callback_kernelILj64ELN6hipcub18BlockScanAlgorithmE1EiEvPT1_S3_S2_,"axG",@progbits,_Z37exclusive_scan_prefix_callback_kernelILj64ELN6hipcub18BlockScanAlgorithmE1EiEvPT1_S3_S2_,comdat
.Lfunc_end129:
	.size	_Z37exclusive_scan_prefix_callback_kernelILj64ELN6hipcub18BlockScanAlgorithmE1EiEvPT1_S3_S2_, .Lfunc_end129-_Z37exclusive_scan_prefix_callback_kernelILj64ELN6hipcub18BlockScanAlgorithmE1EiEvPT1_S3_S2_
                                        ; -- End function
	.section	.AMDGPU.csdata,"",@progbits
; Kernel info:
; codeLenInByte = 432
; NumSgprs: 12
; NumVgprs: 9
; NumAgprs: 0
; TotalNumVgprs: 9
; ScratchSize: 0
; MemoryBound: 0
; FloatMode: 240
; IeeeMode: 1
; LDSByteSize: 4 bytes/workgroup (compile time only)
; SGPRBlocks: 1
; VGPRBlocks: 1
; NumSGPRsForWavesPerEU: 12
; NumVGPRsForWavesPerEU: 9
; AccumOffset: 12
; Occupancy: 8
; WaveLimiterHint : 0
; COMPUTE_PGM_RSRC2:SCRATCH_EN: 0
; COMPUTE_PGM_RSRC2:USER_SGPR: 6
; COMPUTE_PGM_RSRC2:TRAP_HANDLER: 0
; COMPUTE_PGM_RSRC2:TGID_X_EN: 1
; COMPUTE_PGM_RSRC2:TGID_Y_EN: 0
; COMPUTE_PGM_RSRC2:TGID_Z_EN: 0
; COMPUTE_PGM_RSRC2:TIDIG_COMP_CNT: 0
; COMPUTE_PGM_RSRC3_GFX90A:ACCUM_OFFSET: 2
; COMPUTE_PGM_RSRC3_GFX90A:TG_SPLIT: 0
	.section	.text._Z37exclusive_scan_prefix_callback_kernelILj377ELN6hipcub18BlockScanAlgorithmE0ElEvPT1_S3_S2_,"axG",@progbits,_Z37exclusive_scan_prefix_callback_kernelILj377ELN6hipcub18BlockScanAlgorithmE0ElEvPT1_S3_S2_,comdat
	.protected	_Z37exclusive_scan_prefix_callback_kernelILj377ELN6hipcub18BlockScanAlgorithmE0ElEvPT1_S3_S2_ ; -- Begin function _Z37exclusive_scan_prefix_callback_kernelILj377ELN6hipcub18BlockScanAlgorithmE0ElEvPT1_S3_S2_
	.globl	_Z37exclusive_scan_prefix_callback_kernelILj377ELN6hipcub18BlockScanAlgorithmE0ElEvPT1_S3_S2_
	.p2align	8
	.type	_Z37exclusive_scan_prefix_callback_kernelILj377ELN6hipcub18BlockScanAlgorithmE0ElEvPT1_S3_S2_,@function
_Z37exclusive_scan_prefix_callback_kernelILj377ELN6hipcub18BlockScanAlgorithmE0ElEvPT1_S3_S2_: ; @_Z37exclusive_scan_prefix_callback_kernelILj377ELN6hipcub18BlockScanAlgorithmE0ElEvPT1_S3_S2_
; %bb.0:
	s_load_dwordx4 s[8:11], s[4:5], 0x0
	s_mul_i32 s0, s6, 0x179
	v_add_u32_e32 v2, s0, v0
	v_mov_b32_e32 v3, 0
	v_lshlrev_b64 v[2:3], 3, v[2:3]
	s_waitcnt lgkmcnt(0)
	v_mov_b32_e32 v1, s9
	v_add_co_u32_e32 v2, vcc, s8, v2
	v_addc_co_u32_e32 v3, vcc, v1, v3, vcc
	global_load_dwordx2 v[4:5], v[2:3], off
	v_mbcnt_lo_u32_b32 v1, -1, 0
	v_mbcnt_hi_u32_b32 v8, -1, v1
	v_and_b32_e32 v1, 15, v8
	v_and_b32_e32 v9, 16, v8
	v_cmp_eq_u32_e32 vcc, 0, v8
	v_cmp_ne_u32_e64 s[2:3], 0, v8
	s_waitcnt vmcnt(0)
	v_mov_b32_dpp v6, v4 row_shr:1 row_mask:0xf bank_mask:0xf
	v_add_co_u32_e64 v6, s[0:1], v4, v6
	v_addc_co_u32_e64 v10, s[0:1], 0, v5, s[0:1]
	v_mov_b32_dpp v7, v5 row_shr:1 row_mask:0xf bank_mask:0xf
	v_add_co_u32_e64 v11, s[0:1], 0, v6
	v_addc_co_u32_e64 v7, s[0:1], v7, v10, s[0:1]
	v_cmp_eq_u32_e64 s[0:1], 0, v1
	v_cndmask_b32_e64 v6, v6, v4, s[0:1]
	v_cndmask_b32_e64 v7, v7, v5, s[0:1]
	v_cndmask_b32_e64 v10, v11, v4, s[0:1]
	v_mov_b32_dpp v11, v6 row_shr:2 row_mask:0xf bank_mask:0xf
	v_mov_b32_dpp v12, v7 row_shr:2 row_mask:0xf bank_mask:0xf
	v_add_co_u32_e64 v11, s[0:1], v11, v10
	v_addc_co_u32_e64 v12, s[0:1], v12, v7, s[0:1]
	v_cmp_lt_u32_e64 s[0:1], 1, v1
	v_cndmask_b32_e64 v6, v6, v11, s[0:1]
	v_cndmask_b32_e64 v7, v7, v12, s[0:1]
	v_cndmask_b32_e64 v10, v10, v11, s[0:1]
	v_mov_b32_dpp v11, v6 row_shr:4 row_mask:0xf bank_mask:0xf
	v_mov_b32_dpp v12, v7 row_shr:4 row_mask:0xf bank_mask:0xf
	v_add_co_u32_e64 v11, s[0:1], v11, v10
	v_addc_co_u32_e64 v12, s[0:1], v12, v7, s[0:1]
	v_cmp_lt_u32_e64 s[0:1], 3, v1
	;; [unrolled: 8-line block ×3, first 2 shown]
	v_cndmask_b32_e64 v13, v6, v11, s[0:1]
	v_cndmask_b32_e64 v1, v7, v12, s[0:1]
	;; [unrolled: 1-line block ×3, first 2 shown]
	v_mov_b32_dpp v7, v13 row_bcast:15 row_mask:0xf bank_mask:0xf
	v_mov_b32_dpp v10, v1 row_bcast:15 row_mask:0xf bank_mask:0xf
	v_add_co_u32_e64 v7, s[0:1], v7, v6
	v_addc_co_u32_e64 v10, s[0:1], v10, v1, s[0:1]
	v_cmp_eq_u32_e64 s[0:1], 0, v9
	v_cndmask_b32_e64 v11, v10, v1, s[0:1]
	v_cndmask_b32_e64 v9, v7, v13, s[0:1]
	s_nop 0
	v_mov_b32_dpp v11, v11 row_bcast:31 row_mask:0xf bank_mask:0xf
	v_mov_b32_dpp v9, v9 row_bcast:31 row_mask:0xf bank_mask:0xf
	s_and_saveexec_b64 s[8:9], s[2:3]
; %bb.1:
	v_cndmask_b32_e64 v1, v10, v1, s[0:1]
	v_cndmask_b32_e64 v4, v7, v6, s[0:1]
	v_cmp_lt_u32_e64 s[0:1], 31, v8
	v_cndmask_b32_e64 v6, 0, v9, s[0:1]
	v_cndmask_b32_e64 v5, 0, v11, s[0:1]
	v_add_co_u32_e64 v4, s[0:1], v6, v4
	v_addc_co_u32_e64 v5, s[0:1], v5, v1, s[0:1]
; %bb.2:
	s_or_b64 exec, exec, s[8:9]
	s_load_dwordx2 s[4:5], s[4:5], 0x10
	v_and_b32_e32 v6, 0x1c0, v0
	v_min_u32_e32 v6, 0x139, v6
	v_add_u32_e32 v6, 63, v6
	v_lshrrev_b32_e32 v1, 6, v0
	v_cmp_eq_u32_e64 s[0:1], v6, v0
	s_and_saveexec_b64 s[2:3], s[0:1]
	s_cbranch_execz .LBB130_4
; %bb.3:
	v_lshlrev_b32_e32 v6, 3, v1
	ds_write_b64 v6, v[4:5]
.LBB130_4:
	s_or_b64 exec, exec, s[2:3]
	v_cmp_gt_u32_e64 s[0:1], 6, v0
	s_waitcnt lgkmcnt(0)
	s_barrier
	s_and_saveexec_b64 s[2:3], s[0:1]
	s_cbranch_execz .LBB130_6
; %bb.5:
	v_lshlrev_b32_e32 v9, 3, v0
	ds_read_b64 v[6:7], v9
	v_and_b32_e32 v10, 7, v8
	s_waitcnt lgkmcnt(0)
	v_mov_b32_dpp v11, v6 row_shr:1 row_mask:0xf bank_mask:0xf
	v_add_co_u32_e64 v11, s[0:1], v6, v11
	v_addc_co_u32_e64 v13, s[0:1], 0, v7, s[0:1]
	v_mov_b32_dpp v12, v7 row_shr:1 row_mask:0xf bank_mask:0xf
	v_add_co_u32_e64 v14, s[0:1], 0, v11
	v_addc_co_u32_e64 v12, s[0:1], v12, v13, s[0:1]
	v_cmp_eq_u32_e64 s[0:1], 0, v10
	v_cndmask_b32_e64 v7, v12, v7, s[0:1]
	v_cndmask_b32_e64 v12, v14, v6, s[0:1]
	;; [unrolled: 1-line block ×3, first 2 shown]
	v_mov_b32_dpp v13, v7 row_shr:2 row_mask:0xf bank_mask:0xf
	s_nop 0
	v_mov_b32_dpp v11, v6 row_shr:2 row_mask:0xf bank_mask:0xf
	v_add_co_u32_e64 v11, s[0:1], v12, v11
	v_addc_co_u32_e64 v14, s[0:1], 0, v7, s[0:1]
	v_add_co_u32_e64 v15, s[0:1], 0, v11
	v_addc_co_u32_e64 v13, s[0:1], v14, v13, s[0:1]
	v_cmp_lt_u32_e64 s[0:1], 1, v10
	v_cndmask_b32_e64 v6, v6, v11, s[0:1]
	v_cndmask_b32_e64 v7, v7, v13, s[0:1]
	;; [unrolled: 1-line block ×3, first 2 shown]
	v_mov_b32_dpp v6, v6 row_shr:4 row_mask:0xf bank_mask:0xf
	v_cmp_lt_u32_e64 s[0:1], 3, v10
	v_mov_b32_dpp v11, v7 row_shr:4 row_mask:0xf bank_mask:0xf
	v_cndmask_b32_e64 v6, 0, v6, s[0:1]
	v_cndmask_b32_e64 v10, 0, v11, s[0:1]
	v_add_co_u32_e64 v6, s[0:1], v6, v12
	v_addc_co_u32_e64 v7, s[0:1], v10, v7, s[0:1]
	ds_write_b64 v9, v[6:7]
.LBB130_6:
	s_or_b64 exec, exec, s[2:3]
	v_cmp_gt_u32_e64 s[0:1], 64, v0
	v_cmp_lt_u32_e64 s[2:3], 63, v0
	s_waitcnt lgkmcnt(0)
	s_barrier
	s_waitcnt lgkmcnt(0)
                                        ; implicit-def: $vgpr6_vgpr7
	s_and_saveexec_b64 s[8:9], s[2:3]
	s_cbranch_execz .LBB130_8
; %bb.7:
	v_lshl_add_u32 v1, v1, 3, -8
	ds_read_b64 v[6:7], v1
	s_waitcnt lgkmcnt(0)
	v_add_co_u32_e64 v4, s[2:3], v6, v4
	v_addc_co_u32_e64 v5, s[2:3], v7, v5, s[2:3]
.LBB130_8:
	s_or_b64 exec, exec, s[8:9]
	v_add_u32_e32 v1, -1, v8
	v_and_b32_e32 v9, 64, v8
	v_cmp_lt_i32_e64 s[2:3], v1, v9
	v_cndmask_b32_e64 v1, v1, v8, s[2:3]
	v_lshlrev_b32_e32 v8, 2, v1
	ds_bpermute_b32 v1, v8, v4
	ds_bpermute_b32 v8, v8, v5
	v_pk_mov_b32 v[4:5], s[4:5], s[4:5] op_sel:[0,1]
	s_and_saveexec_b64 s[2:3], s[0:1]
	s_cbranch_execz .LBB130_12
; %bb.9:
	v_mov_b32_e32 v9, 0
	ds_read_b64 v[4:5], v9 offset:40
	v_mov_b32_e32 v10, s5
	s_waitcnt lgkmcnt(0)
	v_add_co_u32_e64 v4, s[0:1], s4, v4
	v_addc_co_u32_e64 v5, s[0:1], v5, v10, s[0:1]
	v_cmp_eq_u32_e64 s[0:1], 0, v0
	s_and_saveexec_b64 s[8:9], s[0:1]
	s_cbranch_execz .LBB130_11
; %bb.10:
	v_pk_mov_b32 v[10:11], s[4:5], s[4:5] op_sel:[0,1]
	ds_write_b64 v9, v[10:11] offset:40
.LBB130_11:
	s_or_b64 exec, exec, s[8:9]
.LBB130_12:
	s_or_b64 exec, exec, s[2:3]
	s_waitcnt lgkmcnt(1)
	v_cndmask_b32_e32 v9, v1, v6, vcc
	v_mov_b32_e32 v1, 0
	s_waitcnt lgkmcnt(0)
	v_cndmask_b32_e32 v8, v8, v7, vcc
	s_barrier
	ds_read_b64 v[6:7], v1 offset:40
	v_cmp_eq_u32_e32 vcc, 0, v0
	v_cndmask_b32_e64 v0, v8, 0, vcc
	v_cndmask_b32_e64 v8, v9, 0, vcc
	s_mov_b32 s7, 0
	s_waitcnt lgkmcnt(0)
	v_add_co_u32_e64 v6, s[0:1], v6, v8
	v_addc_co_u32_e64 v7, s[0:1], v7, v0, s[0:1]
	global_store_dwordx2 v[2:3], v[6:7], off
	s_and_saveexec_b64 s[0:1], vcc
	s_cbranch_execz .LBB130_14
; %bb.13:
	s_lshl_b64 s[0:1], s[6:7], 3
	s_add_u32 s0, s10, s0
	s_addc_u32 s1, s11, s1
	global_store_dwordx2 v1, v[4:5], s[0:1]
.LBB130_14:
	s_endpgm
	.section	.rodata,"a",@progbits
	.p2align	6, 0x0
	.amdhsa_kernel _Z37exclusive_scan_prefix_callback_kernelILj377ELN6hipcub18BlockScanAlgorithmE0ElEvPT1_S3_S2_
		.amdhsa_group_segment_fixed_size 48
		.amdhsa_private_segment_fixed_size 0
		.amdhsa_kernarg_size 24
		.amdhsa_user_sgpr_count 6
		.amdhsa_user_sgpr_private_segment_buffer 1
		.amdhsa_user_sgpr_dispatch_ptr 0
		.amdhsa_user_sgpr_queue_ptr 0
		.amdhsa_user_sgpr_kernarg_segment_ptr 1
		.amdhsa_user_sgpr_dispatch_id 0
		.amdhsa_user_sgpr_flat_scratch_init 0
		.amdhsa_user_sgpr_kernarg_preload_length 0
		.amdhsa_user_sgpr_kernarg_preload_offset 0
		.amdhsa_user_sgpr_private_segment_size 0
		.amdhsa_uses_dynamic_stack 0
		.amdhsa_system_sgpr_private_segment_wavefront_offset 0
		.amdhsa_system_sgpr_workgroup_id_x 1
		.amdhsa_system_sgpr_workgroup_id_y 0
		.amdhsa_system_sgpr_workgroup_id_z 0
		.amdhsa_system_sgpr_workgroup_info 0
		.amdhsa_system_vgpr_workitem_id 0
		.amdhsa_next_free_vgpr 16
		.amdhsa_next_free_sgpr 12
		.amdhsa_accum_offset 16
		.amdhsa_reserve_vcc 1
		.amdhsa_reserve_flat_scratch 0
		.amdhsa_float_round_mode_32 0
		.amdhsa_float_round_mode_16_64 0
		.amdhsa_float_denorm_mode_32 3
		.amdhsa_float_denorm_mode_16_64 3
		.amdhsa_dx10_clamp 1
		.amdhsa_ieee_mode 1
		.amdhsa_fp16_overflow 0
		.amdhsa_tg_split 0
		.amdhsa_exception_fp_ieee_invalid_op 0
		.amdhsa_exception_fp_denorm_src 0
		.amdhsa_exception_fp_ieee_div_zero 0
		.amdhsa_exception_fp_ieee_overflow 0
		.amdhsa_exception_fp_ieee_underflow 0
		.amdhsa_exception_fp_ieee_inexact 0
		.amdhsa_exception_int_div_zero 0
	.end_amdhsa_kernel
	.section	.text._Z37exclusive_scan_prefix_callback_kernelILj377ELN6hipcub18BlockScanAlgorithmE0ElEvPT1_S3_S2_,"axG",@progbits,_Z37exclusive_scan_prefix_callback_kernelILj377ELN6hipcub18BlockScanAlgorithmE0ElEvPT1_S3_S2_,comdat
.Lfunc_end130:
	.size	_Z37exclusive_scan_prefix_callback_kernelILj377ELN6hipcub18BlockScanAlgorithmE0ElEvPT1_S3_S2_, .Lfunc_end130-_Z37exclusive_scan_prefix_callback_kernelILj377ELN6hipcub18BlockScanAlgorithmE0ElEvPT1_S3_S2_
                                        ; -- End function
	.section	.AMDGPU.csdata,"",@progbits
; Kernel info:
; codeLenInByte = 1176
; NumSgprs: 16
; NumVgprs: 16
; NumAgprs: 0
; TotalNumVgprs: 16
; ScratchSize: 0
; MemoryBound: 0
; FloatMode: 240
; IeeeMode: 1
; LDSByteSize: 48 bytes/workgroup (compile time only)
; SGPRBlocks: 1
; VGPRBlocks: 1
; NumSGPRsForWavesPerEU: 16
; NumVGPRsForWavesPerEU: 16
; AccumOffset: 16
; Occupancy: 8
; WaveLimiterHint : 0
; COMPUTE_PGM_RSRC2:SCRATCH_EN: 0
; COMPUTE_PGM_RSRC2:USER_SGPR: 6
; COMPUTE_PGM_RSRC2:TRAP_HANDLER: 0
; COMPUTE_PGM_RSRC2:TGID_X_EN: 1
; COMPUTE_PGM_RSRC2:TGID_Y_EN: 0
; COMPUTE_PGM_RSRC2:TGID_Z_EN: 0
; COMPUTE_PGM_RSRC2:TIDIG_COMP_CNT: 0
; COMPUTE_PGM_RSRC3_GFX90A:ACCUM_OFFSET: 3
; COMPUTE_PGM_RSRC3_GFX90A:TG_SPLIT: 0
	.section	.text._Z37exclusive_scan_prefix_callback_kernelILj256ELN6hipcub18BlockScanAlgorithmE0ElEvPT1_S3_S2_,"axG",@progbits,_Z37exclusive_scan_prefix_callback_kernelILj256ELN6hipcub18BlockScanAlgorithmE0ElEvPT1_S3_S2_,comdat
	.protected	_Z37exclusive_scan_prefix_callback_kernelILj256ELN6hipcub18BlockScanAlgorithmE0ElEvPT1_S3_S2_ ; -- Begin function _Z37exclusive_scan_prefix_callback_kernelILj256ELN6hipcub18BlockScanAlgorithmE0ElEvPT1_S3_S2_
	.globl	_Z37exclusive_scan_prefix_callback_kernelILj256ELN6hipcub18BlockScanAlgorithmE0ElEvPT1_S3_S2_
	.p2align	8
	.type	_Z37exclusive_scan_prefix_callback_kernelILj256ELN6hipcub18BlockScanAlgorithmE0ElEvPT1_S3_S2_,@function
_Z37exclusive_scan_prefix_callback_kernelILj256ELN6hipcub18BlockScanAlgorithmE0ElEvPT1_S3_S2_: ; @_Z37exclusive_scan_prefix_callback_kernelILj256ELN6hipcub18BlockScanAlgorithmE0ElEvPT1_S3_S2_
; %bb.0:
	s_load_dwordx4 s[8:11], s[4:5], 0x0
	v_lshl_or_b32 v2, s6, 8, v0
	v_mov_b32_e32 v3, 0
	v_lshlrev_b64 v[2:3], 3, v[2:3]
	s_waitcnt lgkmcnt(0)
	v_mov_b32_e32 v1, s9
	v_add_co_u32_e32 v2, vcc, s8, v2
	v_addc_co_u32_e32 v3, vcc, v1, v3, vcc
	global_load_dwordx2 v[4:5], v[2:3], off
	v_mbcnt_lo_u32_b32 v1, -1, 0
	v_mbcnt_hi_u32_b32 v8, -1, v1
	v_and_b32_e32 v1, 15, v8
	v_and_b32_e32 v9, 16, v8
	v_cmp_eq_u32_e32 vcc, 0, v8
	v_cmp_ne_u32_e64 s[2:3], 0, v8
	s_waitcnt vmcnt(0)
	v_mov_b32_dpp v6, v4 row_shr:1 row_mask:0xf bank_mask:0xf
	v_add_co_u32_e64 v6, s[0:1], v4, v6
	v_addc_co_u32_e64 v10, s[0:1], 0, v5, s[0:1]
	v_mov_b32_dpp v7, v5 row_shr:1 row_mask:0xf bank_mask:0xf
	v_add_co_u32_e64 v11, s[0:1], 0, v6
	v_addc_co_u32_e64 v7, s[0:1], v7, v10, s[0:1]
	v_cmp_eq_u32_e64 s[0:1], 0, v1
	v_cndmask_b32_e64 v6, v6, v4, s[0:1]
	v_cndmask_b32_e64 v7, v7, v5, s[0:1]
	v_cndmask_b32_e64 v10, v11, v4, s[0:1]
	v_mov_b32_dpp v11, v6 row_shr:2 row_mask:0xf bank_mask:0xf
	v_mov_b32_dpp v12, v7 row_shr:2 row_mask:0xf bank_mask:0xf
	v_add_co_u32_e64 v11, s[0:1], v11, v10
	v_addc_co_u32_e64 v12, s[0:1], v12, v7, s[0:1]
	v_cmp_lt_u32_e64 s[0:1], 1, v1
	v_cndmask_b32_e64 v6, v6, v11, s[0:1]
	v_cndmask_b32_e64 v7, v7, v12, s[0:1]
	v_cndmask_b32_e64 v10, v10, v11, s[0:1]
	v_mov_b32_dpp v11, v6 row_shr:4 row_mask:0xf bank_mask:0xf
	v_mov_b32_dpp v12, v7 row_shr:4 row_mask:0xf bank_mask:0xf
	v_add_co_u32_e64 v11, s[0:1], v11, v10
	v_addc_co_u32_e64 v12, s[0:1], v12, v7, s[0:1]
	v_cmp_lt_u32_e64 s[0:1], 3, v1
	;; [unrolled: 8-line block ×3, first 2 shown]
	v_cndmask_b32_e64 v13, v6, v11, s[0:1]
	v_cndmask_b32_e64 v1, v7, v12, s[0:1]
	;; [unrolled: 1-line block ×3, first 2 shown]
	v_mov_b32_dpp v7, v13 row_bcast:15 row_mask:0xf bank_mask:0xf
	v_mov_b32_dpp v10, v1 row_bcast:15 row_mask:0xf bank_mask:0xf
	v_add_co_u32_e64 v7, s[0:1], v7, v6
	v_addc_co_u32_e64 v10, s[0:1], v10, v1, s[0:1]
	v_cmp_eq_u32_e64 s[0:1], 0, v9
	v_cndmask_b32_e64 v11, v10, v1, s[0:1]
	v_cndmask_b32_e64 v9, v7, v13, s[0:1]
	s_nop 0
	v_mov_b32_dpp v11, v11 row_bcast:31 row_mask:0xf bank_mask:0xf
	v_mov_b32_dpp v9, v9 row_bcast:31 row_mask:0xf bank_mask:0xf
	s_and_saveexec_b64 s[8:9], s[2:3]
; %bb.1:
	v_cndmask_b32_e64 v1, v10, v1, s[0:1]
	v_cndmask_b32_e64 v4, v7, v6, s[0:1]
	v_cmp_lt_u32_e64 s[0:1], 31, v8
	v_cndmask_b32_e64 v6, 0, v9, s[0:1]
	v_cndmask_b32_e64 v5, 0, v11, s[0:1]
	v_add_co_u32_e64 v4, s[0:1], v6, v4
	v_addc_co_u32_e64 v5, s[0:1], v5, v1, s[0:1]
; %bb.2:
	s_or_b64 exec, exec, s[8:9]
	s_load_dwordx2 s[4:5], s[4:5], 0x10
	v_or_b32_e32 v6, 63, v0
	v_lshrrev_b32_e32 v1, 6, v0
	v_cmp_eq_u32_e64 s[0:1], v6, v0
	s_and_saveexec_b64 s[2:3], s[0:1]
	s_cbranch_execz .LBB131_4
; %bb.3:
	v_lshlrev_b32_e32 v6, 3, v1
	ds_write_b64 v6, v[4:5]
.LBB131_4:
	s_or_b64 exec, exec, s[2:3]
	v_cmp_gt_u32_e64 s[0:1], 4, v0
	s_waitcnt lgkmcnt(0)
	s_barrier
	s_and_saveexec_b64 s[2:3], s[0:1]
	s_cbranch_execz .LBB131_6
; %bb.5:
	v_lshlrev_b32_e32 v9, 3, v0
	ds_read_b64 v[6:7], v9
	v_and_b32_e32 v10, 3, v8
	s_waitcnt lgkmcnt(0)
	v_mov_b32_dpp v11, v6 row_shr:1 row_mask:0xf bank_mask:0xf
	v_add_co_u32_e64 v11, s[0:1], v6, v11
	v_addc_co_u32_e64 v13, s[0:1], 0, v7, s[0:1]
	v_mov_b32_dpp v12, v7 row_shr:1 row_mask:0xf bank_mask:0xf
	v_add_co_u32_e64 v14, s[0:1], 0, v11
	v_addc_co_u32_e64 v12, s[0:1], v12, v13, s[0:1]
	v_cmp_eq_u32_e64 s[0:1], 0, v10
	v_cndmask_b32_e64 v7, v12, v7, s[0:1]
	v_cndmask_b32_e64 v12, v14, v6, s[0:1]
	;; [unrolled: 1-line block ×3, first 2 shown]
	v_cmp_lt_u32_e64 s[0:1], 1, v10
	v_mov_b32_dpp v11, v7 row_shr:2 row_mask:0xf bank_mask:0xf
	v_mov_b32_dpp v6, v6 row_shr:2 row_mask:0xf bank_mask:0xf
	v_cndmask_b32_e64 v6, 0, v6, s[0:1]
	v_cndmask_b32_e64 v10, 0, v11, s[0:1]
	v_add_co_u32_e64 v6, s[0:1], v6, v12
	v_addc_co_u32_e64 v7, s[0:1], v10, v7, s[0:1]
	ds_write_b64 v9, v[6:7]
.LBB131_6:
	s_or_b64 exec, exec, s[2:3]
	v_cmp_gt_u32_e64 s[0:1], 64, v0
	v_cmp_lt_u32_e64 s[2:3], 63, v0
	s_waitcnt lgkmcnt(0)
	s_barrier
	s_waitcnt lgkmcnt(0)
                                        ; implicit-def: $vgpr6_vgpr7
	s_and_saveexec_b64 s[8:9], s[2:3]
	s_cbranch_execz .LBB131_8
; %bb.7:
	v_lshl_add_u32 v1, v1, 3, -8
	ds_read_b64 v[6:7], v1
	s_waitcnt lgkmcnt(0)
	v_add_co_u32_e64 v4, s[2:3], v6, v4
	v_addc_co_u32_e64 v5, s[2:3], v7, v5, s[2:3]
.LBB131_8:
	s_or_b64 exec, exec, s[8:9]
	v_add_u32_e32 v1, -1, v8
	v_and_b32_e32 v9, 64, v8
	v_cmp_lt_i32_e64 s[2:3], v1, v9
	v_cndmask_b32_e64 v1, v1, v8, s[2:3]
	v_lshlrev_b32_e32 v8, 2, v1
	ds_bpermute_b32 v1, v8, v4
	ds_bpermute_b32 v8, v8, v5
	v_pk_mov_b32 v[4:5], s[4:5], s[4:5] op_sel:[0,1]
	s_and_saveexec_b64 s[2:3], s[0:1]
	s_cbranch_execz .LBB131_12
; %bb.9:
	v_mov_b32_e32 v9, 0
	ds_read_b64 v[4:5], v9 offset:24
	v_mov_b32_e32 v10, s5
	s_waitcnt lgkmcnt(0)
	v_add_co_u32_e64 v4, s[0:1], s4, v4
	v_addc_co_u32_e64 v5, s[0:1], v5, v10, s[0:1]
	v_cmp_eq_u32_e64 s[0:1], 0, v0
	s_and_saveexec_b64 s[8:9], s[0:1]
	s_cbranch_execz .LBB131_11
; %bb.10:
	v_pk_mov_b32 v[10:11], s[4:5], s[4:5] op_sel:[0,1]
	ds_write_b64 v9, v[10:11] offset:24
.LBB131_11:
	s_or_b64 exec, exec, s[8:9]
.LBB131_12:
	s_or_b64 exec, exec, s[2:3]
	s_waitcnt lgkmcnt(1)
	v_cndmask_b32_e32 v9, v1, v6, vcc
	v_mov_b32_e32 v1, 0
	s_waitcnt lgkmcnt(0)
	v_cndmask_b32_e32 v8, v8, v7, vcc
	s_barrier
	ds_read_b64 v[6:7], v1 offset:24
	v_cmp_eq_u32_e32 vcc, 0, v0
	v_cndmask_b32_e64 v0, v8, 0, vcc
	v_cndmask_b32_e64 v8, v9, 0, vcc
	s_mov_b32 s7, 0
	s_waitcnt lgkmcnt(0)
	v_add_co_u32_e64 v6, s[0:1], v6, v8
	v_addc_co_u32_e64 v7, s[0:1], v7, v0, s[0:1]
	global_store_dwordx2 v[2:3], v[6:7], off
	s_and_saveexec_b64 s[0:1], vcc
	s_cbranch_execz .LBB131_14
; %bb.13:
	s_lshl_b64 s[0:1], s[6:7], 3
	s_add_u32 s0, s10, s0
	s_addc_u32 s1, s11, s1
	global_store_dwordx2 v1, v[4:5], s[0:1]
.LBB131_14:
	s_endpgm
	.section	.rodata,"a",@progbits
	.p2align	6, 0x0
	.amdhsa_kernel _Z37exclusive_scan_prefix_callback_kernelILj256ELN6hipcub18BlockScanAlgorithmE0ElEvPT1_S3_S2_
		.amdhsa_group_segment_fixed_size 32
		.amdhsa_private_segment_fixed_size 0
		.amdhsa_kernarg_size 24
		.amdhsa_user_sgpr_count 6
		.amdhsa_user_sgpr_private_segment_buffer 1
		.amdhsa_user_sgpr_dispatch_ptr 0
		.amdhsa_user_sgpr_queue_ptr 0
		.amdhsa_user_sgpr_kernarg_segment_ptr 1
		.amdhsa_user_sgpr_dispatch_id 0
		.amdhsa_user_sgpr_flat_scratch_init 0
		.amdhsa_user_sgpr_kernarg_preload_length 0
		.amdhsa_user_sgpr_kernarg_preload_offset 0
		.amdhsa_user_sgpr_private_segment_size 0
		.amdhsa_uses_dynamic_stack 0
		.amdhsa_system_sgpr_private_segment_wavefront_offset 0
		.amdhsa_system_sgpr_workgroup_id_x 1
		.amdhsa_system_sgpr_workgroup_id_y 0
		.amdhsa_system_sgpr_workgroup_id_z 0
		.amdhsa_system_sgpr_workgroup_info 0
		.amdhsa_system_vgpr_workitem_id 0
		.amdhsa_next_free_vgpr 15
		.amdhsa_next_free_sgpr 12
		.amdhsa_accum_offset 16
		.amdhsa_reserve_vcc 1
		.amdhsa_reserve_flat_scratch 0
		.amdhsa_float_round_mode_32 0
		.amdhsa_float_round_mode_16_64 0
		.amdhsa_float_denorm_mode_32 3
		.amdhsa_float_denorm_mode_16_64 3
		.amdhsa_dx10_clamp 1
		.amdhsa_ieee_mode 1
		.amdhsa_fp16_overflow 0
		.amdhsa_tg_split 0
		.amdhsa_exception_fp_ieee_invalid_op 0
		.amdhsa_exception_fp_denorm_src 0
		.amdhsa_exception_fp_ieee_div_zero 0
		.amdhsa_exception_fp_ieee_overflow 0
		.amdhsa_exception_fp_ieee_underflow 0
		.amdhsa_exception_fp_ieee_inexact 0
		.amdhsa_exception_int_div_zero 0
	.end_amdhsa_kernel
	.section	.text._Z37exclusive_scan_prefix_callback_kernelILj256ELN6hipcub18BlockScanAlgorithmE0ElEvPT1_S3_S2_,"axG",@progbits,_Z37exclusive_scan_prefix_callback_kernelILj256ELN6hipcub18BlockScanAlgorithmE0ElEvPT1_S3_S2_,comdat
.Lfunc_end131:
	.size	_Z37exclusive_scan_prefix_callback_kernelILj256ELN6hipcub18BlockScanAlgorithmE0ElEvPT1_S3_S2_, .Lfunc_end131-_Z37exclusive_scan_prefix_callback_kernelILj256ELN6hipcub18BlockScanAlgorithmE0ElEvPT1_S3_S2_
                                        ; -- End function
	.section	.AMDGPU.csdata,"",@progbits
; Kernel info:
; codeLenInByte = 1072
; NumSgprs: 16
; NumVgprs: 15
; NumAgprs: 0
; TotalNumVgprs: 15
; ScratchSize: 0
; MemoryBound: 0
; FloatMode: 240
; IeeeMode: 1
; LDSByteSize: 32 bytes/workgroup (compile time only)
; SGPRBlocks: 1
; VGPRBlocks: 1
; NumSGPRsForWavesPerEU: 16
; NumVGPRsForWavesPerEU: 15
; AccumOffset: 16
; Occupancy: 8
; WaveLimiterHint : 0
; COMPUTE_PGM_RSRC2:SCRATCH_EN: 0
; COMPUTE_PGM_RSRC2:USER_SGPR: 6
; COMPUTE_PGM_RSRC2:TRAP_HANDLER: 0
; COMPUTE_PGM_RSRC2:TGID_X_EN: 1
; COMPUTE_PGM_RSRC2:TGID_Y_EN: 0
; COMPUTE_PGM_RSRC2:TGID_Z_EN: 0
; COMPUTE_PGM_RSRC2:TIDIG_COMP_CNT: 0
; COMPUTE_PGM_RSRC3_GFX90A:ACCUM_OFFSET: 3
; COMPUTE_PGM_RSRC3_GFX90A:TG_SPLIT: 0
	.section	.text._Z37exclusive_scan_prefix_callback_kernelILj64ELN6hipcub18BlockScanAlgorithmE0ElEvPT1_S3_S2_,"axG",@progbits,_Z37exclusive_scan_prefix_callback_kernelILj64ELN6hipcub18BlockScanAlgorithmE0ElEvPT1_S3_S2_,comdat
	.protected	_Z37exclusive_scan_prefix_callback_kernelILj64ELN6hipcub18BlockScanAlgorithmE0ElEvPT1_S3_S2_ ; -- Begin function _Z37exclusive_scan_prefix_callback_kernelILj64ELN6hipcub18BlockScanAlgorithmE0ElEvPT1_S3_S2_
	.globl	_Z37exclusive_scan_prefix_callback_kernelILj64ELN6hipcub18BlockScanAlgorithmE0ElEvPT1_S3_S2_
	.p2align	8
	.type	_Z37exclusive_scan_prefix_callback_kernelILj64ELN6hipcub18BlockScanAlgorithmE0ElEvPT1_S3_S2_,@function
_Z37exclusive_scan_prefix_callback_kernelILj64ELN6hipcub18BlockScanAlgorithmE0ElEvPT1_S3_S2_: ; @_Z37exclusive_scan_prefix_callback_kernelILj64ELN6hipcub18BlockScanAlgorithmE0ElEvPT1_S3_S2_
; %bb.0:
	s_load_dwordx4 s[0:3], s[4:5], 0x0
	s_load_dwordx2 s[8:9], s[4:5], 0x10
	v_lshl_or_b32 v2, s6, 6, v0
	v_mov_b32_e32 v3, 0
	v_lshlrev_b64 v[2:3], 3, v[2:3]
	s_waitcnt lgkmcnt(0)
	v_mov_b32_e32 v1, s1
	v_add_co_u32_e32 v2, vcc, s0, v2
	v_addc_co_u32_e32 v3, vcc, v1, v3, vcc
	global_load_dwordx2 v[4:5], v[2:3], off
	v_mbcnt_lo_u32_b32 v1, -1, 0
	v_mbcnt_hi_u32_b32 v7, -1, v1
	v_and_b32_e32 v1, 15, v7
	v_and_b32_e32 v9, 16, v7
	v_cmp_ne_u32_e64 s[0:1], 0, v7
	s_waitcnt vmcnt(0)
	v_mov_b32_dpp v6, v4 row_shr:1 row_mask:0xf bank_mask:0xf
	v_add_co_u32_e32 v6, vcc, v4, v6
	v_addc_co_u32_e32 v10, vcc, 0, v5, vcc
	v_mov_b32_dpp v8, v5 row_shr:1 row_mask:0xf bank_mask:0xf
	v_add_co_u32_e32 v11, vcc, 0, v6
	v_addc_co_u32_e32 v8, vcc, v8, v10, vcc
	v_cmp_eq_u32_e32 vcc, 0, v1
	v_cndmask_b32_e32 v6, v6, v4, vcc
	v_cndmask_b32_e32 v8, v8, v5, vcc
	v_cndmask_b32_e32 v10, v11, v4, vcc
	v_mov_b32_dpp v11, v6 row_shr:2 row_mask:0xf bank_mask:0xf
	v_mov_b32_dpp v12, v8 row_shr:2 row_mask:0xf bank_mask:0xf
	v_add_co_u32_e32 v11, vcc, v11, v10
	v_addc_co_u32_e32 v12, vcc, v12, v8, vcc
	v_cmp_lt_u32_e32 vcc, 1, v1
	v_cndmask_b32_e32 v6, v6, v11, vcc
	v_cndmask_b32_e32 v8, v8, v12, vcc
	v_cndmask_b32_e32 v10, v10, v11, vcc
	v_mov_b32_dpp v11, v6 row_shr:4 row_mask:0xf bank_mask:0xf
	v_mov_b32_dpp v12, v8 row_shr:4 row_mask:0xf bank_mask:0xf
	v_add_co_u32_e32 v11, vcc, v11, v10
	v_addc_co_u32_e32 v12, vcc, v12, v8, vcc
	v_cmp_lt_u32_e32 vcc, 3, v1
	;; [unrolled: 8-line block ×3, first 2 shown]
	v_cndmask_b32_e32 v13, v6, v11, vcc
	v_cndmask_b32_e32 v1, v8, v12, vcc
	;; [unrolled: 1-line block ×3, first 2 shown]
	v_mov_b32_dpp v8, v13 row_bcast:15 row_mask:0xf bank_mask:0xf
	v_mov_b32_dpp v10, v1 row_bcast:15 row_mask:0xf bank_mask:0xf
	v_add_co_u32_e32 v8, vcc, v8, v6
	v_addc_co_u32_e32 v10, vcc, v10, v1, vcc
	v_cmp_eq_u32_e32 vcc, 0, v9
	v_cndmask_b32_e32 v11, v10, v1, vcc
	v_cndmask_b32_e32 v9, v8, v13, vcc
	s_nop 0
	v_mov_b32_dpp v11, v11 row_bcast:31 row_mask:0xf bank_mask:0xf
	v_mov_b32_dpp v9, v9 row_bcast:31 row_mask:0xf bank_mask:0xf
	s_and_saveexec_b64 s[4:5], s[0:1]
; %bb.1:
	v_cndmask_b32_e32 v1, v10, v1, vcc
	v_cndmask_b32_e32 v4, v8, v6, vcc
	v_cmp_lt_u32_e32 vcc, 31, v7
	v_cndmask_b32_e32 v6, 0, v9, vcc
	v_cndmask_b32_e32 v5, 0, v11, vcc
	v_add_co_u32_e32 v4, vcc, v6, v4
	v_addc_co_u32_e32 v5, vcc, v5, v1, vcc
; %bb.2:
	s_or_b64 exec, exec, s[4:5]
	v_cmp_eq_u32_e32 vcc, 63, v0
	s_and_saveexec_b64 s[0:1], vcc
	s_cbranch_execz .LBB132_4
; %bb.3:
	v_mov_b32_e32 v1, 0
	ds_write_b64 v1, v[4:5]
.LBB132_4:
	s_or_b64 exec, exec, s[0:1]
	v_add_u32_e32 v1, -1, v7
	v_and_b32_e32 v6, 64, v7
	v_cmp_lt_i32_e32 vcc, v1, v6
	v_cndmask_b32_e32 v1, v1, v7, vcc
	v_lshlrev_b32_e32 v6, 2, v1
	ds_bpermute_b32 v1, v6, v4
	ds_bpermute_b32 v6, v6, v5
	v_cmp_gt_u32_e32 vcc, 64, v0
	v_pk_mov_b32 v[4:5], s[8:9], s[8:9] op_sel:[0,1]
	s_waitcnt lgkmcnt(0)
	; wave barrier
	s_waitcnt lgkmcnt(0)
	s_and_saveexec_b64 s[0:1], vcc
	s_cbranch_execz .LBB132_8
; %bb.5:
	v_mov_b32_e32 v7, 0
	ds_read_b64 v[4:5], v7
	v_mov_b32_e32 v8, s9
	s_waitcnt lgkmcnt(0)
	v_add_co_u32_e32 v4, vcc, s8, v4
	v_addc_co_u32_e32 v5, vcc, v5, v8, vcc
	v_cmp_eq_u32_e32 vcc, 0, v0
	s_and_saveexec_b64 s[4:5], vcc
	s_cbranch_execz .LBB132_7
; %bb.6:
	v_pk_mov_b32 v[8:9], s[8:9], s[8:9] op_sel:[0,1]
	ds_write_b64 v7, v[8:9]
.LBB132_7:
	s_or_b64 exec, exec, s[4:5]
.LBB132_8:
	s_or_b64 exec, exec, s[0:1]
	v_mov_b32_e32 v7, 0
	s_waitcnt lgkmcnt(0)
	; wave barrier
	s_waitcnt lgkmcnt(0)
	ds_read_b64 v[8:9], v7
	v_cmp_eq_u32_e32 vcc, 0, v0
	v_cndmask_b32_e64 v0, v1, 0, vcc
	v_cndmask_b32_e64 v6, v6, 0, vcc
	s_mov_b32 s7, 0
	s_waitcnt lgkmcnt(0)
	v_add_co_u32_e64 v0, s[0:1], v8, v0
	v_addc_co_u32_e64 v1, s[0:1], v9, v6, s[0:1]
	global_store_dwordx2 v[2:3], v[0:1], off
	s_and_saveexec_b64 s[0:1], vcc
	s_cbranch_execz .LBB132_10
; %bb.9:
	s_lshl_b64 s[0:1], s[6:7], 3
	s_add_u32 s0, s2, s0
	s_addc_u32 s1, s3, s1
	global_store_dwordx2 v7, v[4:5], s[0:1]
.LBB132_10:
	s_endpgm
	.section	.rodata,"a",@progbits
	.p2align	6, 0x0
	.amdhsa_kernel _Z37exclusive_scan_prefix_callback_kernelILj64ELN6hipcub18BlockScanAlgorithmE0ElEvPT1_S3_S2_
		.amdhsa_group_segment_fixed_size 8
		.amdhsa_private_segment_fixed_size 0
		.amdhsa_kernarg_size 24
		.amdhsa_user_sgpr_count 6
		.amdhsa_user_sgpr_private_segment_buffer 1
		.amdhsa_user_sgpr_dispatch_ptr 0
		.amdhsa_user_sgpr_queue_ptr 0
		.amdhsa_user_sgpr_kernarg_segment_ptr 1
		.amdhsa_user_sgpr_dispatch_id 0
		.amdhsa_user_sgpr_flat_scratch_init 0
		.amdhsa_user_sgpr_kernarg_preload_length 0
		.amdhsa_user_sgpr_kernarg_preload_offset 0
		.amdhsa_user_sgpr_private_segment_size 0
		.amdhsa_uses_dynamic_stack 0
		.amdhsa_system_sgpr_private_segment_wavefront_offset 0
		.amdhsa_system_sgpr_workgroup_id_x 1
		.amdhsa_system_sgpr_workgroup_id_y 0
		.amdhsa_system_sgpr_workgroup_id_z 0
		.amdhsa_system_sgpr_workgroup_info 0
		.amdhsa_system_vgpr_workitem_id 0
		.amdhsa_next_free_vgpr 14
		.amdhsa_next_free_sgpr 10
		.amdhsa_accum_offset 16
		.amdhsa_reserve_vcc 1
		.amdhsa_reserve_flat_scratch 0
		.amdhsa_float_round_mode_32 0
		.amdhsa_float_round_mode_16_64 0
		.amdhsa_float_denorm_mode_32 3
		.amdhsa_float_denorm_mode_16_64 3
		.amdhsa_dx10_clamp 1
		.amdhsa_ieee_mode 1
		.amdhsa_fp16_overflow 0
		.amdhsa_tg_split 0
		.amdhsa_exception_fp_ieee_invalid_op 0
		.amdhsa_exception_fp_denorm_src 0
		.amdhsa_exception_fp_ieee_div_zero 0
		.amdhsa_exception_fp_ieee_overflow 0
		.amdhsa_exception_fp_ieee_underflow 0
		.amdhsa_exception_fp_ieee_inexact 0
		.amdhsa_exception_int_div_zero 0
	.end_amdhsa_kernel
	.section	.text._Z37exclusive_scan_prefix_callback_kernelILj64ELN6hipcub18BlockScanAlgorithmE0ElEvPT1_S3_S2_,"axG",@progbits,_Z37exclusive_scan_prefix_callback_kernelILj64ELN6hipcub18BlockScanAlgorithmE0ElEvPT1_S3_S2_,comdat
.Lfunc_end132:
	.size	_Z37exclusive_scan_prefix_callback_kernelILj64ELN6hipcub18BlockScanAlgorithmE0ElEvPT1_S3_S2_, .Lfunc_end132-_Z37exclusive_scan_prefix_callback_kernelILj64ELN6hipcub18BlockScanAlgorithmE0ElEvPT1_S3_S2_
                                        ; -- End function
	.section	.AMDGPU.csdata,"",@progbits
; Kernel info:
; codeLenInByte = 616
; NumSgprs: 14
; NumVgprs: 14
; NumAgprs: 0
; TotalNumVgprs: 14
; ScratchSize: 0
; MemoryBound: 0
; FloatMode: 240
; IeeeMode: 1
; LDSByteSize: 8 bytes/workgroup (compile time only)
; SGPRBlocks: 1
; VGPRBlocks: 1
; NumSGPRsForWavesPerEU: 14
; NumVGPRsForWavesPerEU: 14
; AccumOffset: 16
; Occupancy: 8
; WaveLimiterHint : 0
; COMPUTE_PGM_RSRC2:SCRATCH_EN: 0
; COMPUTE_PGM_RSRC2:USER_SGPR: 6
; COMPUTE_PGM_RSRC2:TRAP_HANDLER: 0
; COMPUTE_PGM_RSRC2:TGID_X_EN: 1
; COMPUTE_PGM_RSRC2:TGID_Y_EN: 0
; COMPUTE_PGM_RSRC2:TGID_Z_EN: 0
; COMPUTE_PGM_RSRC2:TIDIG_COMP_CNT: 0
; COMPUTE_PGM_RSRC3_GFX90A:ACCUM_OFFSET: 3
; COMPUTE_PGM_RSRC3_GFX90A:TG_SPLIT: 0
	.section	.text._Z37exclusive_scan_prefix_callback_kernelILj377ELN6hipcub18BlockScanAlgorithmE0EjEvPT1_S3_S2_,"axG",@progbits,_Z37exclusive_scan_prefix_callback_kernelILj377ELN6hipcub18BlockScanAlgorithmE0EjEvPT1_S3_S2_,comdat
	.protected	_Z37exclusive_scan_prefix_callback_kernelILj377ELN6hipcub18BlockScanAlgorithmE0EjEvPT1_S3_S2_ ; -- Begin function _Z37exclusive_scan_prefix_callback_kernelILj377ELN6hipcub18BlockScanAlgorithmE0EjEvPT1_S3_S2_
	.globl	_Z37exclusive_scan_prefix_callback_kernelILj377ELN6hipcub18BlockScanAlgorithmE0EjEvPT1_S3_S2_
	.p2align	8
	.type	_Z37exclusive_scan_prefix_callback_kernelILj377ELN6hipcub18BlockScanAlgorithmE0EjEvPT1_S3_S2_,@function
_Z37exclusive_scan_prefix_callback_kernelILj377ELN6hipcub18BlockScanAlgorithmE0EjEvPT1_S3_S2_: ; @_Z37exclusive_scan_prefix_callback_kernelILj377ELN6hipcub18BlockScanAlgorithmE0EjEvPT1_S3_S2_
; %bb.0:
	s_load_dwordx4 s[0:3], s[4:5], 0x0
	s_mul_i32 s7, s6, 0x179
	v_add_u32_e32 v2, s7, v0
	v_mov_b32_e32 v3, 0
	v_lshlrev_b64 v[2:3], 2, v[2:3]
	s_waitcnt lgkmcnt(0)
	v_mov_b32_e32 v1, s1
	v_add_co_u32_e32 v2, vcc, s0, v2
	v_addc_co_u32_e32 v3, vcc, v1, v3, vcc
	global_load_dword v5, v[2:3], off
	v_mbcnt_lo_u32_b32 v1, -1, 0
	v_mbcnt_hi_u32_b32 v1, -1, v1
	v_and_b32_e32 v7, 15, v1
	v_cmp_ne_u32_e32 vcc, 0, v7
	v_bfe_i32 v8, v1, 4, 1
	v_and_b32_e32 v6, 0x1c0, v0
	v_min_u32_e32 v6, 0x139, v6
	v_add_u32_e32 v6, 63, v6
	v_lshrrev_b32_e32 v4, 6, v0
	s_waitcnt vmcnt(0)
	v_mov_b32_dpp v9, v5 row_shr:1 row_mask:0xf bank_mask:0xf
	v_cndmask_b32_e32 v9, 0, v9, vcc
	v_add_u32_e32 v5, v9, v5
	v_cmp_lt_u32_e32 vcc, 1, v7
	s_nop 0
	v_mov_b32_dpp v9, v5 row_shr:2 row_mask:0xf bank_mask:0xf
	v_cndmask_b32_e32 v9, 0, v9, vcc
	v_add_u32_e32 v5, v5, v9
	v_cmp_lt_u32_e32 vcc, 3, v7
	s_nop 0
	;; [unrolled: 5-line block ×4, first 2 shown]
	v_mov_b32_dpp v7, v5 row_bcast:15 row_mask:0xf bank_mask:0xf
	v_and_b32_e32 v7, v8, v7
	v_add_u32_e32 v5, v5, v7
	s_nop 1
	v_mov_b32_dpp v7, v5 row_bcast:31 row_mask:0xf bank_mask:0xf
	v_cndmask_b32_e32 v7, 0, v7, vcc
	v_add_u32_e32 v5, v5, v7
	v_cmp_eq_u32_e32 vcc, v6, v0
	s_and_saveexec_b64 s[0:1], vcc
	s_cbranch_execz .LBB133_2
; %bb.1:
	v_lshlrev_b32_e32 v6, 2, v4
	ds_write_b32 v6, v5
.LBB133_2:
	s_or_b64 exec, exec, s[0:1]
	v_cmp_gt_u32_e32 vcc, 6, v0
	s_waitcnt lgkmcnt(0)
	s_barrier
	s_and_saveexec_b64 s[0:1], vcc
	s_cbranch_execz .LBB133_4
; %bb.3:
	v_lshlrev_b32_e32 v6, 2, v0
	ds_read_b32 v7, v6
	v_and_b32_e32 v8, 7, v1
	v_cmp_ne_u32_e32 vcc, 0, v8
	s_waitcnt lgkmcnt(0)
	v_mov_b32_dpp v9, v7 row_shr:1 row_mask:0xf bank_mask:0xf
	v_cndmask_b32_e32 v9, 0, v9, vcc
	v_add_u32_e32 v7, v9, v7
	v_cmp_lt_u32_e32 vcc, 1, v8
	s_nop 0
	v_mov_b32_dpp v9, v7 row_shr:2 row_mask:0xf bank_mask:0xf
	v_cndmask_b32_e32 v9, 0, v9, vcc
	v_add_u32_e32 v7, v7, v9
	v_cmp_lt_u32_e32 vcc, 3, v8
	s_nop 0
	v_mov_b32_dpp v9, v7 row_shr:4 row_mask:0xf bank_mask:0xf
	v_cndmask_b32_e32 v8, 0, v9, vcc
	v_add_u32_e32 v7, v7, v8
	ds_write_b32 v6, v7
.LBB133_4:
	s_or_b64 exec, exec, s[0:1]
	v_cmp_gt_u32_e32 vcc, 64, v0
	v_cmp_lt_u32_e64 s[0:1], 63, v0
	s_waitcnt lgkmcnt(0)
	s_barrier
	s_waitcnt lgkmcnt(0)
                                        ; implicit-def: $vgpr6
	s_and_saveexec_b64 s[8:9], s[0:1]
	s_cbranch_execz .LBB133_6
; %bb.5:
	v_lshl_add_u32 v4, v4, 2, -4
	ds_read_b32 v6, v4
	s_waitcnt lgkmcnt(0)
	v_add_u32_e32 v5, v6, v5
.LBB133_6:
	s_or_b64 exec, exec, s[8:9]
	v_add_u32_e32 v4, -1, v1
	v_and_b32_e32 v7, 64, v1
	v_cmp_lt_i32_e64 s[0:1], v4, v7
	v_cndmask_b32_e64 v4, v4, v1, s[0:1]
	s_load_dword s7, s[4:5], 0x10
	v_lshlrev_b32_e32 v4, 2, v4
	ds_bpermute_b32 v5, v4, v5
	s_waitcnt lgkmcnt(0)
	v_mov_b32_e32 v4, s7
	s_and_saveexec_b64 s[0:1], vcc
	s_cbranch_execz .LBB133_10
; %bb.7:
	v_mov_b32_e32 v7, 0
	ds_read_b32 v4, v7 offset:20
	v_cmp_eq_u32_e32 vcc, 0, v0
	s_and_saveexec_b64 s[4:5], vcc
	s_cbranch_execz .LBB133_9
; %bb.8:
	v_mov_b32_e32 v8, s7
	ds_write_b32 v7, v8 offset:20
.LBB133_9:
	s_or_b64 exec, exec, s[4:5]
	s_waitcnt lgkmcnt(0)
	v_add_u32_e32 v4, s7, v4
.LBB133_10:
	s_or_b64 exec, exec, s[0:1]
	v_mov_b32_e32 v7, 0
	s_barrier
	ds_read_b32 v8, v7 offset:20
	v_cmp_eq_u32_e32 vcc, 0, v1
	v_cndmask_b32_e32 v1, v5, v6, vcc
	v_cmp_eq_u32_e32 vcc, 0, v0
	v_cndmask_b32_e64 v0, v1, 0, vcc
	s_mov_b32 s7, 0
	s_waitcnt lgkmcnt(0)
	v_add_u32_e32 v0, v8, v0
	global_store_dword v[2:3], v0, off
	s_and_saveexec_b64 s[0:1], vcc
	s_cbranch_execz .LBB133_12
; %bb.11:
	s_lshl_b64 s[0:1], s[6:7], 2
	s_add_u32 s0, s2, s0
	s_addc_u32 s1, s3, s1
	global_store_dword v7, v4, s[0:1]
.LBB133_12:
	s_endpgm
	.section	.rodata,"a",@progbits
	.p2align	6, 0x0
	.amdhsa_kernel _Z37exclusive_scan_prefix_callback_kernelILj377ELN6hipcub18BlockScanAlgorithmE0EjEvPT1_S3_S2_
		.amdhsa_group_segment_fixed_size 24
		.amdhsa_private_segment_fixed_size 0
		.amdhsa_kernarg_size 20
		.amdhsa_user_sgpr_count 6
		.amdhsa_user_sgpr_private_segment_buffer 1
		.amdhsa_user_sgpr_dispatch_ptr 0
		.amdhsa_user_sgpr_queue_ptr 0
		.amdhsa_user_sgpr_kernarg_segment_ptr 1
		.amdhsa_user_sgpr_dispatch_id 0
		.amdhsa_user_sgpr_flat_scratch_init 0
		.amdhsa_user_sgpr_kernarg_preload_length 0
		.amdhsa_user_sgpr_kernarg_preload_offset 0
		.amdhsa_user_sgpr_private_segment_size 0
		.amdhsa_uses_dynamic_stack 0
		.amdhsa_system_sgpr_private_segment_wavefront_offset 0
		.amdhsa_system_sgpr_workgroup_id_x 1
		.amdhsa_system_sgpr_workgroup_id_y 0
		.amdhsa_system_sgpr_workgroup_id_z 0
		.amdhsa_system_sgpr_workgroup_info 0
		.amdhsa_system_vgpr_workitem_id 0
		.amdhsa_next_free_vgpr 10
		.amdhsa_next_free_sgpr 10
		.amdhsa_accum_offset 12
		.amdhsa_reserve_vcc 1
		.amdhsa_reserve_flat_scratch 0
		.amdhsa_float_round_mode_32 0
		.amdhsa_float_round_mode_16_64 0
		.amdhsa_float_denorm_mode_32 3
		.amdhsa_float_denorm_mode_16_64 3
		.amdhsa_dx10_clamp 1
		.amdhsa_ieee_mode 1
		.amdhsa_fp16_overflow 0
		.amdhsa_tg_split 0
		.amdhsa_exception_fp_ieee_invalid_op 0
		.amdhsa_exception_fp_denorm_src 0
		.amdhsa_exception_fp_ieee_div_zero 0
		.amdhsa_exception_fp_ieee_overflow 0
		.amdhsa_exception_fp_ieee_underflow 0
		.amdhsa_exception_fp_ieee_inexact 0
		.amdhsa_exception_int_div_zero 0
	.end_amdhsa_kernel
	.section	.text._Z37exclusive_scan_prefix_callback_kernelILj377ELN6hipcub18BlockScanAlgorithmE0EjEvPT1_S3_S2_,"axG",@progbits,_Z37exclusive_scan_prefix_callback_kernelILj377ELN6hipcub18BlockScanAlgorithmE0EjEvPT1_S3_S2_,comdat
.Lfunc_end133:
	.size	_Z37exclusive_scan_prefix_callback_kernelILj377ELN6hipcub18BlockScanAlgorithmE0EjEvPT1_S3_S2_, .Lfunc_end133-_Z37exclusive_scan_prefix_callback_kernelILj377ELN6hipcub18BlockScanAlgorithmE0EjEvPT1_S3_S2_
                                        ; -- End function
	.section	.AMDGPU.csdata,"",@progbits
; Kernel info:
; codeLenInByte = 656
; NumSgprs: 14
; NumVgprs: 10
; NumAgprs: 0
; TotalNumVgprs: 10
; ScratchSize: 0
; MemoryBound: 0
; FloatMode: 240
; IeeeMode: 1
; LDSByteSize: 24 bytes/workgroup (compile time only)
; SGPRBlocks: 1
; VGPRBlocks: 1
; NumSGPRsForWavesPerEU: 14
; NumVGPRsForWavesPerEU: 10
; AccumOffset: 12
; Occupancy: 8
; WaveLimiterHint : 0
; COMPUTE_PGM_RSRC2:SCRATCH_EN: 0
; COMPUTE_PGM_RSRC2:USER_SGPR: 6
; COMPUTE_PGM_RSRC2:TRAP_HANDLER: 0
; COMPUTE_PGM_RSRC2:TGID_X_EN: 1
; COMPUTE_PGM_RSRC2:TGID_Y_EN: 0
; COMPUTE_PGM_RSRC2:TGID_Z_EN: 0
; COMPUTE_PGM_RSRC2:TIDIG_COMP_CNT: 0
; COMPUTE_PGM_RSRC3_GFX90A:ACCUM_OFFSET: 2
; COMPUTE_PGM_RSRC3_GFX90A:TG_SPLIT: 0
	.section	.text._Z37exclusive_scan_prefix_callback_kernelILj256ELN6hipcub18BlockScanAlgorithmE0EjEvPT1_S3_S2_,"axG",@progbits,_Z37exclusive_scan_prefix_callback_kernelILj256ELN6hipcub18BlockScanAlgorithmE0EjEvPT1_S3_S2_,comdat
	.protected	_Z37exclusive_scan_prefix_callback_kernelILj256ELN6hipcub18BlockScanAlgorithmE0EjEvPT1_S3_S2_ ; -- Begin function _Z37exclusive_scan_prefix_callback_kernelILj256ELN6hipcub18BlockScanAlgorithmE0EjEvPT1_S3_S2_
	.globl	_Z37exclusive_scan_prefix_callback_kernelILj256ELN6hipcub18BlockScanAlgorithmE0EjEvPT1_S3_S2_
	.p2align	8
	.type	_Z37exclusive_scan_prefix_callback_kernelILj256ELN6hipcub18BlockScanAlgorithmE0EjEvPT1_S3_S2_,@function
_Z37exclusive_scan_prefix_callback_kernelILj256ELN6hipcub18BlockScanAlgorithmE0EjEvPT1_S3_S2_: ; @_Z37exclusive_scan_prefix_callback_kernelILj256ELN6hipcub18BlockScanAlgorithmE0EjEvPT1_S3_S2_
; %bb.0:
	s_load_dwordx4 s[0:3], s[4:5], 0x0
	v_lshl_or_b32 v2, s6, 8, v0
	v_mov_b32_e32 v3, 0
	v_lshlrev_b64 v[2:3], 2, v[2:3]
	v_or_b32_e32 v6, 63, v0
	s_waitcnt lgkmcnt(0)
	v_mov_b32_e32 v1, s1
	v_add_co_u32_e32 v2, vcc, s0, v2
	v_addc_co_u32_e32 v3, vcc, v1, v3, vcc
	global_load_dword v5, v[2:3], off
	v_mbcnt_lo_u32_b32 v1, -1, 0
	v_mbcnt_hi_u32_b32 v1, -1, v1
	v_and_b32_e32 v7, 15, v1
	v_cmp_ne_u32_e32 vcc, 0, v7
	v_bfe_i32 v8, v1, 4, 1
	v_lshrrev_b32_e32 v4, 6, v0
	s_waitcnt vmcnt(0)
	v_mov_b32_dpp v9, v5 row_shr:1 row_mask:0xf bank_mask:0xf
	v_cndmask_b32_e32 v9, 0, v9, vcc
	v_add_u32_e32 v5, v9, v5
	v_cmp_lt_u32_e32 vcc, 1, v7
	s_nop 0
	v_mov_b32_dpp v9, v5 row_shr:2 row_mask:0xf bank_mask:0xf
	v_cndmask_b32_e32 v9, 0, v9, vcc
	v_add_u32_e32 v5, v5, v9
	v_cmp_lt_u32_e32 vcc, 3, v7
	s_nop 0
	;; [unrolled: 5-line block ×4, first 2 shown]
	v_mov_b32_dpp v7, v5 row_bcast:15 row_mask:0xf bank_mask:0xf
	v_and_b32_e32 v7, v8, v7
	v_add_u32_e32 v5, v5, v7
	s_nop 1
	v_mov_b32_dpp v7, v5 row_bcast:31 row_mask:0xf bank_mask:0xf
	v_cndmask_b32_e32 v7, 0, v7, vcc
	v_add_u32_e32 v5, v5, v7
	v_cmp_eq_u32_e32 vcc, v6, v0
	s_and_saveexec_b64 s[0:1], vcc
	s_cbranch_execz .LBB134_2
; %bb.1:
	v_lshlrev_b32_e32 v6, 2, v4
	ds_write_b32 v6, v5
.LBB134_2:
	s_or_b64 exec, exec, s[0:1]
	v_cmp_gt_u32_e32 vcc, 4, v0
	s_waitcnt lgkmcnt(0)
	s_barrier
	s_and_saveexec_b64 s[0:1], vcc
	s_cbranch_execz .LBB134_4
; %bb.3:
	v_lshlrev_b32_e32 v6, 2, v0
	ds_read_b32 v7, v6
	v_and_b32_e32 v8, 3, v1
	v_cmp_ne_u32_e32 vcc, 0, v8
	s_waitcnt lgkmcnt(0)
	v_mov_b32_dpp v9, v7 row_shr:1 row_mask:0xf bank_mask:0xf
	v_cndmask_b32_e32 v9, 0, v9, vcc
	v_add_u32_e32 v7, v9, v7
	v_cmp_lt_u32_e32 vcc, 1, v8
	s_nop 0
	v_mov_b32_dpp v9, v7 row_shr:2 row_mask:0xf bank_mask:0xf
	v_cndmask_b32_e32 v8, 0, v9, vcc
	v_add_u32_e32 v7, v7, v8
	ds_write_b32 v6, v7
.LBB134_4:
	s_or_b64 exec, exec, s[0:1]
	v_cmp_gt_u32_e32 vcc, 64, v0
	v_cmp_lt_u32_e64 s[0:1], 63, v0
	s_waitcnt lgkmcnt(0)
	s_barrier
	s_waitcnt lgkmcnt(0)
                                        ; implicit-def: $vgpr6
	s_and_saveexec_b64 s[8:9], s[0:1]
	s_cbranch_execz .LBB134_6
; %bb.5:
	v_lshl_add_u32 v4, v4, 2, -4
	ds_read_b32 v6, v4
	s_waitcnt lgkmcnt(0)
	v_add_u32_e32 v5, v6, v5
.LBB134_6:
	s_or_b64 exec, exec, s[8:9]
	v_add_u32_e32 v4, -1, v1
	v_and_b32_e32 v7, 64, v1
	v_cmp_lt_i32_e64 s[0:1], v4, v7
	v_cndmask_b32_e64 v4, v4, v1, s[0:1]
	s_load_dword s7, s[4:5], 0x10
	v_lshlrev_b32_e32 v4, 2, v4
	ds_bpermute_b32 v5, v4, v5
	s_waitcnt lgkmcnt(0)
	v_mov_b32_e32 v4, s7
	s_and_saveexec_b64 s[0:1], vcc
	s_cbranch_execz .LBB134_10
; %bb.7:
	v_mov_b32_e32 v7, 0
	ds_read_b32 v4, v7 offset:12
	v_cmp_eq_u32_e32 vcc, 0, v0
	s_and_saveexec_b64 s[4:5], vcc
	s_cbranch_execz .LBB134_9
; %bb.8:
	v_mov_b32_e32 v8, s7
	ds_write_b32 v7, v8 offset:12
.LBB134_9:
	s_or_b64 exec, exec, s[4:5]
	s_waitcnt lgkmcnt(0)
	v_add_u32_e32 v4, s7, v4
.LBB134_10:
	s_or_b64 exec, exec, s[0:1]
	v_mov_b32_e32 v7, 0
	s_barrier
	ds_read_b32 v8, v7 offset:12
	v_cmp_eq_u32_e32 vcc, 0, v1
	v_cndmask_b32_e32 v1, v5, v6, vcc
	v_cmp_eq_u32_e32 vcc, 0, v0
	v_cndmask_b32_e64 v0, v1, 0, vcc
	s_mov_b32 s7, 0
	s_waitcnt lgkmcnt(0)
	v_add_u32_e32 v0, v8, v0
	global_store_dword v[2:3], v0, off
	s_and_saveexec_b64 s[0:1], vcc
	s_cbranch_execz .LBB134_12
; %bb.11:
	s_lshl_b64 s[0:1], s[6:7], 2
	s_add_u32 s0, s2, s0
	s_addc_u32 s1, s3, s1
	global_store_dword v7, v4, s[0:1]
.LBB134_12:
	s_endpgm
	.section	.rodata,"a",@progbits
	.p2align	6, 0x0
	.amdhsa_kernel _Z37exclusive_scan_prefix_callback_kernelILj256ELN6hipcub18BlockScanAlgorithmE0EjEvPT1_S3_S2_
		.amdhsa_group_segment_fixed_size 16
		.amdhsa_private_segment_fixed_size 0
		.amdhsa_kernarg_size 20
		.amdhsa_user_sgpr_count 6
		.amdhsa_user_sgpr_private_segment_buffer 1
		.amdhsa_user_sgpr_dispatch_ptr 0
		.amdhsa_user_sgpr_queue_ptr 0
		.amdhsa_user_sgpr_kernarg_segment_ptr 1
		.amdhsa_user_sgpr_dispatch_id 0
		.amdhsa_user_sgpr_flat_scratch_init 0
		.amdhsa_user_sgpr_kernarg_preload_length 0
		.amdhsa_user_sgpr_kernarg_preload_offset 0
		.amdhsa_user_sgpr_private_segment_size 0
		.amdhsa_uses_dynamic_stack 0
		.amdhsa_system_sgpr_private_segment_wavefront_offset 0
		.amdhsa_system_sgpr_workgroup_id_x 1
		.amdhsa_system_sgpr_workgroup_id_y 0
		.amdhsa_system_sgpr_workgroup_id_z 0
		.amdhsa_system_sgpr_workgroup_info 0
		.amdhsa_system_vgpr_workitem_id 0
		.amdhsa_next_free_vgpr 10
		.amdhsa_next_free_sgpr 10
		.amdhsa_accum_offset 12
		.amdhsa_reserve_vcc 1
		.amdhsa_reserve_flat_scratch 0
		.amdhsa_float_round_mode_32 0
		.amdhsa_float_round_mode_16_64 0
		.amdhsa_float_denorm_mode_32 3
		.amdhsa_float_denorm_mode_16_64 3
		.amdhsa_dx10_clamp 1
		.amdhsa_ieee_mode 1
		.amdhsa_fp16_overflow 0
		.amdhsa_tg_split 0
		.amdhsa_exception_fp_ieee_invalid_op 0
		.amdhsa_exception_fp_denorm_src 0
		.amdhsa_exception_fp_ieee_div_zero 0
		.amdhsa_exception_fp_ieee_overflow 0
		.amdhsa_exception_fp_ieee_underflow 0
		.amdhsa_exception_fp_ieee_inexact 0
		.amdhsa_exception_int_div_zero 0
	.end_amdhsa_kernel
	.section	.text._Z37exclusive_scan_prefix_callback_kernelILj256ELN6hipcub18BlockScanAlgorithmE0EjEvPT1_S3_S2_,"axG",@progbits,_Z37exclusive_scan_prefix_callback_kernelILj256ELN6hipcub18BlockScanAlgorithmE0EjEvPT1_S3_S2_,comdat
.Lfunc_end134:
	.size	_Z37exclusive_scan_prefix_callback_kernelILj256ELN6hipcub18BlockScanAlgorithmE0EjEvPT1_S3_S2_, .Lfunc_end134-_Z37exclusive_scan_prefix_callback_kernelILj256ELN6hipcub18BlockScanAlgorithmE0EjEvPT1_S3_S2_
                                        ; -- End function
	.section	.AMDGPU.csdata,"",@progbits
; Kernel info:
; codeLenInByte = 612
; NumSgprs: 14
; NumVgprs: 10
; NumAgprs: 0
; TotalNumVgprs: 10
; ScratchSize: 0
; MemoryBound: 0
; FloatMode: 240
; IeeeMode: 1
; LDSByteSize: 16 bytes/workgroup (compile time only)
; SGPRBlocks: 1
; VGPRBlocks: 1
; NumSGPRsForWavesPerEU: 14
; NumVGPRsForWavesPerEU: 10
; AccumOffset: 12
; Occupancy: 8
; WaveLimiterHint : 0
; COMPUTE_PGM_RSRC2:SCRATCH_EN: 0
; COMPUTE_PGM_RSRC2:USER_SGPR: 6
; COMPUTE_PGM_RSRC2:TRAP_HANDLER: 0
; COMPUTE_PGM_RSRC2:TGID_X_EN: 1
; COMPUTE_PGM_RSRC2:TGID_Y_EN: 0
; COMPUTE_PGM_RSRC2:TGID_Z_EN: 0
; COMPUTE_PGM_RSRC2:TIDIG_COMP_CNT: 0
; COMPUTE_PGM_RSRC3_GFX90A:ACCUM_OFFSET: 2
; COMPUTE_PGM_RSRC3_GFX90A:TG_SPLIT: 0
	.section	.text._Z37exclusive_scan_prefix_callback_kernelILj64ELN6hipcub18BlockScanAlgorithmE0EjEvPT1_S3_S2_,"axG",@progbits,_Z37exclusive_scan_prefix_callback_kernelILj64ELN6hipcub18BlockScanAlgorithmE0EjEvPT1_S3_S2_,comdat
	.protected	_Z37exclusive_scan_prefix_callback_kernelILj64ELN6hipcub18BlockScanAlgorithmE0EjEvPT1_S3_S2_ ; -- Begin function _Z37exclusive_scan_prefix_callback_kernelILj64ELN6hipcub18BlockScanAlgorithmE0EjEvPT1_S3_S2_
	.globl	_Z37exclusive_scan_prefix_callback_kernelILj64ELN6hipcub18BlockScanAlgorithmE0EjEvPT1_S3_S2_
	.p2align	8
	.type	_Z37exclusive_scan_prefix_callback_kernelILj64ELN6hipcub18BlockScanAlgorithmE0EjEvPT1_S3_S2_,@function
_Z37exclusive_scan_prefix_callback_kernelILj64ELN6hipcub18BlockScanAlgorithmE0EjEvPT1_S3_S2_: ; @_Z37exclusive_scan_prefix_callback_kernelILj64ELN6hipcub18BlockScanAlgorithmE0EjEvPT1_S3_S2_
; %bb.0:
	s_load_dwordx4 s[0:3], s[4:5], 0x0
	v_lshl_or_b32 v4, s6, 6, v0
	v_mov_b32_e32 v5, 0
	v_lshlrev_b64 v[2:3], 2, v[4:5]
	s_waitcnt lgkmcnt(0)
	v_mov_b32_e32 v1, s1
	v_add_co_u32_e32 v2, vcc, s0, v2
	v_addc_co_u32_e32 v3, vcc, v1, v3, vcc
	global_load_dword v4, v[2:3], off
	v_mbcnt_lo_u32_b32 v1, -1, 0
	v_mbcnt_hi_u32_b32 v1, -1, v1
	v_and_b32_e32 v6, 15, v1
	v_cmp_ne_u32_e32 vcc, 0, v6
	v_bfe_i32 v7, v1, 4, 1
	s_waitcnt vmcnt(0)
	v_mov_b32_dpp v8, v4 row_shr:1 row_mask:0xf bank_mask:0xf
	v_cndmask_b32_e32 v8, 0, v8, vcc
	v_add_u32_e32 v4, v8, v4
	v_cmp_lt_u32_e32 vcc, 1, v6
	s_nop 0
	v_mov_b32_dpp v8, v4 row_shr:2 row_mask:0xf bank_mask:0xf
	v_cndmask_b32_e32 v8, 0, v8, vcc
	v_add_u32_e32 v4, v4, v8
	v_cmp_lt_u32_e32 vcc, 3, v6
	s_nop 0
	;; [unrolled: 5-line block ×4, first 2 shown]
	v_mov_b32_dpp v6, v4 row_bcast:15 row_mask:0xf bank_mask:0xf
	v_and_b32_e32 v6, v7, v6
	v_add_u32_e32 v4, v4, v6
	s_nop 1
	v_mov_b32_dpp v6, v4 row_bcast:31 row_mask:0xf bank_mask:0xf
	v_cndmask_b32_e32 v6, 0, v6, vcc
	v_add_u32_e32 v4, v4, v6
	v_cmp_eq_u32_e32 vcc, 63, v0
	s_and_saveexec_b64 s[0:1], vcc
	s_cbranch_execz .LBB135_2
; %bb.1:
	ds_write_b32 v5, v4
.LBB135_2:
	s_or_b64 exec, exec, s[0:1]
	v_add_u32_e32 v5, -1, v1
	v_and_b32_e32 v6, 64, v1
	v_cmp_lt_i32_e32 vcc, v5, v6
	v_cndmask_b32_e32 v1, v5, v1, vcc
	s_load_dword s7, s[4:5], 0x10
	v_lshlrev_b32_e32 v1, 2, v1
	ds_bpermute_b32 v1, v1, v4
	v_cmp_gt_u32_e32 vcc, 64, v0
	s_waitcnt lgkmcnt(0)
	v_mov_b32_e32 v4, s7
	; wave barrier
	s_and_saveexec_b64 s[0:1], vcc
	s_cbranch_execz .LBB135_6
; %bb.3:
	v_mov_b32_e32 v5, 0
	ds_read_b32 v4, v5
	v_cmp_eq_u32_e32 vcc, 0, v0
	s_and_saveexec_b64 s[4:5], vcc
	s_cbranch_execz .LBB135_5
; %bb.4:
	v_mov_b32_e32 v6, s7
	ds_write_b32 v5, v6
.LBB135_5:
	s_or_b64 exec, exec, s[4:5]
	s_waitcnt lgkmcnt(0)
	v_add_u32_e32 v4, s7, v4
.LBB135_6:
	s_or_b64 exec, exec, s[0:1]
	v_mov_b32_e32 v5, 0
	s_waitcnt lgkmcnt(0)
	; wave barrier
	ds_read_b32 v6, v5
	v_cmp_eq_u32_e32 vcc, 0, v0
	v_cndmask_b32_e64 v0, v1, 0, vcc
	s_mov_b32 s7, 0
	s_waitcnt lgkmcnt(0)
	v_add_u32_e32 v0, v6, v0
	global_store_dword v[2:3], v0, off
	s_and_saveexec_b64 s[0:1], vcc
	s_cbranch_execz .LBB135_8
; %bb.7:
	s_lshl_b64 s[0:1], s[6:7], 2
	s_add_u32 s0, s2, s0
	s_addc_u32 s1, s3, s1
	global_store_dword v5, v4, s[0:1]
.LBB135_8:
	s_endpgm
	.section	.rodata,"a",@progbits
	.p2align	6, 0x0
	.amdhsa_kernel _Z37exclusive_scan_prefix_callback_kernelILj64ELN6hipcub18BlockScanAlgorithmE0EjEvPT1_S3_S2_
		.amdhsa_group_segment_fixed_size 4
		.amdhsa_private_segment_fixed_size 0
		.amdhsa_kernarg_size 20
		.amdhsa_user_sgpr_count 6
		.amdhsa_user_sgpr_private_segment_buffer 1
		.amdhsa_user_sgpr_dispatch_ptr 0
		.amdhsa_user_sgpr_queue_ptr 0
		.amdhsa_user_sgpr_kernarg_segment_ptr 1
		.amdhsa_user_sgpr_dispatch_id 0
		.amdhsa_user_sgpr_flat_scratch_init 0
		.amdhsa_user_sgpr_kernarg_preload_length 0
		.amdhsa_user_sgpr_kernarg_preload_offset 0
		.amdhsa_user_sgpr_private_segment_size 0
		.amdhsa_uses_dynamic_stack 0
		.amdhsa_system_sgpr_private_segment_wavefront_offset 0
		.amdhsa_system_sgpr_workgroup_id_x 1
		.amdhsa_system_sgpr_workgroup_id_y 0
		.amdhsa_system_sgpr_workgroup_id_z 0
		.amdhsa_system_sgpr_workgroup_info 0
		.amdhsa_system_vgpr_workitem_id 0
		.amdhsa_next_free_vgpr 9
		.amdhsa_next_free_sgpr 8
		.amdhsa_accum_offset 12
		.amdhsa_reserve_vcc 1
		.amdhsa_reserve_flat_scratch 0
		.amdhsa_float_round_mode_32 0
		.amdhsa_float_round_mode_16_64 0
		.amdhsa_float_denorm_mode_32 3
		.amdhsa_float_denorm_mode_16_64 3
		.amdhsa_dx10_clamp 1
		.amdhsa_ieee_mode 1
		.amdhsa_fp16_overflow 0
		.amdhsa_tg_split 0
		.amdhsa_exception_fp_ieee_invalid_op 0
		.amdhsa_exception_fp_denorm_src 0
		.amdhsa_exception_fp_ieee_div_zero 0
		.amdhsa_exception_fp_ieee_overflow 0
		.amdhsa_exception_fp_ieee_underflow 0
		.amdhsa_exception_fp_ieee_inexact 0
		.amdhsa_exception_int_div_zero 0
	.end_amdhsa_kernel
	.section	.text._Z37exclusive_scan_prefix_callback_kernelILj64ELN6hipcub18BlockScanAlgorithmE0EjEvPT1_S3_S2_,"axG",@progbits,_Z37exclusive_scan_prefix_callback_kernelILj64ELN6hipcub18BlockScanAlgorithmE0EjEvPT1_S3_S2_,comdat
.Lfunc_end135:
	.size	_Z37exclusive_scan_prefix_callback_kernelILj64ELN6hipcub18BlockScanAlgorithmE0EjEvPT1_S3_S2_, .Lfunc_end135-_Z37exclusive_scan_prefix_callback_kernelILj64ELN6hipcub18BlockScanAlgorithmE0EjEvPT1_S3_S2_
                                        ; -- End function
	.section	.AMDGPU.csdata,"",@progbits
; Kernel info:
; codeLenInByte = 432
; NumSgprs: 12
; NumVgprs: 9
; NumAgprs: 0
; TotalNumVgprs: 9
; ScratchSize: 0
; MemoryBound: 0
; FloatMode: 240
; IeeeMode: 1
; LDSByteSize: 4 bytes/workgroup (compile time only)
; SGPRBlocks: 1
; VGPRBlocks: 1
; NumSGPRsForWavesPerEU: 12
; NumVGPRsForWavesPerEU: 9
; AccumOffset: 12
; Occupancy: 8
; WaveLimiterHint : 0
; COMPUTE_PGM_RSRC2:SCRATCH_EN: 0
; COMPUTE_PGM_RSRC2:USER_SGPR: 6
; COMPUTE_PGM_RSRC2:TRAP_HANDLER: 0
; COMPUTE_PGM_RSRC2:TGID_X_EN: 1
; COMPUTE_PGM_RSRC2:TGID_Y_EN: 0
; COMPUTE_PGM_RSRC2:TGID_Z_EN: 0
; COMPUTE_PGM_RSRC2:TIDIG_COMP_CNT: 0
; COMPUTE_PGM_RSRC3_GFX90A:ACCUM_OFFSET: 2
; COMPUTE_PGM_RSRC3_GFX90A:TG_SPLIT: 0
	.section	.text._Z37exclusive_scan_prefix_callback_kernelILj255ELN6hipcub18BlockScanAlgorithmE0EiEvPT1_S3_S2_,"axG",@progbits,_Z37exclusive_scan_prefix_callback_kernelILj255ELN6hipcub18BlockScanAlgorithmE0EiEvPT1_S3_S2_,comdat
	.protected	_Z37exclusive_scan_prefix_callback_kernelILj255ELN6hipcub18BlockScanAlgorithmE0EiEvPT1_S3_S2_ ; -- Begin function _Z37exclusive_scan_prefix_callback_kernelILj255ELN6hipcub18BlockScanAlgorithmE0EiEvPT1_S3_S2_
	.globl	_Z37exclusive_scan_prefix_callback_kernelILj255ELN6hipcub18BlockScanAlgorithmE0EiEvPT1_S3_S2_
	.p2align	8
	.type	_Z37exclusive_scan_prefix_callback_kernelILj255ELN6hipcub18BlockScanAlgorithmE0EiEvPT1_S3_S2_,@function
_Z37exclusive_scan_prefix_callback_kernelILj255ELN6hipcub18BlockScanAlgorithmE0EiEvPT1_S3_S2_: ; @_Z37exclusive_scan_prefix_callback_kernelILj255ELN6hipcub18BlockScanAlgorithmE0EiEvPT1_S3_S2_
; %bb.0:
	s_load_dwordx4 s[0:3], s[4:5], 0x0
	s_mul_i32 s7, s6, 0xff
	v_add_u32_e32 v2, s7, v0
	v_mov_b32_e32 v3, 0
	v_lshlrev_b64 v[2:3], 2, v[2:3]
	s_waitcnt lgkmcnt(0)
	v_mov_b32_e32 v1, s1
	v_add_co_u32_e32 v2, vcc, s0, v2
	v_addc_co_u32_e32 v3, vcc, v1, v3, vcc
	global_load_dword v5, v[2:3], off
	v_mbcnt_lo_u32_b32 v1, -1, 0
	v_mbcnt_hi_u32_b32 v1, -1, v1
	v_and_b32_e32 v7, 15, v1
	v_cmp_ne_u32_e32 vcc, 0, v7
	v_bfe_i32 v8, v1, 4, 1
	v_and_b32_e32 v6, 0xc0, v0
	v_min_u32_e32 v6, 0xbf, v6
	v_add_u32_e32 v6, 63, v6
	v_lshrrev_b32_e32 v4, 6, v0
	s_waitcnt vmcnt(0)
	v_mov_b32_dpp v9, v5 row_shr:1 row_mask:0xf bank_mask:0xf
	v_cndmask_b32_e32 v9, 0, v9, vcc
	v_add_u32_e32 v5, v9, v5
	v_cmp_lt_u32_e32 vcc, 1, v7
	s_nop 0
	v_mov_b32_dpp v9, v5 row_shr:2 row_mask:0xf bank_mask:0xf
	v_cndmask_b32_e32 v9, 0, v9, vcc
	v_add_u32_e32 v5, v5, v9
	v_cmp_lt_u32_e32 vcc, 3, v7
	s_nop 0
	;; [unrolled: 5-line block ×4, first 2 shown]
	v_mov_b32_dpp v7, v5 row_bcast:15 row_mask:0xf bank_mask:0xf
	v_and_b32_e32 v7, v8, v7
	v_add_u32_e32 v5, v5, v7
	s_nop 1
	v_mov_b32_dpp v7, v5 row_bcast:31 row_mask:0xf bank_mask:0xf
	v_cndmask_b32_e32 v7, 0, v7, vcc
	v_add_u32_e32 v5, v5, v7
	v_cmp_eq_u32_e32 vcc, v6, v0
	s_and_saveexec_b64 s[0:1], vcc
	s_cbranch_execz .LBB136_2
; %bb.1:
	v_lshlrev_b32_e32 v6, 2, v4
	ds_write_b32 v6, v5
.LBB136_2:
	s_or_b64 exec, exec, s[0:1]
	v_cmp_gt_u32_e32 vcc, 4, v0
	s_waitcnt lgkmcnt(0)
	s_barrier
	s_and_saveexec_b64 s[0:1], vcc
	s_cbranch_execz .LBB136_4
; %bb.3:
	v_lshlrev_b32_e32 v6, 2, v0
	ds_read_b32 v7, v6
	v_and_b32_e32 v8, 3, v1
	v_cmp_ne_u32_e32 vcc, 0, v8
	s_waitcnt lgkmcnt(0)
	v_mov_b32_dpp v9, v7 row_shr:1 row_mask:0xf bank_mask:0xf
	v_cndmask_b32_e32 v9, 0, v9, vcc
	v_add_u32_e32 v7, v9, v7
	v_cmp_lt_u32_e32 vcc, 1, v8
	s_nop 0
	v_mov_b32_dpp v9, v7 row_shr:2 row_mask:0xf bank_mask:0xf
	v_cndmask_b32_e32 v8, 0, v9, vcc
	v_add_u32_e32 v7, v7, v8
	ds_write_b32 v6, v7
.LBB136_4:
	s_or_b64 exec, exec, s[0:1]
	v_cmp_gt_u32_e32 vcc, 64, v0
	v_cmp_lt_u32_e64 s[0:1], 63, v0
	s_waitcnt lgkmcnt(0)
	s_barrier
	s_waitcnt lgkmcnt(0)
                                        ; implicit-def: $vgpr6
	s_and_saveexec_b64 s[8:9], s[0:1]
	s_cbranch_execz .LBB136_6
; %bb.5:
	v_lshl_add_u32 v4, v4, 2, -4
	ds_read_b32 v6, v4
	s_waitcnt lgkmcnt(0)
	v_add_u32_e32 v5, v6, v5
.LBB136_6:
	s_or_b64 exec, exec, s[8:9]
	v_add_u32_e32 v4, -1, v1
	v_and_b32_e32 v7, 64, v1
	v_cmp_lt_i32_e64 s[0:1], v4, v7
	v_cndmask_b32_e64 v4, v4, v1, s[0:1]
	s_load_dword s7, s[4:5], 0x10
	v_lshlrev_b32_e32 v4, 2, v4
	ds_bpermute_b32 v5, v4, v5
	s_waitcnt lgkmcnt(0)
	v_mov_b32_e32 v4, s7
	s_and_saveexec_b64 s[0:1], vcc
	s_cbranch_execz .LBB136_10
; %bb.7:
	v_mov_b32_e32 v7, 0
	ds_read_b32 v4, v7 offset:12
	v_cmp_eq_u32_e32 vcc, 0, v0
	s_and_saveexec_b64 s[4:5], vcc
	s_cbranch_execz .LBB136_9
; %bb.8:
	v_mov_b32_e32 v8, s7
	ds_write_b32 v7, v8 offset:12
.LBB136_9:
	s_or_b64 exec, exec, s[4:5]
	s_waitcnt lgkmcnt(0)
	v_add_u32_e32 v4, s7, v4
.LBB136_10:
	s_or_b64 exec, exec, s[0:1]
	v_mov_b32_e32 v7, 0
	s_barrier
	ds_read_b32 v8, v7 offset:12
	v_cmp_eq_u32_e32 vcc, 0, v1
	v_cndmask_b32_e32 v1, v5, v6, vcc
	v_cmp_eq_u32_e32 vcc, 0, v0
	v_cndmask_b32_e64 v0, v1, 0, vcc
	s_mov_b32 s7, 0
	s_waitcnt lgkmcnt(0)
	v_add_u32_e32 v0, v8, v0
	global_store_dword v[2:3], v0, off
	s_and_saveexec_b64 s[0:1], vcc
	s_cbranch_execz .LBB136_12
; %bb.11:
	s_lshl_b64 s[0:1], s[6:7], 2
	s_add_u32 s0, s2, s0
	s_addc_u32 s1, s3, s1
	global_store_dword v7, v4, s[0:1]
.LBB136_12:
	s_endpgm
	.section	.rodata,"a",@progbits
	.p2align	6, 0x0
	.amdhsa_kernel _Z37exclusive_scan_prefix_callback_kernelILj255ELN6hipcub18BlockScanAlgorithmE0EiEvPT1_S3_S2_
		.amdhsa_group_segment_fixed_size 16
		.amdhsa_private_segment_fixed_size 0
		.amdhsa_kernarg_size 20
		.amdhsa_user_sgpr_count 6
		.amdhsa_user_sgpr_private_segment_buffer 1
		.amdhsa_user_sgpr_dispatch_ptr 0
		.amdhsa_user_sgpr_queue_ptr 0
		.amdhsa_user_sgpr_kernarg_segment_ptr 1
		.amdhsa_user_sgpr_dispatch_id 0
		.amdhsa_user_sgpr_flat_scratch_init 0
		.amdhsa_user_sgpr_kernarg_preload_length 0
		.amdhsa_user_sgpr_kernarg_preload_offset 0
		.amdhsa_user_sgpr_private_segment_size 0
		.amdhsa_uses_dynamic_stack 0
		.amdhsa_system_sgpr_private_segment_wavefront_offset 0
		.amdhsa_system_sgpr_workgroup_id_x 1
		.amdhsa_system_sgpr_workgroup_id_y 0
		.amdhsa_system_sgpr_workgroup_id_z 0
		.amdhsa_system_sgpr_workgroup_info 0
		.amdhsa_system_vgpr_workitem_id 0
		.amdhsa_next_free_vgpr 10
		.amdhsa_next_free_sgpr 10
		.amdhsa_accum_offset 12
		.amdhsa_reserve_vcc 1
		.amdhsa_reserve_flat_scratch 0
		.amdhsa_float_round_mode_32 0
		.amdhsa_float_round_mode_16_64 0
		.amdhsa_float_denorm_mode_32 3
		.amdhsa_float_denorm_mode_16_64 3
		.amdhsa_dx10_clamp 1
		.amdhsa_ieee_mode 1
		.amdhsa_fp16_overflow 0
		.amdhsa_tg_split 0
		.amdhsa_exception_fp_ieee_invalid_op 0
		.amdhsa_exception_fp_denorm_src 0
		.amdhsa_exception_fp_ieee_div_zero 0
		.amdhsa_exception_fp_ieee_overflow 0
		.amdhsa_exception_fp_ieee_underflow 0
		.amdhsa_exception_fp_ieee_inexact 0
		.amdhsa_exception_int_div_zero 0
	.end_amdhsa_kernel
	.section	.text._Z37exclusive_scan_prefix_callback_kernelILj255ELN6hipcub18BlockScanAlgorithmE0EiEvPT1_S3_S2_,"axG",@progbits,_Z37exclusive_scan_prefix_callback_kernelILj255ELN6hipcub18BlockScanAlgorithmE0EiEvPT1_S3_S2_,comdat
.Lfunc_end136:
	.size	_Z37exclusive_scan_prefix_callback_kernelILj255ELN6hipcub18BlockScanAlgorithmE0EiEvPT1_S3_S2_, .Lfunc_end136-_Z37exclusive_scan_prefix_callback_kernelILj255ELN6hipcub18BlockScanAlgorithmE0EiEvPT1_S3_S2_
                                        ; -- End function
	.section	.AMDGPU.csdata,"",@progbits
; Kernel info:
; codeLenInByte = 632
; NumSgprs: 14
; NumVgprs: 10
; NumAgprs: 0
; TotalNumVgprs: 10
; ScratchSize: 0
; MemoryBound: 0
; FloatMode: 240
; IeeeMode: 1
; LDSByteSize: 16 bytes/workgroup (compile time only)
; SGPRBlocks: 1
; VGPRBlocks: 1
; NumSGPRsForWavesPerEU: 14
; NumVGPRsForWavesPerEU: 10
; AccumOffset: 12
; Occupancy: 8
; WaveLimiterHint : 0
; COMPUTE_PGM_RSRC2:SCRATCH_EN: 0
; COMPUTE_PGM_RSRC2:USER_SGPR: 6
; COMPUTE_PGM_RSRC2:TRAP_HANDLER: 0
; COMPUTE_PGM_RSRC2:TGID_X_EN: 1
; COMPUTE_PGM_RSRC2:TGID_Y_EN: 0
; COMPUTE_PGM_RSRC2:TGID_Z_EN: 0
; COMPUTE_PGM_RSRC2:TIDIG_COMP_CNT: 0
; COMPUTE_PGM_RSRC3_GFX90A:ACCUM_OFFSET: 2
; COMPUTE_PGM_RSRC3_GFX90A:TG_SPLIT: 0
	.section	.text._Z37exclusive_scan_prefix_callback_kernelILj162ELN6hipcub18BlockScanAlgorithmE0EiEvPT1_S3_S2_,"axG",@progbits,_Z37exclusive_scan_prefix_callback_kernelILj162ELN6hipcub18BlockScanAlgorithmE0EiEvPT1_S3_S2_,comdat
	.protected	_Z37exclusive_scan_prefix_callback_kernelILj162ELN6hipcub18BlockScanAlgorithmE0EiEvPT1_S3_S2_ ; -- Begin function _Z37exclusive_scan_prefix_callback_kernelILj162ELN6hipcub18BlockScanAlgorithmE0EiEvPT1_S3_S2_
	.globl	_Z37exclusive_scan_prefix_callback_kernelILj162ELN6hipcub18BlockScanAlgorithmE0EiEvPT1_S3_S2_
	.p2align	8
	.type	_Z37exclusive_scan_prefix_callback_kernelILj162ELN6hipcub18BlockScanAlgorithmE0EiEvPT1_S3_S2_,@function
_Z37exclusive_scan_prefix_callback_kernelILj162ELN6hipcub18BlockScanAlgorithmE0EiEvPT1_S3_S2_: ; @_Z37exclusive_scan_prefix_callback_kernelILj162ELN6hipcub18BlockScanAlgorithmE0EiEvPT1_S3_S2_
; %bb.0:
	s_load_dwordx4 s[0:3], s[4:5], 0x0
	s_mul_i32 s7, s6, 0xa2
	v_add_u32_e32 v2, s7, v0
	v_mov_b32_e32 v3, 0
	v_lshlrev_b64 v[2:3], 2, v[2:3]
	s_waitcnt lgkmcnt(0)
	v_mov_b32_e32 v1, s1
	v_add_co_u32_e32 v2, vcc, s0, v2
	v_addc_co_u32_e32 v3, vcc, v1, v3, vcc
	global_load_dword v5, v[2:3], off
	v_mbcnt_lo_u32_b32 v1, -1, 0
	v_mbcnt_hi_u32_b32 v1, -1, v1
	v_and_b32_e32 v7, 15, v1
	v_cmp_ne_u32_e32 vcc, 0, v7
	v_bfe_i32 v8, v1, 4, 1
	v_and_b32_e32 v6, 0xc0, v0
	v_min_u32_e32 v6, 0x62, v6
	v_add_u32_e32 v6, 63, v6
	v_lshrrev_b32_e32 v4, 6, v0
	s_waitcnt vmcnt(0)
	v_mov_b32_dpp v9, v5 row_shr:1 row_mask:0xf bank_mask:0xf
	v_cndmask_b32_e32 v9, 0, v9, vcc
	v_add_u32_e32 v5, v9, v5
	v_cmp_lt_u32_e32 vcc, 1, v7
	s_nop 0
	v_mov_b32_dpp v9, v5 row_shr:2 row_mask:0xf bank_mask:0xf
	v_cndmask_b32_e32 v9, 0, v9, vcc
	v_add_u32_e32 v5, v5, v9
	v_cmp_lt_u32_e32 vcc, 3, v7
	s_nop 0
	;; [unrolled: 5-line block ×4, first 2 shown]
	v_mov_b32_dpp v7, v5 row_bcast:15 row_mask:0xf bank_mask:0xf
	v_and_b32_e32 v7, v8, v7
	v_add_u32_e32 v5, v5, v7
	s_nop 1
	v_mov_b32_dpp v7, v5 row_bcast:31 row_mask:0xf bank_mask:0xf
	v_cndmask_b32_e32 v7, 0, v7, vcc
	v_add_u32_e32 v5, v5, v7
	v_cmp_eq_u32_e32 vcc, v6, v0
	s_and_saveexec_b64 s[0:1], vcc
	s_cbranch_execz .LBB137_2
; %bb.1:
	v_lshlrev_b32_e32 v6, 2, v4
	ds_write_b32 v6, v5
.LBB137_2:
	s_or_b64 exec, exec, s[0:1]
	v_cmp_gt_u32_e32 vcc, 3, v0
	s_waitcnt lgkmcnt(0)
	s_barrier
	s_and_saveexec_b64 s[0:1], vcc
	s_cbranch_execz .LBB137_4
; %bb.3:
	v_lshlrev_b32_e32 v6, 2, v0
	ds_read_b32 v7, v6
	v_and_b32_e32 v8, 3, v1
	v_cmp_ne_u32_e32 vcc, 0, v8
	s_waitcnt lgkmcnt(0)
	v_mov_b32_dpp v9, v7 row_shr:1 row_mask:0xf bank_mask:0xf
	v_cndmask_b32_e32 v9, 0, v9, vcc
	v_add_u32_e32 v7, v9, v7
	v_cmp_lt_u32_e32 vcc, 1, v8
	s_nop 0
	v_mov_b32_dpp v9, v7 row_shr:2 row_mask:0xf bank_mask:0xf
	v_cndmask_b32_e32 v8, 0, v9, vcc
	v_add_u32_e32 v7, v7, v8
	ds_write_b32 v6, v7
.LBB137_4:
	s_or_b64 exec, exec, s[0:1]
	v_cmp_gt_u32_e32 vcc, 64, v0
	v_cmp_lt_u32_e64 s[0:1], 63, v0
	s_waitcnt lgkmcnt(0)
	s_barrier
	s_waitcnt lgkmcnt(0)
                                        ; implicit-def: $vgpr6
	s_and_saveexec_b64 s[8:9], s[0:1]
	s_cbranch_execz .LBB137_6
; %bb.5:
	v_lshl_add_u32 v4, v4, 2, -4
	ds_read_b32 v6, v4
	s_waitcnt lgkmcnt(0)
	v_add_u32_e32 v5, v6, v5
.LBB137_6:
	s_or_b64 exec, exec, s[8:9]
	v_add_u32_e32 v4, -1, v1
	v_and_b32_e32 v7, 64, v1
	v_cmp_lt_i32_e64 s[0:1], v4, v7
	v_cndmask_b32_e64 v4, v4, v1, s[0:1]
	s_load_dword s7, s[4:5], 0x10
	v_lshlrev_b32_e32 v4, 2, v4
	ds_bpermute_b32 v5, v4, v5
	s_waitcnt lgkmcnt(0)
	v_mov_b32_e32 v4, s7
	s_and_saveexec_b64 s[0:1], vcc
	s_cbranch_execz .LBB137_10
; %bb.7:
	v_mov_b32_e32 v7, 0
	ds_read_b32 v4, v7 offset:8
	v_cmp_eq_u32_e32 vcc, 0, v0
	s_and_saveexec_b64 s[4:5], vcc
	s_cbranch_execz .LBB137_9
; %bb.8:
	v_mov_b32_e32 v8, s7
	ds_write_b32 v7, v8 offset:8
.LBB137_9:
	s_or_b64 exec, exec, s[4:5]
	s_waitcnt lgkmcnt(0)
	v_add_u32_e32 v4, s7, v4
.LBB137_10:
	s_or_b64 exec, exec, s[0:1]
	v_mov_b32_e32 v7, 0
	s_barrier
	ds_read_b32 v8, v7 offset:8
	v_cmp_eq_u32_e32 vcc, 0, v1
	v_cndmask_b32_e32 v1, v5, v6, vcc
	v_cmp_eq_u32_e32 vcc, 0, v0
	v_cndmask_b32_e64 v0, v1, 0, vcc
	s_mov_b32 s7, 0
	s_waitcnt lgkmcnt(0)
	v_add_u32_e32 v0, v8, v0
	global_store_dword v[2:3], v0, off
	s_and_saveexec_b64 s[0:1], vcc
	s_cbranch_execz .LBB137_12
; %bb.11:
	s_lshl_b64 s[0:1], s[6:7], 2
	s_add_u32 s0, s2, s0
	s_addc_u32 s1, s3, s1
	global_store_dword v7, v4, s[0:1]
.LBB137_12:
	s_endpgm
	.section	.rodata,"a",@progbits
	.p2align	6, 0x0
	.amdhsa_kernel _Z37exclusive_scan_prefix_callback_kernelILj162ELN6hipcub18BlockScanAlgorithmE0EiEvPT1_S3_S2_
		.amdhsa_group_segment_fixed_size 12
		.amdhsa_private_segment_fixed_size 0
		.amdhsa_kernarg_size 20
		.amdhsa_user_sgpr_count 6
		.amdhsa_user_sgpr_private_segment_buffer 1
		.amdhsa_user_sgpr_dispatch_ptr 0
		.amdhsa_user_sgpr_queue_ptr 0
		.amdhsa_user_sgpr_kernarg_segment_ptr 1
		.amdhsa_user_sgpr_dispatch_id 0
		.amdhsa_user_sgpr_flat_scratch_init 0
		.amdhsa_user_sgpr_kernarg_preload_length 0
		.amdhsa_user_sgpr_kernarg_preload_offset 0
		.amdhsa_user_sgpr_private_segment_size 0
		.amdhsa_uses_dynamic_stack 0
		.amdhsa_system_sgpr_private_segment_wavefront_offset 0
		.amdhsa_system_sgpr_workgroup_id_x 1
		.amdhsa_system_sgpr_workgroup_id_y 0
		.amdhsa_system_sgpr_workgroup_id_z 0
		.amdhsa_system_sgpr_workgroup_info 0
		.amdhsa_system_vgpr_workitem_id 0
		.amdhsa_next_free_vgpr 10
		.amdhsa_next_free_sgpr 10
		.amdhsa_accum_offset 12
		.amdhsa_reserve_vcc 1
		.amdhsa_reserve_flat_scratch 0
		.amdhsa_float_round_mode_32 0
		.amdhsa_float_round_mode_16_64 0
		.amdhsa_float_denorm_mode_32 3
		.amdhsa_float_denorm_mode_16_64 3
		.amdhsa_dx10_clamp 1
		.amdhsa_ieee_mode 1
		.amdhsa_fp16_overflow 0
		.amdhsa_tg_split 0
		.amdhsa_exception_fp_ieee_invalid_op 0
		.amdhsa_exception_fp_denorm_src 0
		.amdhsa_exception_fp_ieee_div_zero 0
		.amdhsa_exception_fp_ieee_overflow 0
		.amdhsa_exception_fp_ieee_underflow 0
		.amdhsa_exception_fp_ieee_inexact 0
		.amdhsa_exception_int_div_zero 0
	.end_amdhsa_kernel
	.section	.text._Z37exclusive_scan_prefix_callback_kernelILj162ELN6hipcub18BlockScanAlgorithmE0EiEvPT1_S3_S2_,"axG",@progbits,_Z37exclusive_scan_prefix_callback_kernelILj162ELN6hipcub18BlockScanAlgorithmE0EiEvPT1_S3_S2_,comdat
.Lfunc_end137:
	.size	_Z37exclusive_scan_prefix_callback_kernelILj162ELN6hipcub18BlockScanAlgorithmE0EiEvPT1_S3_S2_, .Lfunc_end137-_Z37exclusive_scan_prefix_callback_kernelILj162ELN6hipcub18BlockScanAlgorithmE0EiEvPT1_S3_S2_
                                        ; -- End function
	.section	.AMDGPU.csdata,"",@progbits
; Kernel info:
; codeLenInByte = 632
; NumSgprs: 14
; NumVgprs: 10
; NumAgprs: 0
; TotalNumVgprs: 10
; ScratchSize: 0
; MemoryBound: 0
; FloatMode: 240
; IeeeMode: 1
; LDSByteSize: 12 bytes/workgroup (compile time only)
; SGPRBlocks: 1
; VGPRBlocks: 1
; NumSGPRsForWavesPerEU: 14
; NumVGPRsForWavesPerEU: 10
; AccumOffset: 12
; Occupancy: 8
; WaveLimiterHint : 0
; COMPUTE_PGM_RSRC2:SCRATCH_EN: 0
; COMPUTE_PGM_RSRC2:USER_SGPR: 6
; COMPUTE_PGM_RSRC2:TRAP_HANDLER: 0
; COMPUTE_PGM_RSRC2:TGID_X_EN: 1
; COMPUTE_PGM_RSRC2:TGID_Y_EN: 0
; COMPUTE_PGM_RSRC2:TGID_Z_EN: 0
; COMPUTE_PGM_RSRC2:TIDIG_COMP_CNT: 0
; COMPUTE_PGM_RSRC3_GFX90A:ACCUM_OFFSET: 2
; COMPUTE_PGM_RSRC3_GFX90A:TG_SPLIT: 0
	.section	.text._Z37exclusive_scan_prefix_callback_kernelILj37ELN6hipcub18BlockScanAlgorithmE0EiEvPT1_S3_S2_,"axG",@progbits,_Z37exclusive_scan_prefix_callback_kernelILj37ELN6hipcub18BlockScanAlgorithmE0EiEvPT1_S3_S2_,comdat
	.protected	_Z37exclusive_scan_prefix_callback_kernelILj37ELN6hipcub18BlockScanAlgorithmE0EiEvPT1_S3_S2_ ; -- Begin function _Z37exclusive_scan_prefix_callback_kernelILj37ELN6hipcub18BlockScanAlgorithmE0EiEvPT1_S3_S2_
	.globl	_Z37exclusive_scan_prefix_callback_kernelILj37ELN6hipcub18BlockScanAlgorithmE0EiEvPT1_S3_S2_
	.p2align	8
	.type	_Z37exclusive_scan_prefix_callback_kernelILj37ELN6hipcub18BlockScanAlgorithmE0EiEvPT1_S3_S2_,@function
_Z37exclusive_scan_prefix_callback_kernelILj37ELN6hipcub18BlockScanAlgorithmE0EiEvPT1_S3_S2_: ; @_Z37exclusive_scan_prefix_callback_kernelILj37ELN6hipcub18BlockScanAlgorithmE0EiEvPT1_S3_S2_
; %bb.0:
	s_load_dwordx4 s[0:3], s[4:5], 0x0
	v_mad_u64_u32 v[4:5], s[8:9], s6, 37, v[0:1]
	v_mov_b32_e32 v5, 0
	v_lshlrev_b64 v[2:3], 2, v[4:5]
	s_waitcnt lgkmcnt(0)
	v_mov_b32_e32 v1, s1
	v_add_co_u32_e32 v2, vcc, s0, v2
	v_addc_co_u32_e32 v3, vcc, v1, v3, vcc
	global_load_dword v4, v[2:3], off
	v_mbcnt_lo_u32_b32 v1, -1, 0
	v_mbcnt_hi_u32_b32 v1, -1, v1
	v_and_b32_e32 v6, 15, v1
	v_cmp_ne_u32_e32 vcc, 0, v6
	v_bfe_i32 v7, v1, 4, 1
	s_waitcnt vmcnt(0)
	v_mov_b32_dpp v8, v4 row_shr:1 row_mask:0xf bank_mask:0xf
	v_cndmask_b32_e32 v8, 0, v8, vcc
	v_add_u32_e32 v4, v8, v4
	v_cmp_lt_u32_e32 vcc, 1, v6
	s_nop 0
	v_mov_b32_dpp v8, v4 row_shr:2 row_mask:0xf bank_mask:0xf
	v_cndmask_b32_e32 v8, 0, v8, vcc
	v_add_u32_e32 v4, v4, v8
	v_cmp_lt_u32_e32 vcc, 3, v6
	s_nop 0
	;; [unrolled: 5-line block ×4, first 2 shown]
	v_mov_b32_dpp v6, v4 row_bcast:15 row_mask:0xf bank_mask:0xf
	v_and_b32_e32 v6, v7, v6
	v_add_u32_e32 v4, v4, v6
	s_nop 1
	v_mov_b32_dpp v6, v4 row_bcast:31 row_mask:0xf bank_mask:0xf
	v_cndmask_b32_e32 v6, 0, v6, vcc
	v_add_u32_e32 v4, v4, v6
	v_cmp_eq_u32_e32 vcc, 36, v0
	s_and_saveexec_b64 s[0:1], vcc
	s_cbranch_execz .LBB138_2
; %bb.1:
	ds_write_b32 v5, v4
.LBB138_2:
	s_or_b64 exec, exec, s[0:1]
	v_add_u32_e32 v5, -1, v1
	v_and_b32_e32 v6, 64, v1
	v_cmp_lt_i32_e32 vcc, v5, v6
	v_cndmask_b32_e32 v1, v5, v1, vcc
	s_load_dword s7, s[4:5], 0x10
	v_lshlrev_b32_e32 v1, 2, v1
	ds_bpermute_b32 v1, v1, v4
	v_cmp_gt_u32_e32 vcc, 64, v0
	s_waitcnt lgkmcnt(0)
	v_mov_b32_e32 v4, s7
	; wave barrier
	s_and_saveexec_b64 s[0:1], vcc
	s_cbranch_execz .LBB138_6
; %bb.3:
	v_mov_b32_e32 v5, 0
	ds_read_b32 v4, v5
	v_cmp_eq_u32_e32 vcc, 0, v0
	s_and_saveexec_b64 s[4:5], vcc
	s_cbranch_execz .LBB138_5
; %bb.4:
	v_mov_b32_e32 v6, s7
	ds_write_b32 v5, v6
.LBB138_5:
	s_or_b64 exec, exec, s[4:5]
	s_waitcnt lgkmcnt(0)
	v_add_u32_e32 v4, s7, v4
.LBB138_6:
	s_or_b64 exec, exec, s[0:1]
	v_mov_b32_e32 v5, 0
	s_waitcnt lgkmcnt(0)
	; wave barrier
	ds_read_b32 v6, v5
	v_cmp_eq_u32_e32 vcc, 0, v0
	v_cndmask_b32_e64 v0, v1, 0, vcc
	s_mov_b32 s7, 0
	s_waitcnt lgkmcnt(0)
	v_add_u32_e32 v0, v6, v0
	global_store_dword v[2:3], v0, off
	s_and_saveexec_b64 s[0:1], vcc
	s_cbranch_execz .LBB138_8
; %bb.7:
	s_lshl_b64 s[0:1], s[6:7], 2
	s_add_u32 s0, s2, s0
	s_addc_u32 s1, s3, s1
	global_store_dword v5, v4, s[0:1]
.LBB138_8:
	s_endpgm
	.section	.rodata,"a",@progbits
	.p2align	6, 0x0
	.amdhsa_kernel _Z37exclusive_scan_prefix_callback_kernelILj37ELN6hipcub18BlockScanAlgorithmE0EiEvPT1_S3_S2_
		.amdhsa_group_segment_fixed_size 4
		.amdhsa_private_segment_fixed_size 0
		.amdhsa_kernarg_size 20
		.amdhsa_user_sgpr_count 6
		.amdhsa_user_sgpr_private_segment_buffer 1
		.amdhsa_user_sgpr_dispatch_ptr 0
		.amdhsa_user_sgpr_queue_ptr 0
		.amdhsa_user_sgpr_kernarg_segment_ptr 1
		.amdhsa_user_sgpr_dispatch_id 0
		.amdhsa_user_sgpr_flat_scratch_init 0
		.amdhsa_user_sgpr_kernarg_preload_length 0
		.amdhsa_user_sgpr_kernarg_preload_offset 0
		.amdhsa_user_sgpr_private_segment_size 0
		.amdhsa_uses_dynamic_stack 0
		.amdhsa_system_sgpr_private_segment_wavefront_offset 0
		.amdhsa_system_sgpr_workgroup_id_x 1
		.amdhsa_system_sgpr_workgroup_id_y 0
		.amdhsa_system_sgpr_workgroup_id_z 0
		.amdhsa_system_sgpr_workgroup_info 0
		.amdhsa_system_vgpr_workitem_id 0
		.amdhsa_next_free_vgpr 9
		.amdhsa_next_free_sgpr 10
		.amdhsa_accum_offset 12
		.amdhsa_reserve_vcc 1
		.amdhsa_reserve_flat_scratch 0
		.amdhsa_float_round_mode_32 0
		.amdhsa_float_round_mode_16_64 0
		.amdhsa_float_denorm_mode_32 3
		.amdhsa_float_denorm_mode_16_64 3
		.amdhsa_dx10_clamp 1
		.amdhsa_ieee_mode 1
		.amdhsa_fp16_overflow 0
		.amdhsa_tg_split 0
		.amdhsa_exception_fp_ieee_invalid_op 0
		.amdhsa_exception_fp_denorm_src 0
		.amdhsa_exception_fp_ieee_div_zero 0
		.amdhsa_exception_fp_ieee_overflow 0
		.amdhsa_exception_fp_ieee_underflow 0
		.amdhsa_exception_fp_ieee_inexact 0
		.amdhsa_exception_int_div_zero 0
	.end_amdhsa_kernel
	.section	.text._Z37exclusive_scan_prefix_callback_kernelILj37ELN6hipcub18BlockScanAlgorithmE0EiEvPT1_S3_S2_,"axG",@progbits,_Z37exclusive_scan_prefix_callback_kernelILj37ELN6hipcub18BlockScanAlgorithmE0EiEvPT1_S3_S2_,comdat
.Lfunc_end138:
	.size	_Z37exclusive_scan_prefix_callback_kernelILj37ELN6hipcub18BlockScanAlgorithmE0EiEvPT1_S3_S2_, .Lfunc_end138-_Z37exclusive_scan_prefix_callback_kernelILj37ELN6hipcub18BlockScanAlgorithmE0EiEvPT1_S3_S2_
                                        ; -- End function
	.section	.AMDGPU.csdata,"",@progbits
; Kernel info:
; codeLenInByte = 432
; NumSgprs: 14
; NumVgprs: 9
; NumAgprs: 0
; TotalNumVgprs: 9
; ScratchSize: 0
; MemoryBound: 0
; FloatMode: 240
; IeeeMode: 1
; LDSByteSize: 4 bytes/workgroup (compile time only)
; SGPRBlocks: 1
; VGPRBlocks: 1
; NumSGPRsForWavesPerEU: 14
; NumVGPRsForWavesPerEU: 9
; AccumOffset: 12
; Occupancy: 8
; WaveLimiterHint : 0
; COMPUTE_PGM_RSRC2:SCRATCH_EN: 0
; COMPUTE_PGM_RSRC2:USER_SGPR: 6
; COMPUTE_PGM_RSRC2:TRAP_HANDLER: 0
; COMPUTE_PGM_RSRC2:TGID_X_EN: 1
; COMPUTE_PGM_RSRC2:TGID_Y_EN: 0
; COMPUTE_PGM_RSRC2:TGID_Z_EN: 0
; COMPUTE_PGM_RSRC2:TIDIG_COMP_CNT: 0
; COMPUTE_PGM_RSRC3_GFX90A:ACCUM_OFFSET: 2
; COMPUTE_PGM_RSRC3_GFX90A:TG_SPLIT: 0
	.section	.text._Z37exclusive_scan_prefix_callback_kernelILj65ELN6hipcub18BlockScanAlgorithmE0EiEvPT1_S3_S2_,"axG",@progbits,_Z37exclusive_scan_prefix_callback_kernelILj65ELN6hipcub18BlockScanAlgorithmE0EiEvPT1_S3_S2_,comdat
	.protected	_Z37exclusive_scan_prefix_callback_kernelILj65ELN6hipcub18BlockScanAlgorithmE0EiEvPT1_S3_S2_ ; -- Begin function _Z37exclusive_scan_prefix_callback_kernelILj65ELN6hipcub18BlockScanAlgorithmE0EiEvPT1_S3_S2_
	.globl	_Z37exclusive_scan_prefix_callback_kernelILj65ELN6hipcub18BlockScanAlgorithmE0EiEvPT1_S3_S2_
	.p2align	8
	.type	_Z37exclusive_scan_prefix_callback_kernelILj65ELN6hipcub18BlockScanAlgorithmE0EiEvPT1_S3_S2_,@function
_Z37exclusive_scan_prefix_callback_kernelILj65ELN6hipcub18BlockScanAlgorithmE0EiEvPT1_S3_S2_: ; @_Z37exclusive_scan_prefix_callback_kernelILj65ELN6hipcub18BlockScanAlgorithmE0EiEvPT1_S3_S2_
; %bb.0:
	s_load_dwordx4 s[8:11], s[4:5], 0x0
	s_mul_i32 s0, s6, 0x41
	v_add_u32_e32 v2, s0, v0
	v_mov_b32_e32 v3, 0
	v_lshlrev_b64 v[2:3], 2, v[2:3]
	s_waitcnt lgkmcnt(0)
	v_mov_b32_e32 v1, s9
	v_add_co_u32_e32 v2, vcc, s8, v2
	v_addc_co_u32_e32 v3, vcc, v1, v3, vcc
	global_load_dword v5, v[2:3], off
	v_mbcnt_lo_u32_b32 v1, -1, 0
	v_mbcnt_hi_u32_b32 v1, -1, v1
	v_and_b32_e32 v7, 15, v1
	v_cmp_ne_u32_e64 s[2:3], 0, v7
	v_bfe_i32 v8, v1, 4, 1
	v_cmp_gt_u32_e32 vcc, 64, v0
	v_cndmask_b32_e64 v6, 64, 63, vcc
	v_lshrrev_b32_e32 v4, 6, v0
	v_cmp_lt_u32_e64 s[0:1], 63, v0
	s_waitcnt vmcnt(0)
	v_mov_b32_dpp v9, v5 row_shr:1 row_mask:0xf bank_mask:0xf
	v_cndmask_b32_e64 v9, 0, v9, s[2:3]
	v_add_u32_e32 v5, v9, v5
	v_cmp_lt_u32_e64 s[2:3], 1, v7
	s_nop 0
	v_mov_b32_dpp v9, v5 row_shr:2 row_mask:0xf bank_mask:0xf
	v_cndmask_b32_e64 v9, 0, v9, s[2:3]
	v_add_u32_e32 v5, v5, v9
	v_cmp_lt_u32_e64 s[2:3], 3, v7
	s_nop 0
	;; [unrolled: 5-line block ×4, first 2 shown]
	v_mov_b32_dpp v7, v5 row_bcast:15 row_mask:0xf bank_mask:0xf
	v_and_b32_e32 v7, v8, v7
	v_add_u32_e32 v5, v5, v7
	s_nop 1
	v_mov_b32_dpp v7, v5 row_bcast:31 row_mask:0xf bank_mask:0xf
	v_cndmask_b32_e64 v7, 0, v7, s[2:3]
	v_add_u32_e32 v5, v5, v7
	v_cmp_eq_u32_e64 s[2:3], v6, v0
	s_and_saveexec_b64 s[8:9], s[2:3]
	s_cbranch_execz .LBB139_2
; %bb.1:
	v_lshlrev_b32_e32 v6, 2, v4
	ds_write_b32 v6, v5
.LBB139_2:
	s_or_b64 exec, exec, s[8:9]
	v_cmp_gt_u32_e64 s[2:3], 2, v0
	s_waitcnt lgkmcnt(0)
	s_barrier
	s_and_saveexec_b64 s[8:9], s[2:3]
	s_cbranch_execz .LBB139_4
; %bb.3:
	v_lshlrev_b32_e32 v6, 2, v0
	ds_read_b32 v7, v6
	v_bfe_i32 v8, v1, 0, 1
	s_waitcnt lgkmcnt(0)
	v_mov_b32_dpp v9, v7 row_shr:1 row_mask:0xf bank_mask:0xf
	v_and_b32_e32 v8, v8, v9
	v_add_u32_e32 v7, v8, v7
	ds_write_b32 v6, v7
.LBB139_4:
	s_or_b64 exec, exec, s[8:9]
	s_waitcnt lgkmcnt(0)
	s_barrier
	s_waitcnt lgkmcnt(0)
                                        ; implicit-def: $vgpr6
	s_and_saveexec_b64 s[2:3], s[0:1]
	s_cbranch_execz .LBB139_6
; %bb.5:
	v_lshl_add_u32 v4, v4, 2, -4
	ds_read_b32 v6, v4
	s_waitcnt lgkmcnt(0)
	v_add_u32_e32 v5, v6, v5
.LBB139_6:
	s_or_b64 exec, exec, s[2:3]
	v_add_u32_e32 v4, -1, v1
	v_and_b32_e32 v7, 64, v1
	v_cmp_lt_i32_e64 s[0:1], v4, v7
	v_cndmask_b32_e64 v4, v4, v1, s[0:1]
	s_load_dword s4, s[4:5], 0x10
	v_lshlrev_b32_e32 v4, 2, v4
	ds_bpermute_b32 v5, v4, v5
	s_waitcnt lgkmcnt(0)
	v_mov_b32_e32 v4, s4
	s_and_saveexec_b64 s[0:1], vcc
	s_cbranch_execz .LBB139_10
; %bb.7:
	v_mov_b32_e32 v7, 0
	ds_read_b32 v4, v7 offset:4
	v_cmp_eq_u32_e32 vcc, 0, v0
	s_and_saveexec_b64 s[2:3], vcc
	s_cbranch_execz .LBB139_9
; %bb.8:
	v_mov_b32_e32 v8, s4
	ds_write_b32 v7, v8 offset:4
.LBB139_9:
	s_or_b64 exec, exec, s[2:3]
	s_waitcnt lgkmcnt(0)
	v_add_u32_e32 v4, s4, v4
.LBB139_10:
	s_or_b64 exec, exec, s[0:1]
	v_mov_b32_e32 v7, 0
	s_barrier
	ds_read_b32 v8, v7 offset:4
	v_cmp_eq_u32_e32 vcc, 0, v1
	v_cndmask_b32_e32 v1, v5, v6, vcc
	v_cmp_eq_u32_e32 vcc, 0, v0
	v_cndmask_b32_e64 v0, v1, 0, vcc
	s_mov_b32 s7, 0
	s_waitcnt lgkmcnt(0)
	v_add_u32_e32 v0, v8, v0
	global_store_dword v[2:3], v0, off
	s_and_saveexec_b64 s[0:1], vcc
	s_cbranch_execz .LBB139_12
; %bb.11:
	s_lshl_b64 s[0:1], s[6:7], 2
	s_add_u32 s0, s10, s0
	s_addc_u32 s1, s11, s1
	global_store_dword v7, v4, s[0:1]
.LBB139_12:
	s_endpgm
	.section	.rodata,"a",@progbits
	.p2align	6, 0x0
	.amdhsa_kernel _Z37exclusive_scan_prefix_callback_kernelILj65ELN6hipcub18BlockScanAlgorithmE0EiEvPT1_S3_S2_
		.amdhsa_group_segment_fixed_size 8
		.amdhsa_private_segment_fixed_size 0
		.amdhsa_kernarg_size 20
		.amdhsa_user_sgpr_count 6
		.amdhsa_user_sgpr_private_segment_buffer 1
		.amdhsa_user_sgpr_dispatch_ptr 0
		.amdhsa_user_sgpr_queue_ptr 0
		.amdhsa_user_sgpr_kernarg_segment_ptr 1
		.amdhsa_user_sgpr_dispatch_id 0
		.amdhsa_user_sgpr_flat_scratch_init 0
		.amdhsa_user_sgpr_kernarg_preload_length 0
		.amdhsa_user_sgpr_kernarg_preload_offset 0
		.amdhsa_user_sgpr_private_segment_size 0
		.amdhsa_uses_dynamic_stack 0
		.amdhsa_system_sgpr_private_segment_wavefront_offset 0
		.amdhsa_system_sgpr_workgroup_id_x 1
		.amdhsa_system_sgpr_workgroup_id_y 0
		.amdhsa_system_sgpr_workgroup_id_z 0
		.amdhsa_system_sgpr_workgroup_info 0
		.amdhsa_system_vgpr_workitem_id 0
		.amdhsa_next_free_vgpr 10
		.amdhsa_next_free_sgpr 12
		.amdhsa_accum_offset 12
		.amdhsa_reserve_vcc 1
		.amdhsa_reserve_flat_scratch 0
		.amdhsa_float_round_mode_32 0
		.amdhsa_float_round_mode_16_64 0
		.amdhsa_float_denorm_mode_32 3
		.amdhsa_float_denorm_mode_16_64 3
		.amdhsa_dx10_clamp 1
		.amdhsa_ieee_mode 1
		.amdhsa_fp16_overflow 0
		.amdhsa_tg_split 0
		.amdhsa_exception_fp_ieee_invalid_op 0
		.amdhsa_exception_fp_denorm_src 0
		.amdhsa_exception_fp_ieee_div_zero 0
		.amdhsa_exception_fp_ieee_overflow 0
		.amdhsa_exception_fp_ieee_underflow 0
		.amdhsa_exception_fp_ieee_inexact 0
		.amdhsa_exception_int_div_zero 0
	.end_amdhsa_kernel
	.section	.text._Z37exclusive_scan_prefix_callback_kernelILj65ELN6hipcub18BlockScanAlgorithmE0EiEvPT1_S3_S2_,"axG",@progbits,_Z37exclusive_scan_prefix_callback_kernelILj65ELN6hipcub18BlockScanAlgorithmE0EiEvPT1_S3_S2_,comdat
.Lfunc_end139:
	.size	_Z37exclusive_scan_prefix_callback_kernelILj65ELN6hipcub18BlockScanAlgorithmE0EiEvPT1_S3_S2_, .Lfunc_end139-_Z37exclusive_scan_prefix_callback_kernelILj65ELN6hipcub18BlockScanAlgorithmE0EiEvPT1_S3_S2_
                                        ; -- End function
	.section	.AMDGPU.csdata,"",@progbits
; Kernel info:
; codeLenInByte = 644
; NumSgprs: 16
; NumVgprs: 10
; NumAgprs: 0
; TotalNumVgprs: 10
; ScratchSize: 0
; MemoryBound: 0
; FloatMode: 240
; IeeeMode: 1
; LDSByteSize: 8 bytes/workgroup (compile time only)
; SGPRBlocks: 1
; VGPRBlocks: 1
; NumSGPRsForWavesPerEU: 16
; NumVGPRsForWavesPerEU: 10
; AccumOffset: 12
; Occupancy: 8
; WaveLimiterHint : 0
; COMPUTE_PGM_RSRC2:SCRATCH_EN: 0
; COMPUTE_PGM_RSRC2:USER_SGPR: 6
; COMPUTE_PGM_RSRC2:TRAP_HANDLER: 0
; COMPUTE_PGM_RSRC2:TGID_X_EN: 1
; COMPUTE_PGM_RSRC2:TGID_Y_EN: 0
; COMPUTE_PGM_RSRC2:TGID_Z_EN: 0
; COMPUTE_PGM_RSRC2:TIDIG_COMP_CNT: 0
; COMPUTE_PGM_RSRC3_GFX90A:ACCUM_OFFSET: 2
; COMPUTE_PGM_RSRC3_GFX90A:TG_SPLIT: 0
	.section	.text._Z37exclusive_scan_prefix_callback_kernelILj512ELN6hipcub18BlockScanAlgorithmE0EiEvPT1_S3_S2_,"axG",@progbits,_Z37exclusive_scan_prefix_callback_kernelILj512ELN6hipcub18BlockScanAlgorithmE0EiEvPT1_S3_S2_,comdat
	.protected	_Z37exclusive_scan_prefix_callback_kernelILj512ELN6hipcub18BlockScanAlgorithmE0EiEvPT1_S3_S2_ ; -- Begin function _Z37exclusive_scan_prefix_callback_kernelILj512ELN6hipcub18BlockScanAlgorithmE0EiEvPT1_S3_S2_
	.globl	_Z37exclusive_scan_prefix_callback_kernelILj512ELN6hipcub18BlockScanAlgorithmE0EiEvPT1_S3_S2_
	.p2align	8
	.type	_Z37exclusive_scan_prefix_callback_kernelILj512ELN6hipcub18BlockScanAlgorithmE0EiEvPT1_S3_S2_,@function
_Z37exclusive_scan_prefix_callback_kernelILj512ELN6hipcub18BlockScanAlgorithmE0EiEvPT1_S3_S2_: ; @_Z37exclusive_scan_prefix_callback_kernelILj512ELN6hipcub18BlockScanAlgorithmE0EiEvPT1_S3_S2_
; %bb.0:
	s_load_dwordx4 s[0:3], s[4:5], 0x0
	v_lshl_or_b32 v2, s6, 9, v0
	v_mov_b32_e32 v3, 0
	v_lshlrev_b64 v[2:3], 2, v[2:3]
	v_or_b32_e32 v6, 63, v0
	s_waitcnt lgkmcnt(0)
	v_mov_b32_e32 v1, s1
	v_add_co_u32_e32 v2, vcc, s0, v2
	v_addc_co_u32_e32 v3, vcc, v1, v3, vcc
	global_load_dword v5, v[2:3], off
	v_mbcnt_lo_u32_b32 v1, -1, 0
	v_mbcnt_hi_u32_b32 v1, -1, v1
	v_and_b32_e32 v7, 15, v1
	v_cmp_ne_u32_e32 vcc, 0, v7
	v_bfe_i32 v8, v1, 4, 1
	v_lshrrev_b32_e32 v4, 6, v0
	s_waitcnt vmcnt(0)
	v_mov_b32_dpp v9, v5 row_shr:1 row_mask:0xf bank_mask:0xf
	v_cndmask_b32_e32 v9, 0, v9, vcc
	v_add_u32_e32 v5, v9, v5
	v_cmp_lt_u32_e32 vcc, 1, v7
	s_nop 0
	v_mov_b32_dpp v9, v5 row_shr:2 row_mask:0xf bank_mask:0xf
	v_cndmask_b32_e32 v9, 0, v9, vcc
	v_add_u32_e32 v5, v5, v9
	v_cmp_lt_u32_e32 vcc, 3, v7
	s_nop 0
	;; [unrolled: 5-line block ×4, first 2 shown]
	v_mov_b32_dpp v7, v5 row_bcast:15 row_mask:0xf bank_mask:0xf
	v_and_b32_e32 v7, v8, v7
	v_add_u32_e32 v5, v5, v7
	s_nop 1
	v_mov_b32_dpp v7, v5 row_bcast:31 row_mask:0xf bank_mask:0xf
	v_cndmask_b32_e32 v7, 0, v7, vcc
	v_add_u32_e32 v5, v5, v7
	v_cmp_eq_u32_e32 vcc, v6, v0
	s_and_saveexec_b64 s[0:1], vcc
	s_cbranch_execz .LBB140_2
; %bb.1:
	v_lshlrev_b32_e32 v6, 2, v4
	ds_write_b32 v6, v5
.LBB140_2:
	s_or_b64 exec, exec, s[0:1]
	v_cmp_gt_u32_e32 vcc, 8, v0
	s_waitcnt lgkmcnt(0)
	s_barrier
	s_and_saveexec_b64 s[0:1], vcc
	s_cbranch_execz .LBB140_4
; %bb.3:
	v_lshlrev_b32_e32 v6, 2, v0
	ds_read_b32 v7, v6
	v_and_b32_e32 v8, 7, v1
	v_cmp_ne_u32_e32 vcc, 0, v8
	s_waitcnt lgkmcnt(0)
	v_mov_b32_dpp v9, v7 row_shr:1 row_mask:0xf bank_mask:0xf
	v_cndmask_b32_e32 v9, 0, v9, vcc
	v_add_u32_e32 v7, v9, v7
	v_cmp_lt_u32_e32 vcc, 1, v8
	s_nop 0
	v_mov_b32_dpp v9, v7 row_shr:2 row_mask:0xf bank_mask:0xf
	v_cndmask_b32_e32 v9, 0, v9, vcc
	v_add_u32_e32 v7, v7, v9
	v_cmp_lt_u32_e32 vcc, 3, v8
	s_nop 0
	v_mov_b32_dpp v9, v7 row_shr:4 row_mask:0xf bank_mask:0xf
	v_cndmask_b32_e32 v8, 0, v9, vcc
	v_add_u32_e32 v7, v7, v8
	ds_write_b32 v6, v7
.LBB140_4:
	s_or_b64 exec, exec, s[0:1]
	v_cmp_gt_u32_e32 vcc, 64, v0
	v_cmp_lt_u32_e64 s[0:1], 63, v0
	s_waitcnt lgkmcnt(0)
	s_barrier
	s_waitcnt lgkmcnt(0)
                                        ; implicit-def: $vgpr6
	s_and_saveexec_b64 s[8:9], s[0:1]
	s_cbranch_execz .LBB140_6
; %bb.5:
	v_lshl_add_u32 v4, v4, 2, -4
	ds_read_b32 v6, v4
	s_waitcnt lgkmcnt(0)
	v_add_u32_e32 v5, v6, v5
.LBB140_6:
	s_or_b64 exec, exec, s[8:9]
	v_add_u32_e32 v4, -1, v1
	v_and_b32_e32 v7, 64, v1
	v_cmp_lt_i32_e64 s[0:1], v4, v7
	v_cndmask_b32_e64 v4, v4, v1, s[0:1]
	s_load_dword s7, s[4:5], 0x10
	v_lshlrev_b32_e32 v4, 2, v4
	ds_bpermute_b32 v5, v4, v5
	s_waitcnt lgkmcnt(0)
	v_mov_b32_e32 v4, s7
	s_and_saveexec_b64 s[0:1], vcc
	s_cbranch_execz .LBB140_10
; %bb.7:
	v_mov_b32_e32 v7, 0
	ds_read_b32 v4, v7 offset:28
	v_cmp_eq_u32_e32 vcc, 0, v0
	s_and_saveexec_b64 s[4:5], vcc
	s_cbranch_execz .LBB140_9
; %bb.8:
	v_mov_b32_e32 v8, s7
	ds_write_b32 v7, v8 offset:28
.LBB140_9:
	s_or_b64 exec, exec, s[4:5]
	s_waitcnt lgkmcnt(0)
	v_add_u32_e32 v4, s7, v4
.LBB140_10:
	s_or_b64 exec, exec, s[0:1]
	v_mov_b32_e32 v7, 0
	s_barrier
	ds_read_b32 v8, v7 offset:28
	v_cmp_eq_u32_e32 vcc, 0, v1
	v_cndmask_b32_e32 v1, v5, v6, vcc
	v_cmp_eq_u32_e32 vcc, 0, v0
	v_cndmask_b32_e64 v0, v1, 0, vcc
	s_mov_b32 s7, 0
	s_waitcnt lgkmcnt(0)
	v_add_u32_e32 v0, v8, v0
	global_store_dword v[2:3], v0, off
	s_and_saveexec_b64 s[0:1], vcc
	s_cbranch_execz .LBB140_12
; %bb.11:
	s_lshl_b64 s[0:1], s[6:7], 2
	s_add_u32 s0, s2, s0
	s_addc_u32 s1, s3, s1
	global_store_dword v7, v4, s[0:1]
.LBB140_12:
	s_endpgm
	.section	.rodata,"a",@progbits
	.p2align	6, 0x0
	.amdhsa_kernel _Z37exclusive_scan_prefix_callback_kernelILj512ELN6hipcub18BlockScanAlgorithmE0EiEvPT1_S3_S2_
		.amdhsa_group_segment_fixed_size 32
		.amdhsa_private_segment_fixed_size 0
		.amdhsa_kernarg_size 20
		.amdhsa_user_sgpr_count 6
		.amdhsa_user_sgpr_private_segment_buffer 1
		.amdhsa_user_sgpr_dispatch_ptr 0
		.amdhsa_user_sgpr_queue_ptr 0
		.amdhsa_user_sgpr_kernarg_segment_ptr 1
		.amdhsa_user_sgpr_dispatch_id 0
		.amdhsa_user_sgpr_flat_scratch_init 0
		.amdhsa_user_sgpr_kernarg_preload_length 0
		.amdhsa_user_sgpr_kernarg_preload_offset 0
		.amdhsa_user_sgpr_private_segment_size 0
		.amdhsa_uses_dynamic_stack 0
		.amdhsa_system_sgpr_private_segment_wavefront_offset 0
		.amdhsa_system_sgpr_workgroup_id_x 1
		.amdhsa_system_sgpr_workgroup_id_y 0
		.amdhsa_system_sgpr_workgroup_id_z 0
		.amdhsa_system_sgpr_workgroup_info 0
		.amdhsa_system_vgpr_workitem_id 0
		.amdhsa_next_free_vgpr 10
		.amdhsa_next_free_sgpr 10
		.amdhsa_accum_offset 12
		.amdhsa_reserve_vcc 1
		.amdhsa_reserve_flat_scratch 0
		.amdhsa_float_round_mode_32 0
		.amdhsa_float_round_mode_16_64 0
		.amdhsa_float_denorm_mode_32 3
		.amdhsa_float_denorm_mode_16_64 3
		.amdhsa_dx10_clamp 1
		.amdhsa_ieee_mode 1
		.amdhsa_fp16_overflow 0
		.amdhsa_tg_split 0
		.amdhsa_exception_fp_ieee_invalid_op 0
		.amdhsa_exception_fp_denorm_src 0
		.amdhsa_exception_fp_ieee_div_zero 0
		.amdhsa_exception_fp_ieee_overflow 0
		.amdhsa_exception_fp_ieee_underflow 0
		.amdhsa_exception_fp_ieee_inexact 0
		.amdhsa_exception_int_div_zero 0
	.end_amdhsa_kernel
	.section	.text._Z37exclusive_scan_prefix_callback_kernelILj512ELN6hipcub18BlockScanAlgorithmE0EiEvPT1_S3_S2_,"axG",@progbits,_Z37exclusive_scan_prefix_callback_kernelILj512ELN6hipcub18BlockScanAlgorithmE0EiEvPT1_S3_S2_,comdat
.Lfunc_end140:
	.size	_Z37exclusive_scan_prefix_callback_kernelILj512ELN6hipcub18BlockScanAlgorithmE0EiEvPT1_S3_S2_, .Lfunc_end140-_Z37exclusive_scan_prefix_callback_kernelILj512ELN6hipcub18BlockScanAlgorithmE0EiEvPT1_S3_S2_
                                        ; -- End function
	.section	.AMDGPU.csdata,"",@progbits
; Kernel info:
; codeLenInByte = 636
; NumSgprs: 14
; NumVgprs: 10
; NumAgprs: 0
; TotalNumVgprs: 10
; ScratchSize: 0
; MemoryBound: 0
; FloatMode: 240
; IeeeMode: 1
; LDSByteSize: 32 bytes/workgroup (compile time only)
; SGPRBlocks: 1
; VGPRBlocks: 1
; NumSGPRsForWavesPerEU: 14
; NumVGPRsForWavesPerEU: 10
; AccumOffset: 12
; Occupancy: 8
; WaveLimiterHint : 0
; COMPUTE_PGM_RSRC2:SCRATCH_EN: 0
; COMPUTE_PGM_RSRC2:USER_SGPR: 6
; COMPUTE_PGM_RSRC2:TRAP_HANDLER: 0
; COMPUTE_PGM_RSRC2:TGID_X_EN: 1
; COMPUTE_PGM_RSRC2:TGID_Y_EN: 0
; COMPUTE_PGM_RSRC2:TGID_Z_EN: 0
; COMPUTE_PGM_RSRC2:TIDIG_COMP_CNT: 0
; COMPUTE_PGM_RSRC3_GFX90A:ACCUM_OFFSET: 2
; COMPUTE_PGM_RSRC3_GFX90A:TG_SPLIT: 0
	.section	.text._Z37exclusive_scan_prefix_callback_kernelILj256ELN6hipcub18BlockScanAlgorithmE0EiEvPT1_S3_S2_,"axG",@progbits,_Z37exclusive_scan_prefix_callback_kernelILj256ELN6hipcub18BlockScanAlgorithmE0EiEvPT1_S3_S2_,comdat
	.protected	_Z37exclusive_scan_prefix_callback_kernelILj256ELN6hipcub18BlockScanAlgorithmE0EiEvPT1_S3_S2_ ; -- Begin function _Z37exclusive_scan_prefix_callback_kernelILj256ELN6hipcub18BlockScanAlgorithmE0EiEvPT1_S3_S2_
	.globl	_Z37exclusive_scan_prefix_callback_kernelILj256ELN6hipcub18BlockScanAlgorithmE0EiEvPT1_S3_S2_
	.p2align	8
	.type	_Z37exclusive_scan_prefix_callback_kernelILj256ELN6hipcub18BlockScanAlgorithmE0EiEvPT1_S3_S2_,@function
_Z37exclusive_scan_prefix_callback_kernelILj256ELN6hipcub18BlockScanAlgorithmE0EiEvPT1_S3_S2_: ; @_Z37exclusive_scan_prefix_callback_kernelILj256ELN6hipcub18BlockScanAlgorithmE0EiEvPT1_S3_S2_
; %bb.0:
	s_load_dwordx4 s[0:3], s[4:5], 0x0
	v_lshl_or_b32 v2, s6, 8, v0
	v_mov_b32_e32 v3, 0
	v_lshlrev_b64 v[2:3], 2, v[2:3]
	v_or_b32_e32 v6, 63, v0
	s_waitcnt lgkmcnt(0)
	v_mov_b32_e32 v1, s1
	v_add_co_u32_e32 v2, vcc, s0, v2
	v_addc_co_u32_e32 v3, vcc, v1, v3, vcc
	global_load_dword v5, v[2:3], off
	v_mbcnt_lo_u32_b32 v1, -1, 0
	v_mbcnt_hi_u32_b32 v1, -1, v1
	v_and_b32_e32 v7, 15, v1
	v_cmp_ne_u32_e32 vcc, 0, v7
	v_bfe_i32 v8, v1, 4, 1
	v_lshrrev_b32_e32 v4, 6, v0
	s_waitcnt vmcnt(0)
	v_mov_b32_dpp v9, v5 row_shr:1 row_mask:0xf bank_mask:0xf
	v_cndmask_b32_e32 v9, 0, v9, vcc
	v_add_u32_e32 v5, v9, v5
	v_cmp_lt_u32_e32 vcc, 1, v7
	s_nop 0
	v_mov_b32_dpp v9, v5 row_shr:2 row_mask:0xf bank_mask:0xf
	v_cndmask_b32_e32 v9, 0, v9, vcc
	v_add_u32_e32 v5, v5, v9
	v_cmp_lt_u32_e32 vcc, 3, v7
	s_nop 0
	;; [unrolled: 5-line block ×4, first 2 shown]
	v_mov_b32_dpp v7, v5 row_bcast:15 row_mask:0xf bank_mask:0xf
	v_and_b32_e32 v7, v8, v7
	v_add_u32_e32 v5, v5, v7
	s_nop 1
	v_mov_b32_dpp v7, v5 row_bcast:31 row_mask:0xf bank_mask:0xf
	v_cndmask_b32_e32 v7, 0, v7, vcc
	v_add_u32_e32 v5, v5, v7
	v_cmp_eq_u32_e32 vcc, v6, v0
	s_and_saveexec_b64 s[0:1], vcc
	s_cbranch_execz .LBB141_2
; %bb.1:
	v_lshlrev_b32_e32 v6, 2, v4
	ds_write_b32 v6, v5
.LBB141_2:
	s_or_b64 exec, exec, s[0:1]
	v_cmp_gt_u32_e32 vcc, 4, v0
	s_waitcnt lgkmcnt(0)
	s_barrier
	s_and_saveexec_b64 s[0:1], vcc
	s_cbranch_execz .LBB141_4
; %bb.3:
	v_lshlrev_b32_e32 v6, 2, v0
	ds_read_b32 v7, v6
	v_and_b32_e32 v8, 3, v1
	v_cmp_ne_u32_e32 vcc, 0, v8
	s_waitcnt lgkmcnt(0)
	v_mov_b32_dpp v9, v7 row_shr:1 row_mask:0xf bank_mask:0xf
	v_cndmask_b32_e32 v9, 0, v9, vcc
	v_add_u32_e32 v7, v9, v7
	v_cmp_lt_u32_e32 vcc, 1, v8
	s_nop 0
	v_mov_b32_dpp v9, v7 row_shr:2 row_mask:0xf bank_mask:0xf
	v_cndmask_b32_e32 v8, 0, v9, vcc
	v_add_u32_e32 v7, v7, v8
	ds_write_b32 v6, v7
.LBB141_4:
	s_or_b64 exec, exec, s[0:1]
	v_cmp_gt_u32_e32 vcc, 64, v0
	v_cmp_lt_u32_e64 s[0:1], 63, v0
	s_waitcnt lgkmcnt(0)
	s_barrier
	s_waitcnt lgkmcnt(0)
                                        ; implicit-def: $vgpr6
	s_and_saveexec_b64 s[8:9], s[0:1]
	s_cbranch_execz .LBB141_6
; %bb.5:
	v_lshl_add_u32 v4, v4, 2, -4
	ds_read_b32 v6, v4
	s_waitcnt lgkmcnt(0)
	v_add_u32_e32 v5, v6, v5
.LBB141_6:
	s_or_b64 exec, exec, s[8:9]
	v_add_u32_e32 v4, -1, v1
	v_and_b32_e32 v7, 64, v1
	v_cmp_lt_i32_e64 s[0:1], v4, v7
	v_cndmask_b32_e64 v4, v4, v1, s[0:1]
	s_load_dword s7, s[4:5], 0x10
	v_lshlrev_b32_e32 v4, 2, v4
	ds_bpermute_b32 v5, v4, v5
	s_waitcnt lgkmcnt(0)
	v_mov_b32_e32 v4, s7
	s_and_saveexec_b64 s[0:1], vcc
	s_cbranch_execz .LBB141_10
; %bb.7:
	v_mov_b32_e32 v7, 0
	ds_read_b32 v4, v7 offset:12
	v_cmp_eq_u32_e32 vcc, 0, v0
	s_and_saveexec_b64 s[4:5], vcc
	s_cbranch_execz .LBB141_9
; %bb.8:
	v_mov_b32_e32 v8, s7
	ds_write_b32 v7, v8 offset:12
.LBB141_9:
	s_or_b64 exec, exec, s[4:5]
	s_waitcnt lgkmcnt(0)
	v_add_u32_e32 v4, s7, v4
.LBB141_10:
	s_or_b64 exec, exec, s[0:1]
	v_mov_b32_e32 v7, 0
	s_barrier
	ds_read_b32 v8, v7 offset:12
	v_cmp_eq_u32_e32 vcc, 0, v1
	v_cndmask_b32_e32 v1, v5, v6, vcc
	v_cmp_eq_u32_e32 vcc, 0, v0
	v_cndmask_b32_e64 v0, v1, 0, vcc
	s_mov_b32 s7, 0
	s_waitcnt lgkmcnt(0)
	v_add_u32_e32 v0, v8, v0
	global_store_dword v[2:3], v0, off
	s_and_saveexec_b64 s[0:1], vcc
	s_cbranch_execz .LBB141_12
; %bb.11:
	s_lshl_b64 s[0:1], s[6:7], 2
	s_add_u32 s0, s2, s0
	s_addc_u32 s1, s3, s1
	global_store_dword v7, v4, s[0:1]
.LBB141_12:
	s_endpgm
	.section	.rodata,"a",@progbits
	.p2align	6, 0x0
	.amdhsa_kernel _Z37exclusive_scan_prefix_callback_kernelILj256ELN6hipcub18BlockScanAlgorithmE0EiEvPT1_S3_S2_
		.amdhsa_group_segment_fixed_size 16
		.amdhsa_private_segment_fixed_size 0
		.amdhsa_kernarg_size 20
		.amdhsa_user_sgpr_count 6
		.amdhsa_user_sgpr_private_segment_buffer 1
		.amdhsa_user_sgpr_dispatch_ptr 0
		.amdhsa_user_sgpr_queue_ptr 0
		.amdhsa_user_sgpr_kernarg_segment_ptr 1
		.amdhsa_user_sgpr_dispatch_id 0
		.amdhsa_user_sgpr_flat_scratch_init 0
		.amdhsa_user_sgpr_kernarg_preload_length 0
		.amdhsa_user_sgpr_kernarg_preload_offset 0
		.amdhsa_user_sgpr_private_segment_size 0
		.amdhsa_uses_dynamic_stack 0
		.amdhsa_system_sgpr_private_segment_wavefront_offset 0
		.amdhsa_system_sgpr_workgroup_id_x 1
		.amdhsa_system_sgpr_workgroup_id_y 0
		.amdhsa_system_sgpr_workgroup_id_z 0
		.amdhsa_system_sgpr_workgroup_info 0
		.amdhsa_system_vgpr_workitem_id 0
		.amdhsa_next_free_vgpr 10
		.amdhsa_next_free_sgpr 10
		.amdhsa_accum_offset 12
		.amdhsa_reserve_vcc 1
		.amdhsa_reserve_flat_scratch 0
		.amdhsa_float_round_mode_32 0
		.amdhsa_float_round_mode_16_64 0
		.amdhsa_float_denorm_mode_32 3
		.amdhsa_float_denorm_mode_16_64 3
		.amdhsa_dx10_clamp 1
		.amdhsa_ieee_mode 1
		.amdhsa_fp16_overflow 0
		.amdhsa_tg_split 0
		.amdhsa_exception_fp_ieee_invalid_op 0
		.amdhsa_exception_fp_denorm_src 0
		.amdhsa_exception_fp_ieee_div_zero 0
		.amdhsa_exception_fp_ieee_overflow 0
		.amdhsa_exception_fp_ieee_underflow 0
		.amdhsa_exception_fp_ieee_inexact 0
		.amdhsa_exception_int_div_zero 0
	.end_amdhsa_kernel
	.section	.text._Z37exclusive_scan_prefix_callback_kernelILj256ELN6hipcub18BlockScanAlgorithmE0EiEvPT1_S3_S2_,"axG",@progbits,_Z37exclusive_scan_prefix_callback_kernelILj256ELN6hipcub18BlockScanAlgorithmE0EiEvPT1_S3_S2_,comdat
.Lfunc_end141:
	.size	_Z37exclusive_scan_prefix_callback_kernelILj256ELN6hipcub18BlockScanAlgorithmE0EiEvPT1_S3_S2_, .Lfunc_end141-_Z37exclusive_scan_prefix_callback_kernelILj256ELN6hipcub18BlockScanAlgorithmE0EiEvPT1_S3_S2_
                                        ; -- End function
	.section	.AMDGPU.csdata,"",@progbits
; Kernel info:
; codeLenInByte = 612
; NumSgprs: 14
; NumVgprs: 10
; NumAgprs: 0
; TotalNumVgprs: 10
; ScratchSize: 0
; MemoryBound: 0
; FloatMode: 240
; IeeeMode: 1
; LDSByteSize: 16 bytes/workgroup (compile time only)
; SGPRBlocks: 1
; VGPRBlocks: 1
; NumSGPRsForWavesPerEU: 14
; NumVGPRsForWavesPerEU: 10
; AccumOffset: 12
; Occupancy: 8
; WaveLimiterHint : 0
; COMPUTE_PGM_RSRC2:SCRATCH_EN: 0
; COMPUTE_PGM_RSRC2:USER_SGPR: 6
; COMPUTE_PGM_RSRC2:TRAP_HANDLER: 0
; COMPUTE_PGM_RSRC2:TGID_X_EN: 1
; COMPUTE_PGM_RSRC2:TGID_Y_EN: 0
; COMPUTE_PGM_RSRC2:TGID_Z_EN: 0
; COMPUTE_PGM_RSRC2:TIDIG_COMP_CNT: 0
; COMPUTE_PGM_RSRC3_GFX90A:ACCUM_OFFSET: 2
; COMPUTE_PGM_RSRC3_GFX90A:TG_SPLIT: 0
	.section	.text._Z37exclusive_scan_prefix_callback_kernelILj128ELN6hipcub18BlockScanAlgorithmE0EiEvPT1_S3_S2_,"axG",@progbits,_Z37exclusive_scan_prefix_callback_kernelILj128ELN6hipcub18BlockScanAlgorithmE0EiEvPT1_S3_S2_,comdat
	.protected	_Z37exclusive_scan_prefix_callback_kernelILj128ELN6hipcub18BlockScanAlgorithmE0EiEvPT1_S3_S2_ ; -- Begin function _Z37exclusive_scan_prefix_callback_kernelILj128ELN6hipcub18BlockScanAlgorithmE0EiEvPT1_S3_S2_
	.globl	_Z37exclusive_scan_prefix_callback_kernelILj128ELN6hipcub18BlockScanAlgorithmE0EiEvPT1_S3_S2_
	.p2align	8
	.type	_Z37exclusive_scan_prefix_callback_kernelILj128ELN6hipcub18BlockScanAlgorithmE0EiEvPT1_S3_S2_,@function
_Z37exclusive_scan_prefix_callback_kernelILj128ELN6hipcub18BlockScanAlgorithmE0EiEvPT1_S3_S2_: ; @_Z37exclusive_scan_prefix_callback_kernelILj128ELN6hipcub18BlockScanAlgorithmE0EiEvPT1_S3_S2_
; %bb.0:
	s_load_dwordx4 s[0:3], s[4:5], 0x0
	v_lshl_or_b32 v2, s6, 7, v0
	v_mov_b32_e32 v3, 0
	v_lshlrev_b64 v[2:3], 2, v[2:3]
	v_or_b32_e32 v6, 63, v0
	s_waitcnt lgkmcnt(0)
	v_mov_b32_e32 v1, s1
	v_add_co_u32_e32 v2, vcc, s0, v2
	v_addc_co_u32_e32 v3, vcc, v1, v3, vcc
	global_load_dword v5, v[2:3], off
	v_mbcnt_lo_u32_b32 v1, -1, 0
	v_mbcnt_hi_u32_b32 v1, -1, v1
	v_and_b32_e32 v7, 15, v1
	v_cmp_ne_u32_e32 vcc, 0, v7
	v_bfe_i32 v8, v1, 4, 1
	v_lshrrev_b32_e32 v4, 6, v0
	s_waitcnt vmcnt(0)
	v_mov_b32_dpp v9, v5 row_shr:1 row_mask:0xf bank_mask:0xf
	v_cndmask_b32_e32 v9, 0, v9, vcc
	v_add_u32_e32 v5, v9, v5
	v_cmp_lt_u32_e32 vcc, 1, v7
	s_nop 0
	v_mov_b32_dpp v9, v5 row_shr:2 row_mask:0xf bank_mask:0xf
	v_cndmask_b32_e32 v9, 0, v9, vcc
	v_add_u32_e32 v5, v5, v9
	v_cmp_lt_u32_e32 vcc, 3, v7
	s_nop 0
	;; [unrolled: 5-line block ×4, first 2 shown]
	v_mov_b32_dpp v7, v5 row_bcast:15 row_mask:0xf bank_mask:0xf
	v_and_b32_e32 v7, v8, v7
	v_add_u32_e32 v5, v5, v7
	s_nop 1
	v_mov_b32_dpp v7, v5 row_bcast:31 row_mask:0xf bank_mask:0xf
	v_cndmask_b32_e32 v7, 0, v7, vcc
	v_add_u32_e32 v5, v5, v7
	v_cmp_eq_u32_e32 vcc, v6, v0
	s_and_saveexec_b64 s[0:1], vcc
	s_cbranch_execz .LBB142_2
; %bb.1:
	v_lshlrev_b32_e32 v6, 2, v4
	ds_write_b32 v6, v5
.LBB142_2:
	s_or_b64 exec, exec, s[0:1]
	v_cmp_gt_u32_e32 vcc, 2, v0
	s_waitcnt lgkmcnt(0)
	s_barrier
	s_and_saveexec_b64 s[0:1], vcc
	s_cbranch_execz .LBB142_4
; %bb.3:
	v_lshlrev_b32_e32 v6, 2, v0
	ds_read_b32 v7, v6
	v_bfe_i32 v8, v1, 0, 1
	s_waitcnt lgkmcnt(0)
	v_mov_b32_dpp v9, v7 row_shr:1 row_mask:0xf bank_mask:0xf
	v_and_b32_e32 v8, v8, v9
	v_add_u32_e32 v7, v8, v7
	ds_write_b32 v6, v7
.LBB142_4:
	s_or_b64 exec, exec, s[0:1]
	v_cmp_gt_u32_e32 vcc, 64, v0
	v_cmp_lt_u32_e64 s[0:1], 63, v0
	s_waitcnt lgkmcnt(0)
	s_barrier
	s_waitcnt lgkmcnt(0)
                                        ; implicit-def: $vgpr6
	s_and_saveexec_b64 s[8:9], s[0:1]
	s_cbranch_execz .LBB142_6
; %bb.5:
	v_lshl_add_u32 v4, v4, 2, -4
	ds_read_b32 v6, v4
	s_waitcnt lgkmcnt(0)
	v_add_u32_e32 v5, v6, v5
.LBB142_6:
	s_or_b64 exec, exec, s[8:9]
	v_add_u32_e32 v4, -1, v1
	v_and_b32_e32 v7, 64, v1
	v_cmp_lt_i32_e64 s[0:1], v4, v7
	v_cndmask_b32_e64 v4, v4, v1, s[0:1]
	s_load_dword s7, s[4:5], 0x10
	v_lshlrev_b32_e32 v4, 2, v4
	ds_bpermute_b32 v5, v4, v5
	s_waitcnt lgkmcnt(0)
	v_mov_b32_e32 v4, s7
	s_and_saveexec_b64 s[0:1], vcc
	s_cbranch_execz .LBB142_10
; %bb.7:
	v_mov_b32_e32 v7, 0
	ds_read_b32 v4, v7 offset:4
	v_cmp_eq_u32_e32 vcc, 0, v0
	s_and_saveexec_b64 s[4:5], vcc
	s_cbranch_execz .LBB142_9
; %bb.8:
	v_mov_b32_e32 v8, s7
	ds_write_b32 v7, v8 offset:4
.LBB142_9:
	s_or_b64 exec, exec, s[4:5]
	s_waitcnt lgkmcnt(0)
	v_add_u32_e32 v4, s7, v4
.LBB142_10:
	s_or_b64 exec, exec, s[0:1]
	v_mov_b32_e32 v7, 0
	s_barrier
	ds_read_b32 v8, v7 offset:4
	v_cmp_eq_u32_e32 vcc, 0, v1
	v_cndmask_b32_e32 v1, v5, v6, vcc
	v_cmp_eq_u32_e32 vcc, 0, v0
	v_cndmask_b32_e64 v0, v1, 0, vcc
	s_mov_b32 s7, 0
	s_waitcnt lgkmcnt(0)
	v_add_u32_e32 v0, v8, v0
	global_store_dword v[2:3], v0, off
	s_and_saveexec_b64 s[0:1], vcc
	s_cbranch_execz .LBB142_12
; %bb.11:
	s_lshl_b64 s[0:1], s[6:7], 2
	s_add_u32 s0, s2, s0
	s_addc_u32 s1, s3, s1
	global_store_dword v7, v4, s[0:1]
.LBB142_12:
	s_endpgm
	.section	.rodata,"a",@progbits
	.p2align	6, 0x0
	.amdhsa_kernel _Z37exclusive_scan_prefix_callback_kernelILj128ELN6hipcub18BlockScanAlgorithmE0EiEvPT1_S3_S2_
		.amdhsa_group_segment_fixed_size 8
		.amdhsa_private_segment_fixed_size 0
		.amdhsa_kernarg_size 20
		.amdhsa_user_sgpr_count 6
		.amdhsa_user_sgpr_private_segment_buffer 1
		.amdhsa_user_sgpr_dispatch_ptr 0
		.amdhsa_user_sgpr_queue_ptr 0
		.amdhsa_user_sgpr_kernarg_segment_ptr 1
		.amdhsa_user_sgpr_dispatch_id 0
		.amdhsa_user_sgpr_flat_scratch_init 0
		.amdhsa_user_sgpr_kernarg_preload_length 0
		.amdhsa_user_sgpr_kernarg_preload_offset 0
		.amdhsa_user_sgpr_private_segment_size 0
		.amdhsa_uses_dynamic_stack 0
		.amdhsa_system_sgpr_private_segment_wavefront_offset 0
		.amdhsa_system_sgpr_workgroup_id_x 1
		.amdhsa_system_sgpr_workgroup_id_y 0
		.amdhsa_system_sgpr_workgroup_id_z 0
		.amdhsa_system_sgpr_workgroup_info 0
		.amdhsa_system_vgpr_workitem_id 0
		.amdhsa_next_free_vgpr 10
		.amdhsa_next_free_sgpr 10
		.amdhsa_accum_offset 12
		.amdhsa_reserve_vcc 1
		.amdhsa_reserve_flat_scratch 0
		.amdhsa_float_round_mode_32 0
		.amdhsa_float_round_mode_16_64 0
		.amdhsa_float_denorm_mode_32 3
		.amdhsa_float_denorm_mode_16_64 3
		.amdhsa_dx10_clamp 1
		.amdhsa_ieee_mode 1
		.amdhsa_fp16_overflow 0
		.amdhsa_tg_split 0
		.amdhsa_exception_fp_ieee_invalid_op 0
		.amdhsa_exception_fp_denorm_src 0
		.amdhsa_exception_fp_ieee_div_zero 0
		.amdhsa_exception_fp_ieee_overflow 0
		.amdhsa_exception_fp_ieee_underflow 0
		.amdhsa_exception_fp_ieee_inexact 0
		.amdhsa_exception_int_div_zero 0
	.end_amdhsa_kernel
	.section	.text._Z37exclusive_scan_prefix_callback_kernelILj128ELN6hipcub18BlockScanAlgorithmE0EiEvPT1_S3_S2_,"axG",@progbits,_Z37exclusive_scan_prefix_callback_kernelILj128ELN6hipcub18BlockScanAlgorithmE0EiEvPT1_S3_S2_,comdat
.Lfunc_end142:
	.size	_Z37exclusive_scan_prefix_callback_kernelILj128ELN6hipcub18BlockScanAlgorithmE0EiEvPT1_S3_S2_, .Lfunc_end142-_Z37exclusive_scan_prefix_callback_kernelILj128ELN6hipcub18BlockScanAlgorithmE0EiEvPT1_S3_S2_
                                        ; -- End function
	.section	.AMDGPU.csdata,"",@progbits
; Kernel info:
; codeLenInByte = 588
; NumSgprs: 14
; NumVgprs: 10
; NumAgprs: 0
; TotalNumVgprs: 10
; ScratchSize: 0
; MemoryBound: 0
; FloatMode: 240
; IeeeMode: 1
; LDSByteSize: 8 bytes/workgroup (compile time only)
; SGPRBlocks: 1
; VGPRBlocks: 1
; NumSGPRsForWavesPerEU: 14
; NumVGPRsForWavesPerEU: 10
; AccumOffset: 12
; Occupancy: 8
; WaveLimiterHint : 0
; COMPUTE_PGM_RSRC2:SCRATCH_EN: 0
; COMPUTE_PGM_RSRC2:USER_SGPR: 6
; COMPUTE_PGM_RSRC2:TRAP_HANDLER: 0
; COMPUTE_PGM_RSRC2:TGID_X_EN: 1
; COMPUTE_PGM_RSRC2:TGID_Y_EN: 0
; COMPUTE_PGM_RSRC2:TGID_Z_EN: 0
; COMPUTE_PGM_RSRC2:TIDIG_COMP_CNT: 0
; COMPUTE_PGM_RSRC3_GFX90A:ACCUM_OFFSET: 2
; COMPUTE_PGM_RSRC3_GFX90A:TG_SPLIT: 0
	.section	.text._Z37exclusive_scan_prefix_callback_kernelILj64ELN6hipcub18BlockScanAlgorithmE0EiEvPT1_S3_S2_,"axG",@progbits,_Z37exclusive_scan_prefix_callback_kernelILj64ELN6hipcub18BlockScanAlgorithmE0EiEvPT1_S3_S2_,comdat
	.protected	_Z37exclusive_scan_prefix_callback_kernelILj64ELN6hipcub18BlockScanAlgorithmE0EiEvPT1_S3_S2_ ; -- Begin function _Z37exclusive_scan_prefix_callback_kernelILj64ELN6hipcub18BlockScanAlgorithmE0EiEvPT1_S3_S2_
	.globl	_Z37exclusive_scan_prefix_callback_kernelILj64ELN6hipcub18BlockScanAlgorithmE0EiEvPT1_S3_S2_
	.p2align	8
	.type	_Z37exclusive_scan_prefix_callback_kernelILj64ELN6hipcub18BlockScanAlgorithmE0EiEvPT1_S3_S2_,@function
_Z37exclusive_scan_prefix_callback_kernelILj64ELN6hipcub18BlockScanAlgorithmE0EiEvPT1_S3_S2_: ; @_Z37exclusive_scan_prefix_callback_kernelILj64ELN6hipcub18BlockScanAlgorithmE0EiEvPT1_S3_S2_
; %bb.0:
	s_load_dwordx4 s[0:3], s[4:5], 0x0
	v_lshl_or_b32 v4, s6, 6, v0
	v_mov_b32_e32 v5, 0
	v_lshlrev_b64 v[2:3], 2, v[4:5]
	s_waitcnt lgkmcnt(0)
	v_mov_b32_e32 v1, s1
	v_add_co_u32_e32 v2, vcc, s0, v2
	v_addc_co_u32_e32 v3, vcc, v1, v3, vcc
	global_load_dword v4, v[2:3], off
	v_mbcnt_lo_u32_b32 v1, -1, 0
	v_mbcnt_hi_u32_b32 v1, -1, v1
	v_and_b32_e32 v6, 15, v1
	v_cmp_ne_u32_e32 vcc, 0, v6
	v_bfe_i32 v7, v1, 4, 1
	s_waitcnt vmcnt(0)
	v_mov_b32_dpp v8, v4 row_shr:1 row_mask:0xf bank_mask:0xf
	v_cndmask_b32_e32 v8, 0, v8, vcc
	v_add_u32_e32 v4, v8, v4
	v_cmp_lt_u32_e32 vcc, 1, v6
	s_nop 0
	v_mov_b32_dpp v8, v4 row_shr:2 row_mask:0xf bank_mask:0xf
	v_cndmask_b32_e32 v8, 0, v8, vcc
	v_add_u32_e32 v4, v4, v8
	v_cmp_lt_u32_e32 vcc, 3, v6
	s_nop 0
	;; [unrolled: 5-line block ×4, first 2 shown]
	v_mov_b32_dpp v6, v4 row_bcast:15 row_mask:0xf bank_mask:0xf
	v_and_b32_e32 v6, v7, v6
	v_add_u32_e32 v4, v4, v6
	s_nop 1
	v_mov_b32_dpp v6, v4 row_bcast:31 row_mask:0xf bank_mask:0xf
	v_cndmask_b32_e32 v6, 0, v6, vcc
	v_add_u32_e32 v4, v4, v6
	v_cmp_eq_u32_e32 vcc, 63, v0
	s_and_saveexec_b64 s[0:1], vcc
	s_cbranch_execz .LBB143_2
; %bb.1:
	ds_write_b32 v5, v4
.LBB143_2:
	s_or_b64 exec, exec, s[0:1]
	v_add_u32_e32 v5, -1, v1
	v_and_b32_e32 v6, 64, v1
	v_cmp_lt_i32_e32 vcc, v5, v6
	v_cndmask_b32_e32 v1, v5, v1, vcc
	s_load_dword s7, s[4:5], 0x10
	v_lshlrev_b32_e32 v1, 2, v1
	ds_bpermute_b32 v1, v1, v4
	v_cmp_gt_u32_e32 vcc, 64, v0
	s_waitcnt lgkmcnt(0)
	v_mov_b32_e32 v4, s7
	; wave barrier
	s_and_saveexec_b64 s[0:1], vcc
	s_cbranch_execz .LBB143_6
; %bb.3:
	v_mov_b32_e32 v5, 0
	ds_read_b32 v4, v5
	v_cmp_eq_u32_e32 vcc, 0, v0
	s_and_saveexec_b64 s[4:5], vcc
	s_cbranch_execz .LBB143_5
; %bb.4:
	v_mov_b32_e32 v6, s7
	ds_write_b32 v5, v6
.LBB143_5:
	s_or_b64 exec, exec, s[4:5]
	s_waitcnt lgkmcnt(0)
	v_add_u32_e32 v4, s7, v4
.LBB143_6:
	s_or_b64 exec, exec, s[0:1]
	v_mov_b32_e32 v5, 0
	s_waitcnt lgkmcnt(0)
	; wave barrier
	ds_read_b32 v6, v5
	v_cmp_eq_u32_e32 vcc, 0, v0
	v_cndmask_b32_e64 v0, v1, 0, vcc
	s_mov_b32 s7, 0
	s_waitcnt lgkmcnt(0)
	v_add_u32_e32 v0, v6, v0
	global_store_dword v[2:3], v0, off
	s_and_saveexec_b64 s[0:1], vcc
	s_cbranch_execz .LBB143_8
; %bb.7:
	s_lshl_b64 s[0:1], s[6:7], 2
	s_add_u32 s0, s2, s0
	s_addc_u32 s1, s3, s1
	global_store_dword v5, v4, s[0:1]
.LBB143_8:
	s_endpgm
	.section	.rodata,"a",@progbits
	.p2align	6, 0x0
	.amdhsa_kernel _Z37exclusive_scan_prefix_callback_kernelILj64ELN6hipcub18BlockScanAlgorithmE0EiEvPT1_S3_S2_
		.amdhsa_group_segment_fixed_size 4
		.amdhsa_private_segment_fixed_size 0
		.amdhsa_kernarg_size 20
		.amdhsa_user_sgpr_count 6
		.amdhsa_user_sgpr_private_segment_buffer 1
		.amdhsa_user_sgpr_dispatch_ptr 0
		.amdhsa_user_sgpr_queue_ptr 0
		.amdhsa_user_sgpr_kernarg_segment_ptr 1
		.amdhsa_user_sgpr_dispatch_id 0
		.amdhsa_user_sgpr_flat_scratch_init 0
		.amdhsa_user_sgpr_kernarg_preload_length 0
		.amdhsa_user_sgpr_kernarg_preload_offset 0
		.amdhsa_user_sgpr_private_segment_size 0
		.amdhsa_uses_dynamic_stack 0
		.amdhsa_system_sgpr_private_segment_wavefront_offset 0
		.amdhsa_system_sgpr_workgroup_id_x 1
		.amdhsa_system_sgpr_workgroup_id_y 0
		.amdhsa_system_sgpr_workgroup_id_z 0
		.amdhsa_system_sgpr_workgroup_info 0
		.amdhsa_system_vgpr_workitem_id 0
		.amdhsa_next_free_vgpr 9
		.amdhsa_next_free_sgpr 8
		.amdhsa_accum_offset 12
		.amdhsa_reserve_vcc 1
		.amdhsa_reserve_flat_scratch 0
		.amdhsa_float_round_mode_32 0
		.amdhsa_float_round_mode_16_64 0
		.amdhsa_float_denorm_mode_32 3
		.amdhsa_float_denorm_mode_16_64 3
		.amdhsa_dx10_clamp 1
		.amdhsa_ieee_mode 1
		.amdhsa_fp16_overflow 0
		.amdhsa_tg_split 0
		.amdhsa_exception_fp_ieee_invalid_op 0
		.amdhsa_exception_fp_denorm_src 0
		.amdhsa_exception_fp_ieee_div_zero 0
		.amdhsa_exception_fp_ieee_overflow 0
		.amdhsa_exception_fp_ieee_underflow 0
		.amdhsa_exception_fp_ieee_inexact 0
		.amdhsa_exception_int_div_zero 0
	.end_amdhsa_kernel
	.section	.text._Z37exclusive_scan_prefix_callback_kernelILj64ELN6hipcub18BlockScanAlgorithmE0EiEvPT1_S3_S2_,"axG",@progbits,_Z37exclusive_scan_prefix_callback_kernelILj64ELN6hipcub18BlockScanAlgorithmE0EiEvPT1_S3_S2_,comdat
.Lfunc_end143:
	.size	_Z37exclusive_scan_prefix_callback_kernelILj64ELN6hipcub18BlockScanAlgorithmE0EiEvPT1_S3_S2_, .Lfunc_end143-_Z37exclusive_scan_prefix_callback_kernelILj64ELN6hipcub18BlockScanAlgorithmE0EiEvPT1_S3_S2_
                                        ; -- End function
	.section	.AMDGPU.csdata,"",@progbits
; Kernel info:
; codeLenInByte = 432
; NumSgprs: 12
; NumVgprs: 9
; NumAgprs: 0
; TotalNumVgprs: 9
; ScratchSize: 0
; MemoryBound: 0
; FloatMode: 240
; IeeeMode: 1
; LDSByteSize: 4 bytes/workgroup (compile time only)
; SGPRBlocks: 1
; VGPRBlocks: 1
; NumSGPRsForWavesPerEU: 12
; NumVGPRsForWavesPerEU: 9
; AccumOffset: 12
; Occupancy: 8
; WaveLimiterHint : 0
; COMPUTE_PGM_RSRC2:SCRATCH_EN: 0
; COMPUTE_PGM_RSRC2:USER_SGPR: 6
; COMPUTE_PGM_RSRC2:TRAP_HANDLER: 0
; COMPUTE_PGM_RSRC2:TGID_X_EN: 1
; COMPUTE_PGM_RSRC2:TGID_Y_EN: 0
; COMPUTE_PGM_RSRC2:TGID_Z_EN: 0
; COMPUTE_PGM_RSRC2:TIDIG_COMP_CNT: 0
; COMPUTE_PGM_RSRC3_GFX90A:ACCUM_OFFSET: 2
; COMPUTE_PGM_RSRC3_GFX90A:TG_SPLIT: 0
	.section	.text._Z21inclusive_scan_kernelILj377ELN6hipcub18BlockScanAlgorithmE1EN10test_utils16custom_test_typeIhEEEvPT1_,"axG",@progbits,_Z21inclusive_scan_kernelILj377ELN6hipcub18BlockScanAlgorithmE1EN10test_utils16custom_test_typeIhEEEvPT1_,comdat
	.protected	_Z21inclusive_scan_kernelILj377ELN6hipcub18BlockScanAlgorithmE1EN10test_utils16custom_test_typeIhEEEvPT1_ ; -- Begin function _Z21inclusive_scan_kernelILj377ELN6hipcub18BlockScanAlgorithmE1EN10test_utils16custom_test_typeIhEEEvPT1_
	.globl	_Z21inclusive_scan_kernelILj377ELN6hipcub18BlockScanAlgorithmE1EN10test_utils16custom_test_typeIhEEEvPT1_
	.p2align	8
	.type	_Z21inclusive_scan_kernelILj377ELN6hipcub18BlockScanAlgorithmE1EN10test_utils16custom_test_typeIhEEEvPT1_,@function
_Z21inclusive_scan_kernelILj377ELN6hipcub18BlockScanAlgorithmE1EN10test_utils16custom_test_typeIhEEEvPT1_: ; @_Z21inclusive_scan_kernelILj377ELN6hipcub18BlockScanAlgorithmE1EN10test_utils16custom_test_typeIhEEEvPT1_
; %bb.0:
	s_load_dwordx2 s[0:1], s[4:5], 0x0
	s_mulk_i32 s6, 0x179
	v_add_u32_e32 v2, s6, v0
	v_mov_b32_e32 v3, 0
	v_lshlrev_b64 v[2:3], 1, v[2:3]
	s_waitcnt lgkmcnt(0)
	v_mov_b32_e32 v1, s1
	v_add_co_u32_e32 v2, vcc, s0, v2
	v_addc_co_u32_e32 v3, vcc, v1, v3, vcc
	global_load_ushort v4, v[2:3], off
	v_lshlrev_b32_e32 v1, 1, v0
	v_cmp_gt_u32_e32 vcc, 64, v0
	s_waitcnt vmcnt(0)
	v_lshrrev_b16_e32 v5, 8, v4
	ds_write_b8 v1, v4
	ds_write_b8 v1, v5 offset:1
	s_waitcnt lgkmcnt(0)
	s_barrier
	s_and_saveexec_b64 s[0:1], vcc
	s_cbranch_execz .LBB144_2
; %bb.1:
	v_mul_u32_u24_e32 v6, 6, v0
	v_lshlrev_b32_e32 v8, 1, v6
	ds_read_b64 v[6:7], v8 offset:2
	ds_read_u16 v9, v8
	ds_read_u8 v10, v8 offset:10
	ds_read_u8 v11, v8 offset:11
	s_mov_b32 s2, 0x6050400
	s_waitcnt lgkmcnt(3)
	v_lshrrev_b32_e32 v12, 8, v6
	s_waitcnt lgkmcnt(2)
	v_add_u16_sdwa v15, v12, v9 dst_sel:DWORD dst_unused:UNUSED_PAD src0_sel:DWORD src1_sel:BYTE_1
	v_lshrrev_b32_e32 v13, 8, v7
	v_add_u16_e32 v14, v6, v9
	v_add_u16_sdwa v15, v15, v6 dst_sel:DWORD dst_unused:UNUSED_PAD src0_sel:DWORD src1_sel:BYTE_3
	v_add_u16_sdwa v14, v14, v6 dst_sel:DWORD dst_unused:UNUSED_PAD src0_sel:DWORD src1_sel:WORD_1
	v_add_u16_e32 v15, v15, v13
	v_add_u16_e32 v14, v14, v7
	v_add_u16_sdwa v15, v15, v7 dst_sel:DWORD dst_unused:UNUSED_PAD src0_sel:DWORD src1_sel:BYTE_3
	v_add_u16_sdwa v14, v14, v7 dst_sel:DWORD dst_unused:UNUSED_PAD src0_sel:DWORD src1_sel:WORD_1
	s_waitcnt lgkmcnt(0)
	v_add_u16_e32 v15, v15, v11
	v_add_u16_e32 v14, v14, v10
	v_and_b32_e32 v18, 0xff, v15
	v_perm_b32 v18, v18, v14, s2
	v_mbcnt_lo_u32_b32 v16, -1, 0
	v_mbcnt_hi_u32_b32 v16, -1, v16
	v_mov_b32_dpp v19, v18 row_shr:1 row_mask:0xf bank_mask:0xf
	v_add_u16_e32 v20, v14, v19
	v_lshrrev_b32_e32 v19, 8, v19
	v_add_u16_e32 v19, v15, v19
	v_and_b32_e32 v17, 15, v16
	v_and_b32_e32 v21, 0xff, v19
	v_perm_b32 v21, v21, v20, s2
	v_cmp_eq_u32_e32 vcc, 0, v17
	v_cndmask_b32_e32 v18, v21, v18, vcc
	v_cndmask_b32_e32 v14, v20, v14, vcc
	v_cndmask_b32_e32 v15, v19, v15, vcc
	v_mov_b32_dpp v19, v18 row_shr:2 row_mask:0xf bank_mask:0xf
	v_add_u16_e32 v20, v14, v19
	v_lshrrev_b32_e32 v19, 8, v19
	v_add_u16_e32 v19, v15, v19
	v_and_b32_e32 v21, 0xff, v19
	v_perm_b32 v21, v21, v20, s2
	v_cmp_lt_u32_e32 vcc, 1, v17
	v_cndmask_b32_e32 v18, v18, v21, vcc
	v_cndmask_b32_e32 v15, v15, v19, vcc
	v_cndmask_b32_e32 v14, v14, v20, vcc
	v_mov_b32_dpp v19, v18 row_shr:4 row_mask:0xf bank_mask:0xf
	v_add_u16_e32 v20, v14, v19
	v_lshrrev_b32_e32 v19, 8, v19
	v_add_u16_e32 v19, v15, v19
	v_and_b32_e32 v21, 0xff, v19
	v_perm_b32 v21, v21, v20, s2
	v_cmp_lt_u32_e32 vcc, 3, v17
	;; [unrolled: 10-line block ×3, first 2 shown]
	v_cndmask_b32_e32 v17, v18, v21, vcc
	v_cndmask_b32_e32 v14, v14, v20, vcc
	;; [unrolled: 1-line block ×3, first 2 shown]
	v_mov_b32_dpp v18, v17 row_bcast:15 row_mask:0xf bank_mask:0xf
	v_add_u16_e32 v20, v14, v18
	v_lshrrev_b32_e32 v18, 8, v18
	v_add_u16_e32 v18, v15, v18
	v_and_b32_e32 v19, 16, v16
	v_and_b32_e32 v21, 0xff, v18
	v_perm_b32 v21, v21, v20, s2
	v_cmp_eq_u32_e32 vcc, 0, v19
	v_cndmask_b32_e32 v17, v21, v17, vcc
	v_cndmask_b32_e32 v14, v20, v14, vcc
	v_cndmask_b32_e32 v15, v18, v15, vcc
	v_mov_b32_dpp v17, v17 row_bcast:31 row_mask:0xf bank_mask:0xf
	v_cmp_lt_u32_e32 vcc, 31, v16
	v_lshrrev_b32_e32 v18, 8, v17
	v_cndmask_b32_e32 v17, 0, v17, vcc
	v_add_u16_e32 v14, v14, v17
	v_cndmask_b32_e32 v17, 0, v18, vcc
	v_add_u16_e32 v15, v15, v17
	v_and_b32_e32 v15, 0xff, v15
	v_perm_b32 v14, v15, v14, s2
	v_add_u32_e32 v15, -1, v16
	v_and_b32_e32 v17, 64, v16
	v_cmp_lt_i32_e32 vcc, v15, v17
	v_cndmask_b32_e32 v15, v15, v16, vcc
	v_lshlrev_b32_e32 v15, 2, v15
	ds_bpermute_b32 v14, v15, v14
	v_cmp_eq_u32_e32 vcc, 0, v0
	s_waitcnt lgkmcnt(0)
	v_lshrrev_b32_e32 v15, 8, v14
	v_add_u16_e32 v14, v14, v9
	v_add_u16_sdwa v9, v15, v9 dst_sel:DWORD dst_unused:UNUSED_PAD src0_sel:DWORD src1_sel:BYTE_1
	v_cndmask_b32_e32 v0, v14, v4, vcc
	v_cndmask_b32_e32 v4, v9, v5, vcc
	v_add_u16_e32 v5, v0, v6
	v_add_u16_e32 v9, v4, v12
	v_lshlrev_b16_e32 v4, 8, v4
	v_add_u16_sdwa v12, v5, v6 dst_sel:DWORD dst_unused:UNUSED_PAD src0_sel:DWORD src1_sel:WORD_1
	v_add_u16_sdwa v6, v9, v6 dst_sel:DWORD dst_unused:UNUSED_PAD src0_sel:DWORD src1_sel:BYTE_3
	v_or_b32_sdwa v0, v0, v4 dst_sel:DWORD dst_unused:UNUSED_PAD src0_sel:BYTE_0 src1_sel:DWORD
	v_lshlrev_b16_e32 v4, 8, v9
	v_add_u16_e32 v13, v6, v13
	v_or_b32_sdwa v4, v5, v4 dst_sel:WORD_1 dst_unused:UNUSED_PAD src0_sel:BYTE_0 src1_sel:DWORD
	v_add_u16_e32 v14, v12, v7
	v_or_b32_sdwa v4, v0, v4 dst_sel:DWORD dst_unused:UNUSED_PAD src0_sel:WORD_0 src1_sel:DWORD
	v_lshlrev_b16_e32 v0, 8, v6
	v_lshlrev_b16_e32 v5, 8, v13
	v_add_u16_sdwa v15, v14, v7 dst_sel:DWORD dst_unused:UNUSED_PAD src0_sel:DWORD src1_sel:WORD_1
	v_add_u16_sdwa v7, v13, v7 dst_sel:DWORD dst_unused:UNUSED_PAD src0_sel:DWORD src1_sel:BYTE_3
	v_or_b32_sdwa v0, v12, v0 dst_sel:DWORD dst_unused:UNUSED_PAD src0_sel:BYTE_0 src1_sel:DWORD
	v_or_b32_sdwa v5, v14, v5 dst_sel:WORD_1 dst_unused:UNUSED_PAD src0_sel:BYTE_0 src1_sel:DWORD
	v_add_u16_e32 v10, v15, v10
	v_add_u16_sdwa v11, v7, v11 dst_sel:BYTE_1 dst_unused:UNUSED_PAD src0_sel:DWORD src1_sel:DWORD
	v_or_b32_sdwa v5, v0, v5 dst_sel:DWORD dst_unused:UNUSED_PAD src0_sel:WORD_0 src1_sel:DWORD
	v_lshlrev_b16_e32 v0, 8, v7
	v_or_b32_sdwa v0, v15, v0 dst_sel:DWORD dst_unused:UNUSED_PAD src0_sel:BYTE_0 src1_sel:DWORD
	v_or_b32_sdwa v6, v10, v11 dst_sel:WORD_1 dst_unused:UNUSED_PAD src0_sel:BYTE_0 src1_sel:DWORD
	v_or_b32_sdwa v6, v0, v6 dst_sel:DWORD dst_unused:UNUSED_PAD src0_sel:WORD_0 src1_sel:DWORD
	ds_write_b96 v8, v[4:6]
.LBB144_2:
	s_or_b64 exec, exec, s[0:1]
	s_waitcnt lgkmcnt(0)
	s_barrier
	ds_read_u8 v0, v1 offset:1
	ds_read_u8 v1, v1
	s_waitcnt lgkmcnt(1)
	v_lshlrev_b16_e32 v0, 8, v0
	s_waitcnt lgkmcnt(0)
	v_or_b32_e32 v0, v1, v0
	global_store_short v[2:3], v0, off
	s_endpgm
	.section	.rodata,"a",@progbits
	.p2align	6, 0x0
	.amdhsa_kernel _Z21inclusive_scan_kernelILj377ELN6hipcub18BlockScanAlgorithmE1EN10test_utils16custom_test_typeIhEEEvPT1_
		.amdhsa_group_segment_fixed_size 768
		.amdhsa_private_segment_fixed_size 0
		.amdhsa_kernarg_size 8
		.amdhsa_user_sgpr_count 6
		.amdhsa_user_sgpr_private_segment_buffer 1
		.amdhsa_user_sgpr_dispatch_ptr 0
		.amdhsa_user_sgpr_queue_ptr 0
		.amdhsa_user_sgpr_kernarg_segment_ptr 1
		.amdhsa_user_sgpr_dispatch_id 0
		.amdhsa_user_sgpr_flat_scratch_init 0
		.amdhsa_user_sgpr_kernarg_preload_length 0
		.amdhsa_user_sgpr_kernarg_preload_offset 0
		.amdhsa_user_sgpr_private_segment_size 0
		.amdhsa_uses_dynamic_stack 0
		.amdhsa_system_sgpr_private_segment_wavefront_offset 0
		.amdhsa_system_sgpr_workgroup_id_x 1
		.amdhsa_system_sgpr_workgroup_id_y 0
		.amdhsa_system_sgpr_workgroup_id_z 0
		.amdhsa_system_sgpr_workgroup_info 0
		.amdhsa_system_vgpr_workitem_id 0
		.amdhsa_next_free_vgpr 22
		.amdhsa_next_free_sgpr 7
		.amdhsa_accum_offset 24
		.amdhsa_reserve_vcc 1
		.amdhsa_reserve_flat_scratch 0
		.amdhsa_float_round_mode_32 0
		.amdhsa_float_round_mode_16_64 0
		.amdhsa_float_denorm_mode_32 3
		.amdhsa_float_denorm_mode_16_64 3
		.amdhsa_dx10_clamp 1
		.amdhsa_ieee_mode 1
		.amdhsa_fp16_overflow 0
		.amdhsa_tg_split 0
		.amdhsa_exception_fp_ieee_invalid_op 0
		.amdhsa_exception_fp_denorm_src 0
		.amdhsa_exception_fp_ieee_div_zero 0
		.amdhsa_exception_fp_ieee_overflow 0
		.amdhsa_exception_fp_ieee_underflow 0
		.amdhsa_exception_fp_ieee_inexact 0
		.amdhsa_exception_int_div_zero 0
	.end_amdhsa_kernel
	.section	.text._Z21inclusive_scan_kernelILj377ELN6hipcub18BlockScanAlgorithmE1EN10test_utils16custom_test_typeIhEEEvPT1_,"axG",@progbits,_Z21inclusive_scan_kernelILj377ELN6hipcub18BlockScanAlgorithmE1EN10test_utils16custom_test_typeIhEEEvPT1_,comdat
.Lfunc_end144:
	.size	_Z21inclusive_scan_kernelILj377ELN6hipcub18BlockScanAlgorithmE1EN10test_utils16custom_test_typeIhEEEvPT1_, .Lfunc_end144-_Z21inclusive_scan_kernelILj377ELN6hipcub18BlockScanAlgorithmE1EN10test_utils16custom_test_typeIhEEEvPT1_
                                        ; -- End function
	.section	.AMDGPU.csdata,"",@progbits
; Kernel info:
; codeLenInByte = 852
; NumSgprs: 11
; NumVgprs: 22
; NumAgprs: 0
; TotalNumVgprs: 22
; ScratchSize: 0
; MemoryBound: 0
; FloatMode: 240
; IeeeMode: 1
; LDSByteSize: 768 bytes/workgroup (compile time only)
; SGPRBlocks: 1
; VGPRBlocks: 2
; NumSGPRsForWavesPerEU: 11
; NumVGPRsForWavesPerEU: 22
; AccumOffset: 24
; Occupancy: 8
; WaveLimiterHint : 0
; COMPUTE_PGM_RSRC2:SCRATCH_EN: 0
; COMPUTE_PGM_RSRC2:USER_SGPR: 6
; COMPUTE_PGM_RSRC2:TRAP_HANDLER: 0
; COMPUTE_PGM_RSRC2:TGID_X_EN: 1
; COMPUTE_PGM_RSRC2:TGID_Y_EN: 0
; COMPUTE_PGM_RSRC2:TGID_Z_EN: 0
; COMPUTE_PGM_RSRC2:TIDIG_COMP_CNT: 0
; COMPUTE_PGM_RSRC3_GFX90A:ACCUM_OFFSET: 5
; COMPUTE_PGM_RSRC3_GFX90A:TG_SPLIT: 0
	.section	.text._Z21inclusive_scan_kernelILj377ELN6hipcub18BlockScanAlgorithmE1EN10test_utils16custom_test_typeIiEEEvPT1_,"axG",@progbits,_Z21inclusive_scan_kernelILj377ELN6hipcub18BlockScanAlgorithmE1EN10test_utils16custom_test_typeIiEEEvPT1_,comdat
	.protected	_Z21inclusive_scan_kernelILj377ELN6hipcub18BlockScanAlgorithmE1EN10test_utils16custom_test_typeIiEEEvPT1_ ; -- Begin function _Z21inclusive_scan_kernelILj377ELN6hipcub18BlockScanAlgorithmE1EN10test_utils16custom_test_typeIiEEEvPT1_
	.globl	_Z21inclusive_scan_kernelILj377ELN6hipcub18BlockScanAlgorithmE1EN10test_utils16custom_test_typeIiEEEvPT1_
	.p2align	8
	.type	_Z21inclusive_scan_kernelILj377ELN6hipcub18BlockScanAlgorithmE1EN10test_utils16custom_test_typeIiEEEvPT1_,@function
_Z21inclusive_scan_kernelILj377ELN6hipcub18BlockScanAlgorithmE1EN10test_utils16custom_test_typeIiEEEvPT1_: ; @_Z21inclusive_scan_kernelILj377ELN6hipcub18BlockScanAlgorithmE1EN10test_utils16custom_test_typeIiEEEvPT1_
; %bb.0:
	s_load_dwordx2 s[0:1], s[4:5], 0x0
	s_mulk_i32 s6, 0x179
	v_add_u32_e32 v2, s6, v0
	v_mov_b32_e32 v3, 0
	v_lshlrev_b64 v[2:3], 3, v[2:3]
	s_waitcnt lgkmcnt(0)
	v_mov_b32_e32 v1, s1
	v_add_co_u32_e32 v2, vcc, s0, v2
	v_addc_co_u32_e32 v3, vcc, v1, v3, vcc
	global_load_dwordx2 v[4:5], v[2:3], off
	v_lshlrev_b32_e32 v1, 3, v0
	v_cmp_gt_u32_e32 vcc, 64, v0
	s_waitcnt vmcnt(0)
	ds_write2_b32 v1, v4, v5 offset1:1
	s_waitcnt lgkmcnt(0)
	s_barrier
	s_and_saveexec_b64 s[0:1], vcc
	s_cbranch_execz .LBB145_2
; %bb.1:
	v_mbcnt_lo_u32_b32 v16, -1, 0
	v_mbcnt_hi_u32_b32 v20, -1, v16
	v_mul_u32_u24_e32 v6, 6, v0
	v_add_u32_e32 v16, -1, v20
	v_and_b32_e32 v17, 64, v20
	v_lshlrev_b32_e32 v18, 3, v6
	v_cmp_lt_i32_e32 vcc, v16, v17
	ds_read2_b32 v[6:7], v18 offset0:2 offset1:11
	ds_read2_b32 v[8:9], v18 offset1:1
	ds_read2_b32 v[10:11], v18 offset0:3 offset1:4
	ds_read2_b32 v[12:13], v18 offset0:5 offset1:6
	;; [unrolled: 1-line block ×3, first 2 shown]
	v_cndmask_b32_e32 v23, v16, v20, vcc
	ds_read2_b32 v[16:17], v18 offset0:9 offset1:10
	s_waitcnt lgkmcnt(4)
	v_add_u32_e32 v19, v6, v8
	s_waitcnt lgkmcnt(3)
	v_add_u32_e32 v24, v10, v9
	s_waitcnt lgkmcnt(2)
	v_add3_u32 v19, v19, v11, v13
	v_and_b32_e32 v21, 15, v20
	s_waitcnt lgkmcnt(1)
	v_add3_u32 v24, v24, v12, v14
	s_waitcnt lgkmcnt(0)
	v_add3_u32 v19, v19, v15, v17
	v_add3_u32 v24, v24, v16, v7
	v_cmp_eq_u32_e32 vcc, 0, v21
	v_mov_b32_dpp v25, v19 row_shr:1 row_mask:0xf bank_mask:0xf
	v_mov_b32_dpp v26, v24 row_shr:1 row_mask:0xf bank_mask:0xf
	v_cndmask_b32_e64 v25, v25, 0, vcc
	v_add_u32_e32 v19, v25, v19
	v_cndmask_b32_e64 v25, v26, 0, vcc
	v_add_u32_e32 v24, v25, v24
	v_cmp_lt_u32_e32 vcc, 1, v21
	v_mov_b32_dpp v25, v19 row_shr:2 row_mask:0xf bank_mask:0xf
	v_mov_b32_dpp v26, v24 row_shr:2 row_mask:0xf bank_mask:0xf
	v_cndmask_b32_e32 v26, 0, v26, vcc
	v_add_u32_e32 v24, v26, v24
	v_cndmask_b32_e32 v25, 0, v25, vcc
	v_add_u32_e32 v19, v19, v25
	v_mov_b32_dpp v26, v24 row_shr:4 row_mask:0xf bank_mask:0xf
	v_cmp_lt_u32_e32 vcc, 3, v21
	v_mov_b32_dpp v25, v19 row_shr:4 row_mask:0xf bank_mask:0xf
	v_cndmask_b32_e32 v26, 0, v26, vcc
	v_add_u32_e32 v24, v26, v24
	v_cndmask_b32_e32 v25, 0, v25, vcc
	v_add_u32_e32 v19, v25, v19
	v_mov_b32_dpp v26, v24 row_shr:8 row_mask:0xf bank_mask:0xf
	v_cmp_lt_u32_e32 vcc, 7, v21
	v_mov_b32_dpp v25, v19 row_shr:8 row_mask:0xf bank_mask:0xf
	v_cndmask_b32_e32 v21, 0, v26, vcc
	v_add_u32_e32 v21, v21, v24
	v_cndmask_b32_e32 v24, 0, v25, vcc
	v_add_u32_e32 v19, v24, v19
	v_bfe_i32 v22, v20, 4, 1
	v_mov_b32_dpp v25, v21 row_bcast:15 row_mask:0xf bank_mask:0xf
	v_mov_b32_dpp v24, v19 row_bcast:15 row_mask:0xf bank_mask:0xf
	v_and_b32_e32 v24, v22, v24
	v_add_u32_e32 v19, v24, v19
	v_and_b32_e32 v22, v22, v25
	v_add_u32_e32 v21, v22, v21
	v_cmp_lt_u32_e32 vcc, 31, v20
	v_mov_b32_dpp v22, v19 row_bcast:31 row_mask:0xf bank_mask:0xf
	v_mov_b32_dpp v24, v21 row_bcast:31 row_mask:0xf bank_mask:0xf
	v_cndmask_b32_e32 v20, 0, v22, vcc
	v_add_u32_e32 v19, v20, v19
	v_cndmask_b32_e32 v20, 0, v24, vcc
	v_lshlrev_b32_e32 v23, 2, v23
	v_add_u32_e32 v20, v20, v21
	ds_bpermute_b32 v19, v23, v19
	ds_bpermute_b32 v20, v23, v20
	v_cmp_eq_u32_e32 vcc, 0, v0
	s_waitcnt lgkmcnt(1)
	v_add_u32_e32 v8, v19, v8
	s_waitcnt lgkmcnt(0)
	v_add_u32_e32 v9, v20, v9
	v_cndmask_b32_e32 v0, v8, v4, vcc
	v_cndmask_b32_e32 v4, v9, v5, vcc
	ds_write2_b32 v18, v0, v4 offset1:1
	v_add_u32_e32 v0, v0, v6
	v_add_u32_e32 v4, v4, v10
	;; [unrolled: 1-line block ×3, first 2 shown]
	ds_write2_b32 v18, v4, v5 offset0:3 offset1:4
	v_add_u32_e32 v4, v4, v12
	v_add_u32_e32 v5, v5, v13
	ds_write2_b32 v18, v4, v5 offset0:5 offset1:6
	v_add_u32_e32 v4, v4, v14
	v_add_u32_e32 v5, v5, v15
	ds_write2_b32 v18, v4, v5 offset0:7 offset1:8
	v_add_u32_e32 v4, v4, v16
	v_add_u32_e32 v5, v5, v17
	v_add_u32_e32 v6, v4, v7
	ds_write2_b32 v18, v4, v5 offset0:9 offset1:10
	ds_write2_b32 v18, v0, v6 offset0:2 offset1:11
.LBB145_2:
	s_or_b64 exec, exec, s[0:1]
	s_waitcnt lgkmcnt(0)
	s_barrier
	ds_read2_b32 v[0:1], v1 offset1:1
	s_waitcnt lgkmcnt(0)
	global_store_dwordx2 v[2:3], v[0:1], off
	s_endpgm
	.section	.rodata,"a",@progbits
	.p2align	6, 0x0
	.amdhsa_kernel _Z21inclusive_scan_kernelILj377ELN6hipcub18BlockScanAlgorithmE1EN10test_utils16custom_test_typeIiEEEvPT1_
		.amdhsa_group_segment_fixed_size 3072
		.amdhsa_private_segment_fixed_size 0
		.amdhsa_kernarg_size 8
		.amdhsa_user_sgpr_count 6
		.amdhsa_user_sgpr_private_segment_buffer 1
		.amdhsa_user_sgpr_dispatch_ptr 0
		.amdhsa_user_sgpr_queue_ptr 0
		.amdhsa_user_sgpr_kernarg_segment_ptr 1
		.amdhsa_user_sgpr_dispatch_id 0
		.amdhsa_user_sgpr_flat_scratch_init 0
		.amdhsa_user_sgpr_kernarg_preload_length 0
		.amdhsa_user_sgpr_kernarg_preload_offset 0
		.amdhsa_user_sgpr_private_segment_size 0
		.amdhsa_uses_dynamic_stack 0
		.amdhsa_system_sgpr_private_segment_wavefront_offset 0
		.amdhsa_system_sgpr_workgroup_id_x 1
		.amdhsa_system_sgpr_workgroup_id_y 0
		.amdhsa_system_sgpr_workgroup_id_z 0
		.amdhsa_system_sgpr_workgroup_info 0
		.amdhsa_system_vgpr_workitem_id 0
		.amdhsa_next_free_vgpr 27
		.amdhsa_next_free_sgpr 7
		.amdhsa_accum_offset 28
		.amdhsa_reserve_vcc 1
		.amdhsa_reserve_flat_scratch 0
		.amdhsa_float_round_mode_32 0
		.amdhsa_float_round_mode_16_64 0
		.amdhsa_float_denorm_mode_32 3
		.amdhsa_float_denorm_mode_16_64 3
		.amdhsa_dx10_clamp 1
		.amdhsa_ieee_mode 1
		.amdhsa_fp16_overflow 0
		.amdhsa_tg_split 0
		.amdhsa_exception_fp_ieee_invalid_op 0
		.amdhsa_exception_fp_denorm_src 0
		.amdhsa_exception_fp_ieee_div_zero 0
		.amdhsa_exception_fp_ieee_overflow 0
		.amdhsa_exception_fp_ieee_underflow 0
		.amdhsa_exception_fp_ieee_inexact 0
		.amdhsa_exception_int_div_zero 0
	.end_amdhsa_kernel
	.section	.text._Z21inclusive_scan_kernelILj377ELN6hipcub18BlockScanAlgorithmE1EN10test_utils16custom_test_typeIiEEEvPT1_,"axG",@progbits,_Z21inclusive_scan_kernelILj377ELN6hipcub18BlockScanAlgorithmE1EN10test_utils16custom_test_typeIiEEEvPT1_,comdat
.Lfunc_end145:
	.size	_Z21inclusive_scan_kernelILj377ELN6hipcub18BlockScanAlgorithmE1EN10test_utils16custom_test_typeIiEEEvPT1_, .Lfunc_end145-_Z21inclusive_scan_kernelILj377ELN6hipcub18BlockScanAlgorithmE1EN10test_utils16custom_test_typeIiEEEvPT1_
                                        ; -- End function
	.section	.AMDGPU.csdata,"",@progbits
; Kernel info:
; codeLenInByte = 640
; NumSgprs: 11
; NumVgprs: 27
; NumAgprs: 0
; TotalNumVgprs: 27
; ScratchSize: 0
; MemoryBound: 0
; FloatMode: 240
; IeeeMode: 1
; LDSByteSize: 3072 bytes/workgroup (compile time only)
; SGPRBlocks: 1
; VGPRBlocks: 3
; NumSGPRsForWavesPerEU: 11
; NumVGPRsForWavesPerEU: 27
; AccumOffset: 28
; Occupancy: 8
; WaveLimiterHint : 0
; COMPUTE_PGM_RSRC2:SCRATCH_EN: 0
; COMPUTE_PGM_RSRC2:USER_SGPR: 6
; COMPUTE_PGM_RSRC2:TRAP_HANDLER: 0
; COMPUTE_PGM_RSRC2:TGID_X_EN: 1
; COMPUTE_PGM_RSRC2:TGID_Y_EN: 0
; COMPUTE_PGM_RSRC2:TGID_Z_EN: 0
; COMPUTE_PGM_RSRC2:TIDIG_COMP_CNT: 0
; COMPUTE_PGM_RSRC3_GFX90A:ACCUM_OFFSET: 6
; COMPUTE_PGM_RSRC3_GFX90A:TG_SPLIT: 0
	.section	.text._Z21inclusive_scan_kernelILj255ELN6hipcub18BlockScanAlgorithmE1EN10test_utils16custom_test_typeIjEEEvPT1_,"axG",@progbits,_Z21inclusive_scan_kernelILj255ELN6hipcub18BlockScanAlgorithmE1EN10test_utils16custom_test_typeIjEEEvPT1_,comdat
	.protected	_Z21inclusive_scan_kernelILj255ELN6hipcub18BlockScanAlgorithmE1EN10test_utils16custom_test_typeIjEEEvPT1_ ; -- Begin function _Z21inclusive_scan_kernelILj255ELN6hipcub18BlockScanAlgorithmE1EN10test_utils16custom_test_typeIjEEEvPT1_
	.globl	_Z21inclusive_scan_kernelILj255ELN6hipcub18BlockScanAlgorithmE1EN10test_utils16custom_test_typeIjEEEvPT1_
	.p2align	8
	.type	_Z21inclusive_scan_kernelILj255ELN6hipcub18BlockScanAlgorithmE1EN10test_utils16custom_test_typeIjEEEvPT1_,@function
_Z21inclusive_scan_kernelILj255ELN6hipcub18BlockScanAlgorithmE1EN10test_utils16custom_test_typeIjEEEvPT1_: ; @_Z21inclusive_scan_kernelILj255ELN6hipcub18BlockScanAlgorithmE1EN10test_utils16custom_test_typeIjEEEvPT1_
; %bb.0:
	s_load_dwordx2 s[0:1], s[4:5], 0x0
	s_mulk_i32 s6, 0xff
	v_add_u32_e32 v2, s6, v0
	v_mov_b32_e32 v3, 0
	v_lshlrev_b64 v[2:3], 3, v[2:3]
	s_waitcnt lgkmcnt(0)
	v_mov_b32_e32 v1, s1
	v_add_co_u32_e32 v2, vcc, s0, v2
	v_addc_co_u32_e32 v3, vcc, v1, v3, vcc
	global_load_dwordx2 v[4:5], v[2:3], off
	v_lshrrev_b32_e32 v1, 5, v0
	v_add_lshl_u32 v1, v1, v0, 3
	v_cmp_gt_u32_e32 vcc, 64, v0
	s_waitcnt vmcnt(0)
	ds_write2_b32 v1, v4, v5 offset1:1
	s_waitcnt lgkmcnt(0)
	s_barrier
	s_and_saveexec_b64 s[0:1], vcc
	s_cbranch_execz .LBB146_2
; %bb.1:
	v_lshlrev_b32_e32 v6, 2, v0
	v_lshrrev_b32_e32 v7, 3, v0
	v_add_lshl_u32 v14, v7, v6, 3
	ds_read2_b32 v[6:7], v14 offset1:1
	ds_read2_b32 v[8:9], v14 offset0:2 offset1:3
	ds_read2_b32 v[10:11], v14 offset0:4 offset1:5
	;; [unrolled: 1-line block ×3, first 2 shown]
	v_mbcnt_lo_u32_b32 v17, -1, 0
	v_mbcnt_hi_u32_b32 v17, -1, v17
	s_waitcnt lgkmcnt(2)
	v_add_u32_e32 v15, v8, v6
	v_add_u32_e32 v16, v9, v7
	s_waitcnt lgkmcnt(0)
	v_add3_u32 v15, v15, v10, v12
	v_and_b32_e32 v18, 15, v17
	v_add3_u32 v16, v16, v11, v13
	v_mov_b32_dpp v19, v15 row_shr:1 row_mask:0xf bank_mask:0xf
	v_cmp_eq_u32_e32 vcc, 0, v18
	v_mov_b32_dpp v20, v16 row_shr:1 row_mask:0xf bank_mask:0xf
	v_cndmask_b32_e64 v19, v19, 0, vcc
	v_add_u32_e32 v15, v19, v15
	v_cndmask_b32_e64 v19, v20, 0, vcc
	v_add_u32_e32 v16, v19, v16
	v_cmp_lt_u32_e32 vcc, 1, v18
	v_mov_b32_dpp v19, v15 row_shr:2 row_mask:0xf bank_mask:0xf
	v_mov_b32_dpp v20, v16 row_shr:2 row_mask:0xf bank_mask:0xf
	v_cndmask_b32_e32 v20, 0, v20, vcc
	v_add_u32_e32 v16, v20, v16
	v_cndmask_b32_e32 v19, 0, v19, vcc
	v_add_u32_e32 v15, v15, v19
	v_mov_b32_dpp v20, v16 row_shr:4 row_mask:0xf bank_mask:0xf
	v_cmp_lt_u32_e32 vcc, 3, v18
	v_mov_b32_dpp v19, v15 row_shr:4 row_mask:0xf bank_mask:0xf
	v_cndmask_b32_e32 v20, 0, v20, vcc
	v_add_u32_e32 v16, v20, v16
	v_cndmask_b32_e32 v19, 0, v19, vcc
	v_add_u32_e32 v15, v19, v15
	v_mov_b32_dpp v20, v16 row_shr:8 row_mask:0xf bank_mask:0xf
	v_cmp_lt_u32_e32 vcc, 7, v18
	v_mov_b32_dpp v19, v15 row_shr:8 row_mask:0xf bank_mask:0xf
	v_cndmask_b32_e32 v18, 0, v20, vcc
	v_add_u32_e32 v16, v18, v16
	v_cndmask_b32_e32 v18, 0, v19, vcc
	v_add_u32_e32 v15, v18, v15
	v_bfe_i32 v20, v17, 4, 1
	v_mov_b32_dpp v19, v16 row_bcast:15 row_mask:0xf bank_mask:0xf
	v_mov_b32_dpp v18, v15 row_bcast:15 row_mask:0xf bank_mask:0xf
	v_and_b32_e32 v18, v20, v18
	v_add_u32_e32 v15, v18, v15
	v_and_b32_e32 v18, v20, v19
	v_add_u32_e32 v16, v18, v16
	v_cmp_lt_u32_e32 vcc, 31, v17
	v_mov_b32_dpp v18, v15 row_bcast:31 row_mask:0xf bank_mask:0xf
	v_mov_b32_dpp v19, v16 row_bcast:31 row_mask:0xf bank_mask:0xf
	v_cndmask_b32_e32 v18, 0, v18, vcc
	v_add_u32_e32 v15, v18, v15
	v_cndmask_b32_e32 v18, 0, v19, vcc
	v_add_u32_e32 v16, v18, v16
	v_add_u32_e32 v18, -1, v17
	v_and_b32_e32 v19, 64, v17
	v_cmp_lt_i32_e32 vcc, v18, v19
	v_cndmask_b32_e32 v17, v18, v17, vcc
	v_lshlrev_b32_e32 v17, 2, v17
	ds_bpermute_b32 v15, v17, v15
	ds_bpermute_b32 v16, v17, v16
	v_cmp_eq_u32_e32 vcc, 0, v0
	s_waitcnt lgkmcnt(1)
	v_add_u32_e32 v6, v15, v6
	s_waitcnt lgkmcnt(0)
	v_add_u32_e32 v7, v16, v7
	v_cndmask_b32_e32 v0, v6, v4, vcc
	v_cndmask_b32_e32 v4, v7, v5, vcc
	ds_write2_b32 v14, v0, v4 offset1:1
	v_add_u32_e32 v0, v0, v8
	v_add_u32_e32 v4, v4, v9
	ds_write2_b32 v14, v0, v4 offset0:2 offset1:3
	v_add_u32_e32 v0, v0, v10
	v_add_u32_e32 v4, v4, v11
	ds_write2_b32 v14, v0, v4 offset0:4 offset1:5
	;; [unrolled: 3-line block ×3, first 2 shown]
.LBB146_2:
	s_or_b64 exec, exec, s[0:1]
	s_waitcnt lgkmcnt(0)
	s_barrier
	ds_read2_b32 v[0:1], v1 offset1:1
	s_waitcnt lgkmcnt(0)
	global_store_dwordx2 v[2:3], v[0:1], off
	s_endpgm
	.section	.rodata,"a",@progbits
	.p2align	6, 0x0
	.amdhsa_kernel _Z21inclusive_scan_kernelILj255ELN6hipcub18BlockScanAlgorithmE1EN10test_utils16custom_test_typeIjEEEvPT1_
		.amdhsa_group_segment_fixed_size 2112
		.amdhsa_private_segment_fixed_size 0
		.amdhsa_kernarg_size 8
		.amdhsa_user_sgpr_count 6
		.amdhsa_user_sgpr_private_segment_buffer 1
		.amdhsa_user_sgpr_dispatch_ptr 0
		.amdhsa_user_sgpr_queue_ptr 0
		.amdhsa_user_sgpr_kernarg_segment_ptr 1
		.amdhsa_user_sgpr_dispatch_id 0
		.amdhsa_user_sgpr_flat_scratch_init 0
		.amdhsa_user_sgpr_kernarg_preload_length 0
		.amdhsa_user_sgpr_kernarg_preload_offset 0
		.amdhsa_user_sgpr_private_segment_size 0
		.amdhsa_uses_dynamic_stack 0
		.amdhsa_system_sgpr_private_segment_wavefront_offset 0
		.amdhsa_system_sgpr_workgroup_id_x 1
		.amdhsa_system_sgpr_workgroup_id_y 0
		.amdhsa_system_sgpr_workgroup_id_z 0
		.amdhsa_system_sgpr_workgroup_info 0
		.amdhsa_system_vgpr_workitem_id 0
		.amdhsa_next_free_vgpr 21
		.amdhsa_next_free_sgpr 7
		.amdhsa_accum_offset 24
		.amdhsa_reserve_vcc 1
		.amdhsa_reserve_flat_scratch 0
		.amdhsa_float_round_mode_32 0
		.amdhsa_float_round_mode_16_64 0
		.amdhsa_float_denorm_mode_32 3
		.amdhsa_float_denorm_mode_16_64 3
		.amdhsa_dx10_clamp 1
		.amdhsa_ieee_mode 1
		.amdhsa_fp16_overflow 0
		.amdhsa_tg_split 0
		.amdhsa_exception_fp_ieee_invalid_op 0
		.amdhsa_exception_fp_denorm_src 0
		.amdhsa_exception_fp_ieee_div_zero 0
		.amdhsa_exception_fp_ieee_overflow 0
		.amdhsa_exception_fp_ieee_underflow 0
		.amdhsa_exception_fp_ieee_inexact 0
		.amdhsa_exception_int_div_zero 0
	.end_amdhsa_kernel
	.section	.text._Z21inclusive_scan_kernelILj255ELN6hipcub18BlockScanAlgorithmE1EN10test_utils16custom_test_typeIjEEEvPT1_,"axG",@progbits,_Z21inclusive_scan_kernelILj255ELN6hipcub18BlockScanAlgorithmE1EN10test_utils16custom_test_typeIjEEEvPT1_,comdat
.Lfunc_end146:
	.size	_Z21inclusive_scan_kernelILj255ELN6hipcub18BlockScanAlgorithmE1EN10test_utils16custom_test_typeIjEEEvPT1_, .Lfunc_end146-_Z21inclusive_scan_kernelILj255ELN6hipcub18BlockScanAlgorithmE1EN10test_utils16custom_test_typeIjEEEvPT1_
                                        ; -- End function
	.section	.AMDGPU.csdata,"",@progbits
; Kernel info:
; codeLenInByte = 580
; NumSgprs: 11
; NumVgprs: 21
; NumAgprs: 0
; TotalNumVgprs: 21
; ScratchSize: 0
; MemoryBound: 0
; FloatMode: 240
; IeeeMode: 1
; LDSByteSize: 2112 bytes/workgroup (compile time only)
; SGPRBlocks: 1
; VGPRBlocks: 2
; NumSGPRsForWavesPerEU: 11
; NumVGPRsForWavesPerEU: 21
; AccumOffset: 24
; Occupancy: 8
; WaveLimiterHint : 0
; COMPUTE_PGM_RSRC2:SCRATCH_EN: 0
; COMPUTE_PGM_RSRC2:USER_SGPR: 6
; COMPUTE_PGM_RSRC2:TRAP_HANDLER: 0
; COMPUTE_PGM_RSRC2:TGID_X_EN: 1
; COMPUTE_PGM_RSRC2:TGID_Y_EN: 0
; COMPUTE_PGM_RSRC2:TGID_Z_EN: 0
; COMPUTE_PGM_RSRC2:TIDIG_COMP_CNT: 0
; COMPUTE_PGM_RSRC3_GFX90A:ACCUM_OFFSET: 5
; COMPUTE_PGM_RSRC3_GFX90A:TG_SPLIT: 0
	.section	.text._Z21inclusive_scan_kernelILj162ELN6hipcub18BlockScanAlgorithmE1EN10test_utils16custom_test_typeIsEEEvPT1_,"axG",@progbits,_Z21inclusive_scan_kernelILj162ELN6hipcub18BlockScanAlgorithmE1EN10test_utils16custom_test_typeIsEEEvPT1_,comdat
	.protected	_Z21inclusive_scan_kernelILj162ELN6hipcub18BlockScanAlgorithmE1EN10test_utils16custom_test_typeIsEEEvPT1_ ; -- Begin function _Z21inclusive_scan_kernelILj162ELN6hipcub18BlockScanAlgorithmE1EN10test_utils16custom_test_typeIsEEEvPT1_
	.globl	_Z21inclusive_scan_kernelILj162ELN6hipcub18BlockScanAlgorithmE1EN10test_utils16custom_test_typeIsEEEvPT1_
	.p2align	8
	.type	_Z21inclusive_scan_kernelILj162ELN6hipcub18BlockScanAlgorithmE1EN10test_utils16custom_test_typeIsEEEvPT1_,@function
_Z21inclusive_scan_kernelILj162ELN6hipcub18BlockScanAlgorithmE1EN10test_utils16custom_test_typeIsEEEvPT1_: ; @_Z21inclusive_scan_kernelILj162ELN6hipcub18BlockScanAlgorithmE1EN10test_utils16custom_test_typeIsEEEvPT1_
; %bb.0:
	s_load_dwordx2 s[0:1], s[4:5], 0x0
	s_mulk_i32 s6, 0xa2
	v_add_u32_e32 v2, s6, v0
	v_mov_b32_e32 v3, 0
	v_lshlrev_b64 v[2:3], 2, v[2:3]
	s_waitcnt lgkmcnt(0)
	v_mov_b32_e32 v1, s1
	v_add_co_u32_e32 v2, vcc, s0, v2
	v_addc_co_u32_e32 v3, vcc, v1, v3, vcc
	global_load_dword v6, v[2:3], off
	v_lshlrev_b32_e32 v1, 2, v0
	v_cmp_gt_u32_e32 vcc, 64, v0
	s_waitcnt vmcnt(0)
	ds_write_b32 v1, v6
	s_waitcnt lgkmcnt(0)
	s_barrier
	s_and_saveexec_b64 s[0:1], vcc
	s_cbranch_execz .LBB147_14
; %bb.1:
	v_mul_u32_u24_e32 v4, 3, v0
	v_lshlrev_b32_e32 v7, 2, v4
	ds_read_b32 v8, v7
	ds_read_b64 v[4:5], v7 offset:4
	v_mbcnt_lo_u32_b32 v9, -1, 0
	v_mbcnt_hi_u32_b32 v9, -1, v9
	v_and_b32_e32 v12, 15, v9
	v_cmp_eq_u32_e32 vcc, 0, v12
	s_waitcnt lgkmcnt(0)
	v_add_u16_sdwa v11, v4, v8 dst_sel:DWORD dst_unused:UNUSED_PAD src0_sel:WORD_1 src1_sel:WORD_1
	v_add_u16_e32 v10, v4, v8
	v_add_u16_sdwa v11, v11, v5 dst_sel:DWORD dst_unused:UNUSED_PAD src0_sel:DWORD src1_sel:WORD_1
	v_add_u16_e32 v10, v10, v5
	v_lshlrev_b32_e32 v13, 16, v11
	v_or_b32_e32 v15, v13, v10
	s_nop 1
	v_mov_b32_dpp v13, v15 row_shr:1 row_mask:0xf bank_mask:0xf
	v_add_u16_e32 v14, v10, v13
	v_add_u16_sdwa v13, v11, v13 dst_sel:DWORD dst_unused:UNUSED_PAD src0_sel:DWORD src1_sel:WORD_1
	v_lshlrev_b32_e32 v16, 16, v13
	v_or_b32_e32 v16, v16, v14
	v_cndmask_b32_e32 v13, v13, v11, vcc
	v_cndmask_b32_e32 v11, v14, v10, vcc
	;; [unrolled: 1-line block ×3, first 2 shown]
	v_cmp_lt_u32_e32 vcc, 1, v12
	v_alignbit_b32 v11, v11, v10, 16
	v_mov_b32_dpp v15, v10 row_shr:2 row_mask:0xf bank_mask:0xf
	s_and_saveexec_b64 s[2:3], vcc
; %bb.2:
	s_mov_b32 s4, 0x5040100
	v_perm_b32 v10, v14, v11, s4
	v_pk_add_u16 v13, v10, v15 op_sel:[0,1] op_sel_hi:[1,0]
	s_mov_b32 s4, 0x5040706
	v_perm_b32 v10, v13, v13, s4
	v_mov_b32_e32 v11, v13
; %bb.3:
	s_or_b64 exec, exec, s[2:3]
	v_mov_b32_dpp v14, v10 row_shr:4 row_mask:0xf bank_mask:0xf
	v_cmp_gt_u32_e32 vcc, 4, v12
	s_and_saveexec_b64 s[2:3], vcc
	s_xor_b64 s[2:3], exec, s[2:3]
; %bb.4:
                                        ; implicit-def: $vgpr14
; %bb.5:
	s_andn2_saveexec_b64 s[2:3], s[2:3]
; %bb.6:
	v_pk_add_u16 v11, v11, v14 op_sel:[0,1] op_sel_hi:[1,0]
	s_mov_b32 s4, 0x5040706
	v_perm_b32 v10, v11, v11, s4
	v_mov_b32_e32 v13, v11
; %bb.7:
	s_or_b64 exec, exec, s[2:3]
	s_mov_b32 s2, 0xffff
	v_mov_b32_dpp v14, v10 row_shr:8 row_mask:0xf bank_mask:0xf
	v_cmp_lt_u32_e32 vcc, 7, v12
	v_bfi_b32 v12, s2, v13, v11
	s_and_saveexec_b64 s[2:3], vcc
; %bb.8:
	v_pk_add_u16 v11, v11, v14 op_sel:[0,1] op_sel_hi:[1,0]
	s_mov_b32 s4, 0x5040706
	v_perm_b32 v10, v11, v11, s4
	v_mov_b32_e32 v12, v11
; %bb.9:
	s_or_b64 exec, exec, s[2:3]
	v_and_b32_e32 v13, 16, v9
	v_mov_b32_dpp v14, v10 row_bcast:15 row_mask:0xf bank_mask:0xf
	v_cmp_ne_u32_e32 vcc, 0, v13
                                        ; implicit-def: $vgpr13
	s_and_saveexec_b64 s[2:3], vcc
	s_xor_b64 s[2:3], exec, s[2:3]
; %bb.10:
	s_mov_b32 s4, 0xffff
	v_bfi_b32 v10, s4, v11, v12
	v_pk_add_u16 v12, v10, v14 op_sel:[0,1] op_sel_hi:[1,0]
	s_mov_b32 s4, 0x5040706
	v_lshrrev_b32_e32 v13, 16, v12
	v_perm_b32 v10, v12, v12, s4
                                        ; implicit-def: $vgpr11
; %bb.11:
	s_or_saveexec_b64 s[2:3], s[2:3]
	v_alignbit_b32 v14, v5, v4, 16
	v_mov_b32_e32 v15, v12
	s_xor_b64 exec, exec, s[2:3]
; %bb.12:
	v_lshrrev_b32_e32 v13, 16, v12
	v_mov_b32_e32 v15, v11
; %bb.13:
	s_or_b64 exec, exec, s[2:3]
	v_mov_b32_dpp v10, v10 row_bcast:31 row_mask:0xf bank_mask:0xf
	v_add_u16_sdwa v11, v15, v10 dst_sel:DWORD dst_unused:UNUSED_PAD src0_sel:DWORD src1_sel:WORD_1
	v_cmp_lt_u32_e32 vcc, 31, v9
	v_cndmask_b32_e32 v10, 0, v10, vcc
	v_cndmask_b32_e32 v11, v12, v11, vcc
	v_lshlrev_b32_e32 v11, 16, v11
	v_add_u16_e32 v10, v10, v13
	v_or_b32_e32 v10, v11, v10
	v_add_u32_e32 v11, -1, v9
	v_and_b32_e32 v12, 64, v9
	v_cmp_lt_i32_e32 vcc, v11, v12
	v_cndmask_b32_e32 v9, v11, v9, vcc
	v_lshlrev_b32_e32 v9, 2, v9
	ds_bpermute_b32 v9, v9, v10
	v_cmp_eq_u32_e32 vcc, 0, v0
	v_lshrrev_b32_e32 v10, 16, v6
	s_mov_b32 s2, 0x5040100
	s_waitcnt lgkmcnt(0)
	v_pk_add_u16 v8, v9, v8
	v_lshrrev_b32_e32 v9, 16, v8
	v_cndmask_b32_e32 v8, v8, v6, vcc
	v_cndmask_b32_e32 v0, v9, v10, vcc
	v_add_u16_e32 v9, v8, v4
	v_perm_b32 v4, v9, v0, s2
	v_pk_add_u16 v10, v4, v14
	v_add_u16_sdwa v4, v10, v5 dst_sel:DWORD dst_unused:UNUSED_PAD src0_sel:DWORD src1_sel:WORD_1
	v_alignbit_b32 v6, v4, v10, 16
	v_perm_b32 v4, v0, v8, s2
	v_perm_b32 v5, v10, v9, s2
	ds_write_b96 v7, v[4:6]
.LBB147_14:
	s_or_b64 exec, exec, s[0:1]
	s_waitcnt lgkmcnt(0)
	s_barrier
	ds_read_b32 v0, v1
	s_waitcnt lgkmcnt(0)
	global_store_dword v[2:3], v0, off
	s_endpgm
	.section	.rodata,"a",@progbits
	.p2align	6, 0x0
	.amdhsa_kernel _Z21inclusive_scan_kernelILj162ELN6hipcub18BlockScanAlgorithmE1EN10test_utils16custom_test_typeIsEEEvPT1_
		.amdhsa_group_segment_fixed_size 768
		.amdhsa_private_segment_fixed_size 0
		.amdhsa_kernarg_size 8
		.amdhsa_user_sgpr_count 6
		.amdhsa_user_sgpr_private_segment_buffer 1
		.amdhsa_user_sgpr_dispatch_ptr 0
		.amdhsa_user_sgpr_queue_ptr 0
		.amdhsa_user_sgpr_kernarg_segment_ptr 1
		.amdhsa_user_sgpr_dispatch_id 0
		.amdhsa_user_sgpr_flat_scratch_init 0
		.amdhsa_user_sgpr_kernarg_preload_length 0
		.amdhsa_user_sgpr_kernarg_preload_offset 0
		.amdhsa_user_sgpr_private_segment_size 0
		.amdhsa_uses_dynamic_stack 0
		.amdhsa_system_sgpr_private_segment_wavefront_offset 0
		.amdhsa_system_sgpr_workgroup_id_x 1
		.amdhsa_system_sgpr_workgroup_id_y 0
		.amdhsa_system_sgpr_workgroup_id_z 0
		.amdhsa_system_sgpr_workgroup_info 0
		.amdhsa_system_vgpr_workitem_id 0
		.amdhsa_next_free_vgpr 17
		.amdhsa_next_free_sgpr 7
		.amdhsa_accum_offset 20
		.amdhsa_reserve_vcc 1
		.amdhsa_reserve_flat_scratch 0
		.amdhsa_float_round_mode_32 0
		.amdhsa_float_round_mode_16_64 0
		.amdhsa_float_denorm_mode_32 3
		.amdhsa_float_denorm_mode_16_64 3
		.amdhsa_dx10_clamp 1
		.amdhsa_ieee_mode 1
		.amdhsa_fp16_overflow 0
		.amdhsa_tg_split 0
		.amdhsa_exception_fp_ieee_invalid_op 0
		.amdhsa_exception_fp_denorm_src 0
		.amdhsa_exception_fp_ieee_div_zero 0
		.amdhsa_exception_fp_ieee_overflow 0
		.amdhsa_exception_fp_ieee_underflow 0
		.amdhsa_exception_fp_ieee_inexact 0
		.amdhsa_exception_int_div_zero 0
	.end_amdhsa_kernel
	.section	.text._Z21inclusive_scan_kernelILj162ELN6hipcub18BlockScanAlgorithmE1EN10test_utils16custom_test_typeIsEEEvPT1_,"axG",@progbits,_Z21inclusive_scan_kernelILj162ELN6hipcub18BlockScanAlgorithmE1EN10test_utils16custom_test_typeIsEEEvPT1_,comdat
.Lfunc_end147:
	.size	_Z21inclusive_scan_kernelILj162ELN6hipcub18BlockScanAlgorithmE1EN10test_utils16custom_test_typeIsEEEvPT1_, .Lfunc_end147-_Z21inclusive_scan_kernelILj162ELN6hipcub18BlockScanAlgorithmE1EN10test_utils16custom_test_typeIsEEEvPT1_
                                        ; -- End function
	.section	.AMDGPU.csdata,"",@progbits
; Kernel info:
; codeLenInByte = 712
; NumSgprs: 11
; NumVgprs: 17
; NumAgprs: 0
; TotalNumVgprs: 17
; ScratchSize: 0
; MemoryBound: 0
; FloatMode: 240
; IeeeMode: 1
; LDSByteSize: 768 bytes/workgroup (compile time only)
; SGPRBlocks: 1
; VGPRBlocks: 2
; NumSGPRsForWavesPerEU: 11
; NumVGPRsForWavesPerEU: 17
; AccumOffset: 20
; Occupancy: 8
; WaveLimiterHint : 0
; COMPUTE_PGM_RSRC2:SCRATCH_EN: 0
; COMPUTE_PGM_RSRC2:USER_SGPR: 6
; COMPUTE_PGM_RSRC2:TRAP_HANDLER: 0
; COMPUTE_PGM_RSRC2:TGID_X_EN: 1
; COMPUTE_PGM_RSRC2:TGID_Y_EN: 0
; COMPUTE_PGM_RSRC2:TGID_Z_EN: 0
; COMPUTE_PGM_RSRC2:TIDIG_COMP_CNT: 0
; COMPUTE_PGM_RSRC3_GFX90A:ACCUM_OFFSET: 4
; COMPUTE_PGM_RSRC3_GFX90A:TG_SPLIT: 0
	.section	.text._Z21inclusive_scan_kernelILj37ELN6hipcub18BlockScanAlgorithmE1EN10test_utils16custom_test_typeIlEEEvPT1_,"axG",@progbits,_Z21inclusive_scan_kernelILj37ELN6hipcub18BlockScanAlgorithmE1EN10test_utils16custom_test_typeIlEEEvPT1_,comdat
	.protected	_Z21inclusive_scan_kernelILj37ELN6hipcub18BlockScanAlgorithmE1EN10test_utils16custom_test_typeIlEEEvPT1_ ; -- Begin function _Z21inclusive_scan_kernelILj37ELN6hipcub18BlockScanAlgorithmE1EN10test_utils16custom_test_typeIlEEEvPT1_
	.globl	_Z21inclusive_scan_kernelILj37ELN6hipcub18BlockScanAlgorithmE1EN10test_utils16custom_test_typeIlEEEvPT1_
	.p2align	8
	.type	_Z21inclusive_scan_kernelILj37ELN6hipcub18BlockScanAlgorithmE1EN10test_utils16custom_test_typeIlEEEvPT1_,@function
_Z21inclusive_scan_kernelILj37ELN6hipcub18BlockScanAlgorithmE1EN10test_utils16custom_test_typeIlEEEvPT1_: ; @_Z21inclusive_scan_kernelILj37ELN6hipcub18BlockScanAlgorithmE1EN10test_utils16custom_test_typeIlEEEvPT1_
; %bb.0:
	s_load_dwordx2 s[0:1], s[4:5], 0x0
	v_mad_u64_u32 v[2:3], s[2:3], s6, 37, v[0:1]
	v_mov_b32_e32 v3, 0
	v_lshlrev_b64 v[2:3], 4, v[2:3]
	s_waitcnt lgkmcnt(0)
	v_mov_b32_e32 v1, s1
	v_add_co_u32_e32 v6, vcc, s0, v2
	v_addc_co_u32_e32 v7, vcc, v1, v3, vcc
	global_load_dwordx4 v[2:5], v[6:7], off
	v_mbcnt_lo_u32_b32 v1, -1, 0
	v_mbcnt_hi_u32_b32 v1, -1, v1
	v_and_b32_e32 v10, 15, v1
	v_cmp_ne_u32_e32 vcc, 0, v10
	s_waitcnt vmcnt(0)
	v_mov_b32_dpp v12, v2 row_shr:1 row_mask:0xf bank_mask:0xf
	v_mov_b32_dpp v11, v3 row_shr:1 row_mask:0xf bank_mask:0xf
	;; [unrolled: 1-line block ×4, first 2 shown]
	v_mov_b32_e32 v8, v4
	v_mov_b32_e32 v9, v2
	s_and_saveexec_b64 s[0:1], vcc
; %bb.1:
	v_add_co_u32_e32 v8, vcc, v4, v14
	v_addc_co_u32_e32 v5, vcc, 0, v5, vcc
	v_add_co_u32_e32 v4, vcc, 0, v8
	v_addc_co_u32_e32 v5, vcc, v13, v5, vcc
	v_add_co_u32_e32 v9, vcc, v2, v12
	v_addc_co_u32_e32 v3, vcc, 0, v3, vcc
	v_add_co_u32_e32 v2, vcc, 0, v9
	v_addc_co_u32_e32 v3, vcc, v11, v3, vcc
; %bb.2:
	s_or_b64 exec, exec, s[0:1]
	v_mov_b32_dpp v12, v9 row_shr:2 row_mask:0xf bank_mask:0xf
	v_mov_b32_dpp v11, v3 row_shr:2 row_mask:0xf bank_mask:0xf
	v_mov_b32_dpp v14, v8 row_shr:2 row_mask:0xf bank_mask:0xf
	v_mov_b32_dpp v13, v5 row_shr:2 row_mask:0xf bank_mask:0xf
	v_cmp_lt_u32_e32 vcc, 1, v10
	s_and_saveexec_b64 s[0:1], vcc
; %bb.3:
	v_add_co_u32_e32 v8, vcc, v4, v14
	v_addc_co_u32_e32 v5, vcc, 0, v5, vcc
	v_add_co_u32_e32 v4, vcc, 0, v8
	v_addc_co_u32_e32 v5, vcc, v13, v5, vcc
	v_add_co_u32_e32 v9, vcc, v2, v12
	v_addc_co_u32_e32 v3, vcc, 0, v3, vcc
	v_add_co_u32_e32 v2, vcc, 0, v9
	v_addc_co_u32_e32 v3, vcc, v11, v3, vcc
; %bb.4:
	s_or_b64 exec, exec, s[0:1]
	v_mov_b32_dpp v12, v9 row_shr:4 row_mask:0xf bank_mask:0xf
	v_mov_b32_dpp v11, v3 row_shr:4 row_mask:0xf bank_mask:0xf
	v_mov_b32_dpp v14, v8 row_shr:4 row_mask:0xf bank_mask:0xf
	v_mov_b32_dpp v13, v5 row_shr:4 row_mask:0xf bank_mask:0xf
	v_cmp_lt_u32_e32 vcc, 3, v10
	;; [unrolled: 17-line block ×3, first 2 shown]
	s_and_saveexec_b64 s[0:1], vcc
; %bb.7:
	v_add_co_u32_e32 v8, vcc, v4, v14
	v_addc_co_u32_e32 v5, vcc, 0, v5, vcc
	v_add_co_u32_e32 v4, vcc, 0, v8
	v_addc_co_u32_e32 v5, vcc, v13, v5, vcc
	;; [unrolled: 2-line block ×4, first 2 shown]
; %bb.8:
	s_or_b64 exec, exec, s[0:1]
	v_and_b32_e32 v14, 16, v1
	v_mov_b32_dpp v11, v9 row_bcast:15 row_mask:0xf bank_mask:0xf
	v_mov_b32_dpp v10, v3 row_bcast:15 row_mask:0xf bank_mask:0xf
	;; [unrolled: 1-line block ×4, first 2 shown]
	v_cmp_ne_u32_e32 vcc, 0, v14
	s_and_saveexec_b64 s[0:1], vcc
; %bb.9:
	v_add_co_u32_e32 v8, vcc, v4, v13
	v_addc_co_u32_e32 v5, vcc, 0, v5, vcc
	v_add_co_u32_e32 v4, vcc, 0, v8
	v_addc_co_u32_e32 v5, vcc, v12, v5, vcc
	;; [unrolled: 2-line block ×4, first 2 shown]
; %bb.10:
	s_or_b64 exec, exec, s[0:1]
	v_mov_b32_dpp v10, v9 row_bcast:31 row_mask:0xf bank_mask:0xf
	v_mov_b32_dpp v9, v3 row_bcast:31 row_mask:0xf bank_mask:0xf
	;; [unrolled: 1-line block ×4, first 2 shown]
	v_cmp_lt_u32_e32 vcc, 31, v1
	s_and_saveexec_b64 s[0:1], vcc
; %bb.11:
	v_add_co_u32_e32 v1, vcc, v4, v11
	v_addc_co_u32_e32 v5, vcc, 0, v5, vcc
	v_add_co_u32_e32 v4, vcc, 0, v1
	v_addc_co_u32_e32 v5, vcc, v5, v8, vcc
	;; [unrolled: 2-line block ×4, first 2 shown]
; %bb.12:
	s_or_b64 exec, exec, s[0:1]
	v_cmp_eq_u32_e32 vcc, 36, v0
	s_and_saveexec_b64 s[0:1], vcc
	s_cbranch_execz .LBB148_14
; %bb.13:
	v_mov_b32_e32 v0, 0
	ds_write_b128 v0, v[2:5]
.LBB148_14:
	s_or_b64 exec, exec, s[0:1]
	s_waitcnt lgkmcnt(0)
	; wave barrier
	s_waitcnt lgkmcnt(0)
	global_store_dwordx4 v[6:7], v[2:5], off
	s_endpgm
	.section	.rodata,"a",@progbits
	.p2align	6, 0x0
	.amdhsa_kernel _Z21inclusive_scan_kernelILj37ELN6hipcub18BlockScanAlgorithmE1EN10test_utils16custom_test_typeIlEEEvPT1_
		.amdhsa_group_segment_fixed_size 16
		.amdhsa_private_segment_fixed_size 0
		.amdhsa_kernarg_size 8
		.amdhsa_user_sgpr_count 6
		.amdhsa_user_sgpr_private_segment_buffer 1
		.amdhsa_user_sgpr_dispatch_ptr 0
		.amdhsa_user_sgpr_queue_ptr 0
		.amdhsa_user_sgpr_kernarg_segment_ptr 1
		.amdhsa_user_sgpr_dispatch_id 0
		.amdhsa_user_sgpr_flat_scratch_init 0
		.amdhsa_user_sgpr_kernarg_preload_length 0
		.amdhsa_user_sgpr_kernarg_preload_offset 0
		.amdhsa_user_sgpr_private_segment_size 0
		.amdhsa_uses_dynamic_stack 0
		.amdhsa_system_sgpr_private_segment_wavefront_offset 0
		.amdhsa_system_sgpr_workgroup_id_x 1
		.amdhsa_system_sgpr_workgroup_id_y 0
		.amdhsa_system_sgpr_workgroup_id_z 0
		.amdhsa_system_sgpr_workgroup_info 0
		.amdhsa_system_vgpr_workitem_id 0
		.amdhsa_next_free_vgpr 15
		.amdhsa_next_free_sgpr 7
		.amdhsa_accum_offset 16
		.amdhsa_reserve_vcc 1
		.amdhsa_reserve_flat_scratch 0
		.amdhsa_float_round_mode_32 0
		.amdhsa_float_round_mode_16_64 0
		.amdhsa_float_denorm_mode_32 3
		.amdhsa_float_denorm_mode_16_64 3
		.amdhsa_dx10_clamp 1
		.amdhsa_ieee_mode 1
		.amdhsa_fp16_overflow 0
		.amdhsa_tg_split 0
		.amdhsa_exception_fp_ieee_invalid_op 0
		.amdhsa_exception_fp_denorm_src 0
		.amdhsa_exception_fp_ieee_div_zero 0
		.amdhsa_exception_fp_ieee_overflow 0
		.amdhsa_exception_fp_ieee_underflow 0
		.amdhsa_exception_fp_ieee_inexact 0
		.amdhsa_exception_int_div_zero 0
	.end_amdhsa_kernel
	.section	.text._Z21inclusive_scan_kernelILj37ELN6hipcub18BlockScanAlgorithmE1EN10test_utils16custom_test_typeIlEEEvPT1_,"axG",@progbits,_Z21inclusive_scan_kernelILj37ELN6hipcub18BlockScanAlgorithmE1EN10test_utils16custom_test_typeIlEEEvPT1_,comdat
.Lfunc_end148:
	.size	_Z21inclusive_scan_kernelILj37ELN6hipcub18BlockScanAlgorithmE1EN10test_utils16custom_test_typeIlEEEvPT1_, .Lfunc_end148-_Z21inclusive_scan_kernelILj37ELN6hipcub18BlockScanAlgorithmE1EN10test_utils16custom_test_typeIlEEEvPT1_
                                        ; -- End function
	.section	.AMDGPU.csdata,"",@progbits
; Kernel info:
; codeLenInByte = 592
; NumSgprs: 11
; NumVgprs: 15
; NumAgprs: 0
; TotalNumVgprs: 15
; ScratchSize: 0
; MemoryBound: 0
; FloatMode: 240
; IeeeMode: 1
; LDSByteSize: 16 bytes/workgroup (compile time only)
; SGPRBlocks: 1
; VGPRBlocks: 1
; NumSGPRsForWavesPerEU: 11
; NumVGPRsForWavesPerEU: 15
; AccumOffset: 16
; Occupancy: 8
; WaveLimiterHint : 0
; COMPUTE_PGM_RSRC2:SCRATCH_EN: 0
; COMPUTE_PGM_RSRC2:USER_SGPR: 6
; COMPUTE_PGM_RSRC2:TRAP_HANDLER: 0
; COMPUTE_PGM_RSRC2:TGID_X_EN: 1
; COMPUTE_PGM_RSRC2:TGID_Y_EN: 0
; COMPUTE_PGM_RSRC2:TGID_Z_EN: 0
; COMPUTE_PGM_RSRC2:TIDIG_COMP_CNT: 0
; COMPUTE_PGM_RSRC3_GFX90A:ACCUM_OFFSET: 3
; COMPUTE_PGM_RSRC3_GFX90A:TG_SPLIT: 0
	.section	.text._Z21inclusive_scan_kernelILj65ELN6hipcub18BlockScanAlgorithmE1EN10test_utils16custom_test_typeImEEEvPT1_,"axG",@progbits,_Z21inclusive_scan_kernelILj65ELN6hipcub18BlockScanAlgorithmE1EN10test_utils16custom_test_typeImEEEvPT1_,comdat
	.protected	_Z21inclusive_scan_kernelILj65ELN6hipcub18BlockScanAlgorithmE1EN10test_utils16custom_test_typeImEEEvPT1_ ; -- Begin function _Z21inclusive_scan_kernelILj65ELN6hipcub18BlockScanAlgorithmE1EN10test_utils16custom_test_typeImEEEvPT1_
	.globl	_Z21inclusive_scan_kernelILj65ELN6hipcub18BlockScanAlgorithmE1EN10test_utils16custom_test_typeImEEEvPT1_
	.p2align	8
	.type	_Z21inclusive_scan_kernelILj65ELN6hipcub18BlockScanAlgorithmE1EN10test_utils16custom_test_typeImEEEvPT1_,@function
_Z21inclusive_scan_kernelILj65ELN6hipcub18BlockScanAlgorithmE1EN10test_utils16custom_test_typeImEEEvPT1_: ; @_Z21inclusive_scan_kernelILj65ELN6hipcub18BlockScanAlgorithmE1EN10test_utils16custom_test_typeImEEEvPT1_
; %bb.0:
	s_load_dwordx2 s[0:1], s[4:5], 0x0
	s_mulk_i32 s6, 0x41
	v_add_u32_e32 v2, s6, v0
	v_mov_b32_e32 v3, 0
	v_lshlrev_b64 v[2:3], 4, v[2:3]
	s_waitcnt lgkmcnt(0)
	v_mov_b32_e32 v1, s1
	v_add_co_u32_e32 v22, vcc, s0, v2
	v_addc_co_u32_e32 v23, vcc, v1, v3, vcc
	global_load_dwordx4 v[2:5], v[22:23], off
	v_lshrrev_b32_e32 v1, 5, v0
	v_add_lshl_u32 v1, v1, v0, 4
	v_cmp_gt_u32_e32 vcc, 64, v0
	s_waitcnt vmcnt(0)
	ds_write2_b64 v1, v[2:3], v[4:5] offset1:1
	s_waitcnt lgkmcnt(0)
	s_barrier
	s_and_saveexec_b64 s[0:1], vcc
	s_cbranch_execz .LBB149_16
; %bb.1:
	v_lshlrev_b32_e32 v6, 1, v0
	v_lshrrev_b32_e32 v7, 4, v0
	v_add_lshl_u32 v24, v7, v6, 4
	ds_read2_b64 v[10:13], v24 offset1:1
	ds_read2_b64 v[6:9], v24 offset0:2 offset1:3
	v_mbcnt_lo_u32_b32 v18, -1, 0
	v_mbcnt_hi_u32_b32 v25, -1, v18
	v_and_b32_e32 v26, 15, v25
	s_waitcnt lgkmcnt(0)
	v_add_co_u32_e32 v16, vcc, v8, v12
	v_addc_co_u32_e32 v17, vcc, v9, v13, vcc
	v_add_co_u32_e32 v14, vcc, v6, v10
	v_addc_co_u32_e32 v15, vcc, v7, v11, vcc
	v_pk_mov_b32 v[20:21], v[16:17], v[16:17] op_sel:[0,1]
	v_mov_b32_dpp v30, v14 row_shr:1 row_mask:0xf bank_mask:0xf
	v_mov_b32_dpp v27, v15 row_shr:1 row_mask:0xf bank_mask:0xf
	v_mov_b32_dpp v29, v16 row_shr:1 row_mask:0xf bank_mask:0xf
	v_mov_b32_dpp v28, v17 row_shr:1 row_mask:0xf bank_mask:0xf
	v_cmp_ne_u32_e32 vcc, 0, v26
	v_pk_mov_b32 v[18:19], v[14:15], v[14:15] op_sel:[0,1]
	s_and_saveexec_b64 s[2:3], vcc
; %bb.2:
	v_add_co_u32_e32 v14, vcc, v14, v30
	v_addc_co_u32_e32 v15, vcc, 0, v15, vcc
	v_add_co_u32_e32 v16, vcc, v16, v29
	v_addc_co_u32_e32 v17, vcc, 0, v17, vcc
	;; [unrolled: 2-line block ×4, first 2 shown]
	v_mov_b32_e32 v15, v19
	v_mov_b32_e32 v17, v21
; %bb.3:
	s_or_b64 exec, exec, s[2:3]
	v_mov_b32_dpp v30, v14 row_shr:2 row_mask:0xf bank_mask:0xf
	v_mov_b32_dpp v27, v15 row_shr:2 row_mask:0xf bank_mask:0xf
	;; [unrolled: 1-line block ×4, first 2 shown]
	v_cmp_lt_u32_e32 vcc, 1, v26
	s_and_saveexec_b64 s[2:3], vcc
; %bb.4:
	v_add_co_u32_e32 v14, vcc, v18, v30
	v_addc_co_u32_e32 v15, vcc, 0, v19, vcc
	v_add_co_u32_e32 v16, vcc, v20, v29
	v_addc_co_u32_e32 v17, vcc, 0, v21, vcc
	v_add_co_u32_e32 v20, vcc, 0, v16
	v_addc_co_u32_e32 v21, vcc, v28, v17, vcc
	v_add_co_u32_e32 v18, vcc, 0, v14
	v_addc_co_u32_e32 v19, vcc, v27, v15, vcc
	v_mov_b32_e32 v17, v21
	v_mov_b32_e32 v15, v19
; %bb.5:
	s_or_b64 exec, exec, s[2:3]
	v_mov_b32_dpp v30, v14 row_shr:4 row_mask:0xf bank_mask:0xf
	v_mov_b32_dpp v27, v15 row_shr:4 row_mask:0xf bank_mask:0xf
	;; [unrolled: 1-line block ×4, first 2 shown]
	v_cmp_lt_u32_e32 vcc, 3, v26
	s_and_saveexec_b64 s[2:3], vcc
; %bb.6:
	v_add_co_u32_e32 v14, vcc, v18, v30
	v_addc_co_u32_e32 v15, vcc, 0, v19, vcc
	v_add_co_u32_e32 v16, vcc, v20, v29
	v_addc_co_u32_e32 v17, vcc, 0, v21, vcc
	;; [unrolled: 2-line block ×4, first 2 shown]
	v_mov_b32_e32 v17, v21
	v_mov_b32_e32 v15, v19
; %bb.7:
	s_or_b64 exec, exec, s[2:3]
	v_mov_b32_dpp v29, v14 row_shr:8 row_mask:0xf bank_mask:0xf
	v_mov_b32_dpp v28, v15 row_shr:8 row_mask:0xf bank_mask:0xf
	;; [unrolled: 1-line block ×4, first 2 shown]
	v_cmp_gt_u32_e32 vcc, 8, v26
	s_and_saveexec_b64 s[2:3], vcc
	s_xor_b64 s[2:3], exec, s[2:3]
; %bb.8:
                                        ; implicit-def: $vgpr29
                                        ; implicit-def: $vgpr30
                                        ; implicit-def: $vgpr28
                                        ; implicit-def: $vgpr27
; %bb.9:
	s_andn2_saveexec_b64 s[2:3], s[2:3]
; %bb.10:
	v_add_co_u32_e32 v14, vcc, v18, v29
	v_addc_co_u32_e32 v15, vcc, 0, v19, vcc
	v_add_co_u32_e32 v16, vcc, v20, v30
	v_addc_co_u32_e32 v17, vcc, 0, v21, vcc
	;; [unrolled: 2-line block ×4, first 2 shown]
	v_mov_b32_e32 v17, v21
	v_mov_b32_e32 v15, v19
; %bb.11:
	s_or_b64 exec, exec, s[2:3]
	v_and_b32_e32 v30, 16, v25
	v_mov_b32_dpp v27, v14 row_bcast:15 row_mask:0xf bank_mask:0xf
	v_mov_b32_dpp v26, v15 row_bcast:15 row_mask:0xf bank_mask:0xf
	;; [unrolled: 1-line block ×4, first 2 shown]
	v_cmp_ne_u32_e32 vcc, 0, v30
	s_and_saveexec_b64 s[2:3], vcc
; %bb.12:
	v_add_co_u32_e32 v16, vcc, v20, v29
	v_addc_co_u32_e32 v14, vcc, 0, v21, vcc
	v_add_co_u32_e32 v20, vcc, 0, v16
	v_addc_co_u32_e32 v21, vcc, v28, v14, vcc
	v_add_co_u32_e32 v14, vcc, v18, v27
	v_addc_co_u32_e32 v15, vcc, 0, v19, vcc
	v_add_co_u32_e32 v18, vcc, 0, v14
	v_addc_co_u32_e32 v19, vcc, v26, v15, vcc
	v_mov_b32_e32 v15, v19
	v_mov_b32_e32 v17, v21
; %bb.13:
	s_or_b64 exec, exec, s[2:3]
	v_mov_b32_dpp v27, v14 row_bcast:31 row_mask:0xf bank_mask:0xf
	v_mov_b32_dpp v26, v15 row_bcast:31 row_mask:0xf bank_mask:0xf
	;; [unrolled: 1-line block ×4, first 2 shown]
	v_cmp_lt_u32_e32 vcc, 31, v25
	s_and_saveexec_b64 s[2:3], vcc
; %bb.14:
	v_add_co_u32_e32 v14, vcc, v20, v28
	v_addc_co_u32_e32 v15, vcc, 0, v21, vcc
	v_add_co_u32_e32 v20, vcc, 0, v14
	v_addc_co_u32_e32 v21, vcc, v15, v16, vcc
	;; [unrolled: 2-line block ×3, first 2 shown]
	v_add_u32_e32 v15, v26, v15
; %bb.15:
	s_or_b64 exec, exec, s[2:3]
	v_add_u32_e32 v16, -1, v25
	v_and_b32_e32 v17, 64, v25
	v_cmp_lt_i32_e32 vcc, v16, v17
	v_cndmask_b32_e32 v16, v16, v25, vcc
	v_lshlrev_b32_e32 v16, 2, v16
	ds_bpermute_b32 v14, v16, v14
	ds_bpermute_b32 v15, v16, v15
	ds_bpermute_b32 v17, v16, v20
	ds_bpermute_b32 v16, v16, v21
	s_waitcnt lgkmcnt(3)
	v_add_co_u32_e32 v10, vcc, v10, v14
	v_addc_co_u32_e32 v11, vcc, 0, v11, vcc
	v_add_co_u32_e32 v14, vcc, 0, v10
	s_waitcnt lgkmcnt(2)
	v_addc_co_u32_e32 v11, vcc, v15, v11, vcc
	s_waitcnt lgkmcnt(1)
	v_add_co_u32_e32 v12, vcc, v12, v17
	v_addc_co_u32_e32 v13, vcc, 0, v13, vcc
	v_add_co_u32_e32 v12, vcc, 0, v12
	s_waitcnt lgkmcnt(0)
	v_addc_co_u32_e32 v13, vcc, v13, v16, vcc
	v_cmp_eq_u32_e32 vcc, 0, v0
	v_cndmask_b32_e32 v5, v13, v5, vcc
	v_cndmask_b32_e32 v4, v12, v4, vcc
	;; [unrolled: 1-line block ×4, first 2 shown]
	ds_write2_b64 v24, v[2:3], v[4:5] offset1:1
	v_add_co_u32_e32 v2, vcc, v2, v6
	v_addc_co_u32_e32 v3, vcc, v3, v7, vcc
	v_add_co_u32_e32 v4, vcc, v4, v8
	v_addc_co_u32_e32 v5, vcc, v5, v9, vcc
	ds_write2_b64 v24, v[2:3], v[4:5] offset0:2 offset1:3
.LBB149_16:
	s_or_b64 exec, exec, s[0:1]
	s_waitcnt lgkmcnt(0)
	s_barrier
	ds_read2_b64 v[0:3], v1 offset1:1
	s_waitcnt lgkmcnt(0)
	global_store_dwordx4 v[22:23], v[0:3], off
	s_endpgm
	.section	.rodata,"a",@progbits
	.p2align	6, 0x0
	.amdhsa_kernel _Z21inclusive_scan_kernelILj65ELN6hipcub18BlockScanAlgorithmE1EN10test_utils16custom_test_typeImEEEvPT1_
		.amdhsa_group_segment_fixed_size 2112
		.amdhsa_private_segment_fixed_size 0
		.amdhsa_kernarg_size 8
		.amdhsa_user_sgpr_count 6
		.amdhsa_user_sgpr_private_segment_buffer 1
		.amdhsa_user_sgpr_dispatch_ptr 0
		.amdhsa_user_sgpr_queue_ptr 0
		.amdhsa_user_sgpr_kernarg_segment_ptr 1
		.amdhsa_user_sgpr_dispatch_id 0
		.amdhsa_user_sgpr_flat_scratch_init 0
		.amdhsa_user_sgpr_kernarg_preload_length 0
		.amdhsa_user_sgpr_kernarg_preload_offset 0
		.amdhsa_user_sgpr_private_segment_size 0
		.amdhsa_uses_dynamic_stack 0
		.amdhsa_system_sgpr_private_segment_wavefront_offset 0
		.amdhsa_system_sgpr_workgroup_id_x 1
		.amdhsa_system_sgpr_workgroup_id_y 0
		.amdhsa_system_sgpr_workgroup_id_z 0
		.amdhsa_system_sgpr_workgroup_info 0
		.amdhsa_system_vgpr_workitem_id 0
		.amdhsa_next_free_vgpr 31
		.amdhsa_next_free_sgpr 7
		.amdhsa_accum_offset 32
		.amdhsa_reserve_vcc 1
		.amdhsa_reserve_flat_scratch 0
		.amdhsa_float_round_mode_32 0
		.amdhsa_float_round_mode_16_64 0
		.amdhsa_float_denorm_mode_32 3
		.amdhsa_float_denorm_mode_16_64 3
		.amdhsa_dx10_clamp 1
		.amdhsa_ieee_mode 1
		.amdhsa_fp16_overflow 0
		.amdhsa_tg_split 0
		.amdhsa_exception_fp_ieee_invalid_op 0
		.amdhsa_exception_fp_denorm_src 0
		.amdhsa_exception_fp_ieee_div_zero 0
		.amdhsa_exception_fp_ieee_overflow 0
		.amdhsa_exception_fp_ieee_underflow 0
		.amdhsa_exception_fp_ieee_inexact 0
		.amdhsa_exception_int_div_zero 0
	.end_amdhsa_kernel
	.section	.text._Z21inclusive_scan_kernelILj65ELN6hipcub18BlockScanAlgorithmE1EN10test_utils16custom_test_typeImEEEvPT1_,"axG",@progbits,_Z21inclusive_scan_kernelILj65ELN6hipcub18BlockScanAlgorithmE1EN10test_utils16custom_test_typeImEEEvPT1_,comdat
.Lfunc_end149:
	.size	_Z21inclusive_scan_kernelILj65ELN6hipcub18BlockScanAlgorithmE1EN10test_utils16custom_test_typeImEEEvPT1_, .Lfunc_end149-_Z21inclusive_scan_kernelILj65ELN6hipcub18BlockScanAlgorithmE1EN10test_utils16custom_test_typeImEEEvPT1_
                                        ; -- End function
	.section	.AMDGPU.csdata,"",@progbits
; Kernel info:
; codeLenInByte = 876
; NumSgprs: 11
; NumVgprs: 31
; NumAgprs: 0
; TotalNumVgprs: 31
; ScratchSize: 0
; MemoryBound: 0
; FloatMode: 240
; IeeeMode: 1
; LDSByteSize: 2112 bytes/workgroup (compile time only)
; SGPRBlocks: 1
; VGPRBlocks: 3
; NumSGPRsForWavesPerEU: 11
; NumVGPRsForWavesPerEU: 31
; AccumOffset: 32
; Occupancy: 8
; WaveLimiterHint : 0
; COMPUTE_PGM_RSRC2:SCRATCH_EN: 0
; COMPUTE_PGM_RSRC2:USER_SGPR: 6
; COMPUTE_PGM_RSRC2:TRAP_HANDLER: 0
; COMPUTE_PGM_RSRC2:TGID_X_EN: 1
; COMPUTE_PGM_RSRC2:TGID_Y_EN: 0
; COMPUTE_PGM_RSRC2:TGID_Z_EN: 0
; COMPUTE_PGM_RSRC2:TIDIG_COMP_CNT: 0
; COMPUTE_PGM_RSRC3_GFX90A:ACCUM_OFFSET: 7
; COMPUTE_PGM_RSRC3_GFX90A:TG_SPLIT: 0
	.section	.text._Z21inclusive_scan_kernelILj512ELN6hipcub18BlockScanAlgorithmE1EN10test_utils16custom_test_typeIiEEEvPT1_,"axG",@progbits,_Z21inclusive_scan_kernelILj512ELN6hipcub18BlockScanAlgorithmE1EN10test_utils16custom_test_typeIiEEEvPT1_,comdat
	.protected	_Z21inclusive_scan_kernelILj512ELN6hipcub18BlockScanAlgorithmE1EN10test_utils16custom_test_typeIiEEEvPT1_ ; -- Begin function _Z21inclusive_scan_kernelILj512ELN6hipcub18BlockScanAlgorithmE1EN10test_utils16custom_test_typeIiEEEvPT1_
	.globl	_Z21inclusive_scan_kernelILj512ELN6hipcub18BlockScanAlgorithmE1EN10test_utils16custom_test_typeIiEEEvPT1_
	.p2align	8
	.type	_Z21inclusive_scan_kernelILj512ELN6hipcub18BlockScanAlgorithmE1EN10test_utils16custom_test_typeIiEEEvPT1_,@function
_Z21inclusive_scan_kernelILj512ELN6hipcub18BlockScanAlgorithmE1EN10test_utils16custom_test_typeIiEEEvPT1_: ; @_Z21inclusive_scan_kernelILj512ELN6hipcub18BlockScanAlgorithmE1EN10test_utils16custom_test_typeIiEEEvPT1_
; %bb.0:
	s_load_dwordx2 s[0:1], s[4:5], 0x0
	v_lshl_or_b32 v2, s6, 9, v0
	v_mov_b32_e32 v3, 0
	v_lshlrev_b64 v[2:3], 3, v[2:3]
	s_waitcnt lgkmcnt(0)
	v_mov_b32_e32 v1, s1
	v_add_co_u32_e32 v2, vcc, s0, v2
	v_addc_co_u32_e32 v3, vcc, v1, v3, vcc
	global_load_dwordx2 v[4:5], v[2:3], off
	v_lshrrev_b32_e32 v1, 5, v0
	v_add_lshl_u32 v1, v1, v0, 3
	v_cmp_gt_u32_e32 vcc, 64, v0
	s_waitcnt vmcnt(0)
	ds_write2_b32 v1, v4, v5 offset1:1
	s_waitcnt lgkmcnt(0)
	s_barrier
	s_and_saveexec_b64 s[0:1], vcc
	s_cbranch_execz .LBB150_2
; %bb.1:
	v_lshlrev_b32_e32 v6, 3, v0
	v_lshrrev_b32_e32 v7, 2, v0
	v_add_lshl_u32 v22, v7, v6, 3
	v_mbcnt_lo_u32_b32 v6, -1, 0
	v_mbcnt_hi_u32_b32 v23, -1, v6
	v_add_u32_e32 v14, -1, v23
	ds_read2_b32 v[6:7], v22 offset0:4 offset1:5
	ds_read2_b32 v[8:9], v22 offset0:6 offset1:7
	;; [unrolled: 1-line block ×3, first 2 shown]
	ds_read2_b32 v[12:13], v22 offset1:1
	v_and_b32_e32 v15, 64, v23
	v_cmp_lt_i32_e32 vcc, v14, v15
	v_cndmask_b32_e32 v14, v14, v23, vcc
	v_lshlrev_b32_e32 v26, 2, v14
	ds_read2_b32 v[14:15], v22 offset0:8 offset1:9
	ds_read2_b32 v[16:17], v22 offset0:10 offset1:11
	;; [unrolled: 1-line block ×4, first 2 shown]
	s_waitcnt lgkmcnt(4)
	v_add_u32_e32 v27, v10, v12
	v_add_u32_e32 v28, v11, v13
	v_add3_u32 v27, v27, v6, v8
	v_add3_u32 v28, v28, v7, v9
	s_waitcnt lgkmcnt(2)
	v_add3_u32 v27, v27, v14, v16
	v_and_b32_e32 v24, 15, v23
	v_add3_u32 v28, v28, v15, v17
	s_waitcnt lgkmcnt(0)
	v_add3_u32 v27, v27, v18, v20
	v_add3_u32 v28, v28, v19, v21
	v_cmp_eq_u32_e32 vcc, 0, v24
	v_mov_b32_dpp v29, v27 row_shr:1 row_mask:0xf bank_mask:0xf
	v_mov_b32_dpp v30, v28 row_shr:1 row_mask:0xf bank_mask:0xf
	v_cndmask_b32_e64 v29, v29, 0, vcc
	v_add_u32_e32 v27, v29, v27
	v_cndmask_b32_e64 v29, v30, 0, vcc
	v_add_u32_e32 v28, v29, v28
	v_cmp_lt_u32_e32 vcc, 1, v24
	v_mov_b32_dpp v29, v27 row_shr:2 row_mask:0xf bank_mask:0xf
	v_mov_b32_dpp v30, v28 row_shr:2 row_mask:0xf bank_mask:0xf
	v_cndmask_b32_e32 v30, 0, v30, vcc
	v_add_u32_e32 v28, v30, v28
	v_cndmask_b32_e32 v29, 0, v29, vcc
	v_add_u32_e32 v27, v27, v29
	v_mov_b32_dpp v30, v28 row_shr:4 row_mask:0xf bank_mask:0xf
	v_cmp_lt_u32_e32 vcc, 3, v24
	v_mov_b32_dpp v29, v27 row_shr:4 row_mask:0xf bank_mask:0xf
	v_cndmask_b32_e32 v30, 0, v30, vcc
	v_add_u32_e32 v28, v30, v28
	v_cndmask_b32_e32 v29, 0, v29, vcc
	v_add_u32_e32 v27, v29, v27
	v_mov_b32_dpp v30, v28 row_shr:8 row_mask:0xf bank_mask:0xf
	v_cmp_lt_u32_e32 vcc, 7, v24
	v_mov_b32_dpp v29, v27 row_shr:8 row_mask:0xf bank_mask:0xf
	v_cndmask_b32_e32 v24, 0, v30, vcc
	v_add_u32_e32 v24, v24, v28
	v_cndmask_b32_e32 v28, 0, v29, vcc
	v_add_u32_e32 v27, v28, v27
	v_bfe_i32 v25, v23, 4, 1
	v_mov_b32_dpp v29, v24 row_bcast:15 row_mask:0xf bank_mask:0xf
	v_mov_b32_dpp v28, v27 row_bcast:15 row_mask:0xf bank_mask:0xf
	v_and_b32_e32 v28, v25, v28
	v_and_b32_e32 v25, v25, v29
	v_add_u32_e32 v27, v28, v27
	v_add_u32_e32 v24, v25, v24
	v_cmp_lt_u32_e32 vcc, 31, v23
	v_mov_b32_dpp v25, v27 row_bcast:31 row_mask:0xf bank_mask:0xf
	v_mov_b32_dpp v28, v24 row_bcast:31 row_mask:0xf bank_mask:0xf
	v_cndmask_b32_e32 v23, 0, v25, vcc
	v_cndmask_b32_e32 v25, 0, v28, vcc
	v_add_u32_e32 v23, v23, v27
	v_add_u32_e32 v24, v25, v24
	ds_bpermute_b32 v23, v26, v23
	ds_bpermute_b32 v24, v26, v24
	v_cmp_eq_u32_e32 vcc, 0, v0
	s_waitcnt lgkmcnt(1)
	v_add_u32_e32 v12, v12, v23
	s_waitcnt lgkmcnt(0)
	v_add_u32_e32 v13, v13, v24
	v_cndmask_b32_e32 v0, v13, v5, vcc
	v_cndmask_b32_e32 v4, v12, v4, vcc
	ds_write2_b32 v22, v4, v0 offset1:1
	v_add_u32_e32 v0, v0, v11
	v_add_u32_e32 v4, v4, v10
	ds_write2_b32 v22, v4, v0 offset0:2 offset1:3
	v_add_u32_e32 v0, v0, v7
	v_add_u32_e32 v4, v4, v6
	ds_write2_b32 v22, v4, v0 offset0:4 offset1:5
	;; [unrolled: 3-line block ×7, first 2 shown]
.LBB150_2:
	s_or_b64 exec, exec, s[0:1]
	s_waitcnt lgkmcnt(0)
	s_barrier
	ds_read2_b32 v[0:1], v1 offset1:1
	s_waitcnt lgkmcnt(0)
	global_store_dwordx2 v[2:3], v[0:1], off
	s_endpgm
	.section	.rodata,"a",@progbits
	.p2align	6, 0x0
	.amdhsa_kernel _Z21inclusive_scan_kernelILj512ELN6hipcub18BlockScanAlgorithmE1EN10test_utils16custom_test_typeIiEEEvPT1_
		.amdhsa_group_segment_fixed_size 4224
		.amdhsa_private_segment_fixed_size 0
		.amdhsa_kernarg_size 8
		.amdhsa_user_sgpr_count 6
		.amdhsa_user_sgpr_private_segment_buffer 1
		.amdhsa_user_sgpr_dispatch_ptr 0
		.amdhsa_user_sgpr_queue_ptr 0
		.amdhsa_user_sgpr_kernarg_segment_ptr 1
		.amdhsa_user_sgpr_dispatch_id 0
		.amdhsa_user_sgpr_flat_scratch_init 0
		.amdhsa_user_sgpr_kernarg_preload_length 0
		.amdhsa_user_sgpr_kernarg_preload_offset 0
		.amdhsa_user_sgpr_private_segment_size 0
		.amdhsa_uses_dynamic_stack 0
		.amdhsa_system_sgpr_private_segment_wavefront_offset 0
		.amdhsa_system_sgpr_workgroup_id_x 1
		.amdhsa_system_sgpr_workgroup_id_y 0
		.amdhsa_system_sgpr_workgroup_id_z 0
		.amdhsa_system_sgpr_workgroup_info 0
		.amdhsa_system_vgpr_workitem_id 0
		.amdhsa_next_free_vgpr 31
		.amdhsa_next_free_sgpr 7
		.amdhsa_accum_offset 32
		.amdhsa_reserve_vcc 1
		.amdhsa_reserve_flat_scratch 0
		.amdhsa_float_round_mode_32 0
		.amdhsa_float_round_mode_16_64 0
		.amdhsa_float_denorm_mode_32 3
		.amdhsa_float_denorm_mode_16_64 3
		.amdhsa_dx10_clamp 1
		.amdhsa_ieee_mode 1
		.amdhsa_fp16_overflow 0
		.amdhsa_tg_split 0
		.amdhsa_exception_fp_ieee_invalid_op 0
		.amdhsa_exception_fp_denorm_src 0
		.amdhsa_exception_fp_ieee_div_zero 0
		.amdhsa_exception_fp_ieee_overflow 0
		.amdhsa_exception_fp_ieee_underflow 0
		.amdhsa_exception_fp_ieee_inexact 0
		.amdhsa_exception_int_div_zero 0
	.end_amdhsa_kernel
	.section	.text._Z21inclusive_scan_kernelILj512ELN6hipcub18BlockScanAlgorithmE1EN10test_utils16custom_test_typeIiEEEvPT1_,"axG",@progbits,_Z21inclusive_scan_kernelILj512ELN6hipcub18BlockScanAlgorithmE1EN10test_utils16custom_test_typeIiEEEvPT1_,comdat
.Lfunc_end150:
	.size	_Z21inclusive_scan_kernelILj512ELN6hipcub18BlockScanAlgorithmE1EN10test_utils16custom_test_typeIiEEEvPT1_, .Lfunc_end150-_Z21inclusive_scan_kernelILj512ELN6hipcub18BlockScanAlgorithmE1EN10test_utils16custom_test_typeIiEEEvPT1_
                                        ; -- End function
	.section	.AMDGPU.csdata,"",@progbits
; Kernel info:
; codeLenInByte = 712
; NumSgprs: 11
; NumVgprs: 31
; NumAgprs: 0
; TotalNumVgprs: 31
; ScratchSize: 0
; MemoryBound: 0
; FloatMode: 240
; IeeeMode: 1
; LDSByteSize: 4224 bytes/workgroup (compile time only)
; SGPRBlocks: 1
; VGPRBlocks: 3
; NumSGPRsForWavesPerEU: 11
; NumVGPRsForWavesPerEU: 31
; AccumOffset: 32
; Occupancy: 8
; WaveLimiterHint : 0
; COMPUTE_PGM_RSRC2:SCRATCH_EN: 0
; COMPUTE_PGM_RSRC2:USER_SGPR: 6
; COMPUTE_PGM_RSRC2:TRAP_HANDLER: 0
; COMPUTE_PGM_RSRC2:TGID_X_EN: 1
; COMPUTE_PGM_RSRC2:TGID_Y_EN: 0
; COMPUTE_PGM_RSRC2:TGID_Z_EN: 0
; COMPUTE_PGM_RSRC2:TIDIG_COMP_CNT: 0
; COMPUTE_PGM_RSRC3_GFX90A:ACCUM_OFFSET: 7
; COMPUTE_PGM_RSRC3_GFX90A:TG_SPLIT: 0
	.section	.text._Z21inclusive_scan_kernelILj256ELN6hipcub18BlockScanAlgorithmE1EN10test_utils16custom_test_typeIiEEEvPT1_,"axG",@progbits,_Z21inclusive_scan_kernelILj256ELN6hipcub18BlockScanAlgorithmE1EN10test_utils16custom_test_typeIiEEEvPT1_,comdat
	.protected	_Z21inclusive_scan_kernelILj256ELN6hipcub18BlockScanAlgorithmE1EN10test_utils16custom_test_typeIiEEEvPT1_ ; -- Begin function _Z21inclusive_scan_kernelILj256ELN6hipcub18BlockScanAlgorithmE1EN10test_utils16custom_test_typeIiEEEvPT1_
	.globl	_Z21inclusive_scan_kernelILj256ELN6hipcub18BlockScanAlgorithmE1EN10test_utils16custom_test_typeIiEEEvPT1_
	.p2align	8
	.type	_Z21inclusive_scan_kernelILj256ELN6hipcub18BlockScanAlgorithmE1EN10test_utils16custom_test_typeIiEEEvPT1_,@function
_Z21inclusive_scan_kernelILj256ELN6hipcub18BlockScanAlgorithmE1EN10test_utils16custom_test_typeIiEEEvPT1_: ; @_Z21inclusive_scan_kernelILj256ELN6hipcub18BlockScanAlgorithmE1EN10test_utils16custom_test_typeIiEEEvPT1_
; %bb.0:
	s_load_dwordx2 s[0:1], s[4:5], 0x0
	v_lshl_or_b32 v2, s6, 8, v0
	v_mov_b32_e32 v3, 0
	v_lshlrev_b64 v[2:3], 3, v[2:3]
	s_waitcnt lgkmcnt(0)
	v_mov_b32_e32 v1, s1
	v_add_co_u32_e32 v2, vcc, s0, v2
	v_addc_co_u32_e32 v3, vcc, v1, v3, vcc
	global_load_dwordx2 v[4:5], v[2:3], off
	v_lshrrev_b32_e32 v1, 5, v0
	v_add_lshl_u32 v1, v1, v0, 3
	v_cmp_gt_u32_e32 vcc, 64, v0
	s_waitcnt vmcnt(0)
	ds_write2_b32 v1, v4, v5 offset1:1
	s_waitcnt lgkmcnt(0)
	s_barrier
	s_and_saveexec_b64 s[0:1], vcc
	s_cbranch_execz .LBB151_2
; %bb.1:
	v_lshlrev_b32_e32 v6, 2, v0
	v_lshrrev_b32_e32 v7, 3, v0
	v_add_lshl_u32 v14, v7, v6, 3
	ds_read2_b32 v[6:7], v14 offset1:1
	ds_read2_b32 v[8:9], v14 offset0:2 offset1:3
	ds_read2_b32 v[10:11], v14 offset0:4 offset1:5
	;; [unrolled: 1-line block ×3, first 2 shown]
	v_mbcnt_lo_u32_b32 v17, -1, 0
	v_mbcnt_hi_u32_b32 v17, -1, v17
	s_waitcnt lgkmcnt(2)
	v_add_u32_e32 v15, v8, v6
	v_add_u32_e32 v16, v9, v7
	s_waitcnt lgkmcnt(0)
	v_add3_u32 v15, v15, v10, v12
	v_and_b32_e32 v18, 15, v17
	v_add3_u32 v16, v16, v11, v13
	v_mov_b32_dpp v19, v15 row_shr:1 row_mask:0xf bank_mask:0xf
	v_cmp_eq_u32_e32 vcc, 0, v18
	v_mov_b32_dpp v20, v16 row_shr:1 row_mask:0xf bank_mask:0xf
	v_cndmask_b32_e64 v19, v19, 0, vcc
	v_add_u32_e32 v15, v19, v15
	v_cndmask_b32_e64 v19, v20, 0, vcc
	v_add_u32_e32 v16, v19, v16
	v_cmp_lt_u32_e32 vcc, 1, v18
	v_mov_b32_dpp v19, v15 row_shr:2 row_mask:0xf bank_mask:0xf
	v_mov_b32_dpp v20, v16 row_shr:2 row_mask:0xf bank_mask:0xf
	v_cndmask_b32_e32 v20, 0, v20, vcc
	v_add_u32_e32 v16, v20, v16
	v_cndmask_b32_e32 v19, 0, v19, vcc
	v_add_u32_e32 v15, v15, v19
	v_mov_b32_dpp v20, v16 row_shr:4 row_mask:0xf bank_mask:0xf
	v_cmp_lt_u32_e32 vcc, 3, v18
	v_mov_b32_dpp v19, v15 row_shr:4 row_mask:0xf bank_mask:0xf
	v_cndmask_b32_e32 v20, 0, v20, vcc
	v_add_u32_e32 v16, v20, v16
	v_cndmask_b32_e32 v19, 0, v19, vcc
	v_add_u32_e32 v15, v19, v15
	v_mov_b32_dpp v20, v16 row_shr:8 row_mask:0xf bank_mask:0xf
	v_cmp_lt_u32_e32 vcc, 7, v18
	v_mov_b32_dpp v19, v15 row_shr:8 row_mask:0xf bank_mask:0xf
	v_cndmask_b32_e32 v18, 0, v20, vcc
	v_add_u32_e32 v16, v18, v16
	v_cndmask_b32_e32 v18, 0, v19, vcc
	v_add_u32_e32 v15, v18, v15
	v_bfe_i32 v20, v17, 4, 1
	v_mov_b32_dpp v19, v16 row_bcast:15 row_mask:0xf bank_mask:0xf
	v_mov_b32_dpp v18, v15 row_bcast:15 row_mask:0xf bank_mask:0xf
	v_and_b32_e32 v18, v20, v18
	v_add_u32_e32 v15, v18, v15
	v_and_b32_e32 v18, v20, v19
	v_add_u32_e32 v16, v18, v16
	v_cmp_lt_u32_e32 vcc, 31, v17
	v_mov_b32_dpp v18, v15 row_bcast:31 row_mask:0xf bank_mask:0xf
	v_mov_b32_dpp v19, v16 row_bcast:31 row_mask:0xf bank_mask:0xf
	v_cndmask_b32_e32 v18, 0, v18, vcc
	v_add_u32_e32 v15, v18, v15
	v_cndmask_b32_e32 v18, 0, v19, vcc
	v_add_u32_e32 v16, v18, v16
	v_add_u32_e32 v18, -1, v17
	v_and_b32_e32 v19, 64, v17
	v_cmp_lt_i32_e32 vcc, v18, v19
	v_cndmask_b32_e32 v17, v18, v17, vcc
	v_lshlrev_b32_e32 v17, 2, v17
	ds_bpermute_b32 v15, v17, v15
	ds_bpermute_b32 v16, v17, v16
	v_cmp_eq_u32_e32 vcc, 0, v0
	s_waitcnt lgkmcnt(1)
	v_add_u32_e32 v6, v15, v6
	s_waitcnt lgkmcnt(0)
	v_add_u32_e32 v7, v16, v7
	v_cndmask_b32_e32 v0, v6, v4, vcc
	v_cndmask_b32_e32 v4, v7, v5, vcc
	ds_write2_b32 v14, v0, v4 offset1:1
	v_add_u32_e32 v0, v0, v8
	v_add_u32_e32 v4, v4, v9
	ds_write2_b32 v14, v0, v4 offset0:2 offset1:3
	v_add_u32_e32 v0, v0, v10
	v_add_u32_e32 v4, v4, v11
	ds_write2_b32 v14, v0, v4 offset0:4 offset1:5
	;; [unrolled: 3-line block ×3, first 2 shown]
.LBB151_2:
	s_or_b64 exec, exec, s[0:1]
	s_waitcnt lgkmcnt(0)
	s_barrier
	ds_read2_b32 v[0:1], v1 offset1:1
	s_waitcnt lgkmcnt(0)
	global_store_dwordx2 v[2:3], v[0:1], off
	s_endpgm
	.section	.rodata,"a",@progbits
	.p2align	6, 0x0
	.amdhsa_kernel _Z21inclusive_scan_kernelILj256ELN6hipcub18BlockScanAlgorithmE1EN10test_utils16custom_test_typeIiEEEvPT1_
		.amdhsa_group_segment_fixed_size 2112
		.amdhsa_private_segment_fixed_size 0
		.amdhsa_kernarg_size 8
		.amdhsa_user_sgpr_count 6
		.amdhsa_user_sgpr_private_segment_buffer 1
		.amdhsa_user_sgpr_dispatch_ptr 0
		.amdhsa_user_sgpr_queue_ptr 0
		.amdhsa_user_sgpr_kernarg_segment_ptr 1
		.amdhsa_user_sgpr_dispatch_id 0
		.amdhsa_user_sgpr_flat_scratch_init 0
		.amdhsa_user_sgpr_kernarg_preload_length 0
		.amdhsa_user_sgpr_kernarg_preload_offset 0
		.amdhsa_user_sgpr_private_segment_size 0
		.amdhsa_uses_dynamic_stack 0
		.amdhsa_system_sgpr_private_segment_wavefront_offset 0
		.amdhsa_system_sgpr_workgroup_id_x 1
		.amdhsa_system_sgpr_workgroup_id_y 0
		.amdhsa_system_sgpr_workgroup_id_z 0
		.amdhsa_system_sgpr_workgroup_info 0
		.amdhsa_system_vgpr_workitem_id 0
		.amdhsa_next_free_vgpr 21
		.amdhsa_next_free_sgpr 7
		.amdhsa_accum_offset 24
		.amdhsa_reserve_vcc 1
		.amdhsa_reserve_flat_scratch 0
		.amdhsa_float_round_mode_32 0
		.amdhsa_float_round_mode_16_64 0
		.amdhsa_float_denorm_mode_32 3
		.amdhsa_float_denorm_mode_16_64 3
		.amdhsa_dx10_clamp 1
		.amdhsa_ieee_mode 1
		.amdhsa_fp16_overflow 0
		.amdhsa_tg_split 0
		.amdhsa_exception_fp_ieee_invalid_op 0
		.amdhsa_exception_fp_denorm_src 0
		.amdhsa_exception_fp_ieee_div_zero 0
		.amdhsa_exception_fp_ieee_overflow 0
		.amdhsa_exception_fp_ieee_underflow 0
		.amdhsa_exception_fp_ieee_inexact 0
		.amdhsa_exception_int_div_zero 0
	.end_amdhsa_kernel
	.section	.text._Z21inclusive_scan_kernelILj256ELN6hipcub18BlockScanAlgorithmE1EN10test_utils16custom_test_typeIiEEEvPT1_,"axG",@progbits,_Z21inclusive_scan_kernelILj256ELN6hipcub18BlockScanAlgorithmE1EN10test_utils16custom_test_typeIiEEEvPT1_,comdat
.Lfunc_end151:
	.size	_Z21inclusive_scan_kernelILj256ELN6hipcub18BlockScanAlgorithmE1EN10test_utils16custom_test_typeIiEEEvPT1_, .Lfunc_end151-_Z21inclusive_scan_kernelILj256ELN6hipcub18BlockScanAlgorithmE1EN10test_utils16custom_test_typeIiEEEvPT1_
                                        ; -- End function
	.section	.AMDGPU.csdata,"",@progbits
; Kernel info:
; codeLenInByte = 580
; NumSgprs: 11
; NumVgprs: 21
; NumAgprs: 0
; TotalNumVgprs: 21
; ScratchSize: 0
; MemoryBound: 0
; FloatMode: 240
; IeeeMode: 1
; LDSByteSize: 2112 bytes/workgroup (compile time only)
; SGPRBlocks: 1
; VGPRBlocks: 2
; NumSGPRsForWavesPerEU: 11
; NumVGPRsForWavesPerEU: 21
; AccumOffset: 24
; Occupancy: 8
; WaveLimiterHint : 0
; COMPUTE_PGM_RSRC2:SCRATCH_EN: 0
; COMPUTE_PGM_RSRC2:USER_SGPR: 6
; COMPUTE_PGM_RSRC2:TRAP_HANDLER: 0
; COMPUTE_PGM_RSRC2:TGID_X_EN: 1
; COMPUTE_PGM_RSRC2:TGID_Y_EN: 0
; COMPUTE_PGM_RSRC2:TGID_Z_EN: 0
; COMPUTE_PGM_RSRC2:TIDIG_COMP_CNT: 0
; COMPUTE_PGM_RSRC3_GFX90A:ACCUM_OFFSET: 5
; COMPUTE_PGM_RSRC3_GFX90A:TG_SPLIT: 0
	.section	.text._Z21inclusive_scan_kernelILj128ELN6hipcub18BlockScanAlgorithmE1EN10test_utils16custom_test_typeIiEEEvPT1_,"axG",@progbits,_Z21inclusive_scan_kernelILj128ELN6hipcub18BlockScanAlgorithmE1EN10test_utils16custom_test_typeIiEEEvPT1_,comdat
	.protected	_Z21inclusive_scan_kernelILj128ELN6hipcub18BlockScanAlgorithmE1EN10test_utils16custom_test_typeIiEEEvPT1_ ; -- Begin function _Z21inclusive_scan_kernelILj128ELN6hipcub18BlockScanAlgorithmE1EN10test_utils16custom_test_typeIiEEEvPT1_
	.globl	_Z21inclusive_scan_kernelILj128ELN6hipcub18BlockScanAlgorithmE1EN10test_utils16custom_test_typeIiEEEvPT1_
	.p2align	8
	.type	_Z21inclusive_scan_kernelILj128ELN6hipcub18BlockScanAlgorithmE1EN10test_utils16custom_test_typeIiEEEvPT1_,@function
_Z21inclusive_scan_kernelILj128ELN6hipcub18BlockScanAlgorithmE1EN10test_utils16custom_test_typeIiEEEvPT1_: ; @_Z21inclusive_scan_kernelILj128ELN6hipcub18BlockScanAlgorithmE1EN10test_utils16custom_test_typeIiEEEvPT1_
; %bb.0:
	s_load_dwordx2 s[0:1], s[4:5], 0x0
	v_lshl_or_b32 v2, s6, 7, v0
	v_mov_b32_e32 v3, 0
	v_lshlrev_b64 v[2:3], 3, v[2:3]
	s_waitcnt lgkmcnt(0)
	v_mov_b32_e32 v1, s1
	v_add_co_u32_e32 v2, vcc, s0, v2
	v_addc_co_u32_e32 v3, vcc, v1, v3, vcc
	global_load_dwordx2 v[4:5], v[2:3], off
	v_lshrrev_b32_e32 v1, 5, v0
	v_add_lshl_u32 v1, v1, v0, 3
	v_cmp_gt_u32_e32 vcc, 64, v0
	s_waitcnt vmcnt(0)
	ds_write2_b32 v1, v4, v5 offset1:1
	s_waitcnt lgkmcnt(0)
	s_barrier
	s_and_saveexec_b64 s[0:1], vcc
	s_cbranch_execz .LBB152_2
; %bb.1:
	v_lshlrev_b32_e32 v6, 1, v0
	v_lshrrev_b32_e32 v7, 4, v0
	v_add_lshl_u32 v10, v7, v6, 3
	ds_read2_b32 v[6:7], v10 offset1:1
	ds_read2_b32 v[8:9], v10 offset0:2 offset1:3
	v_mbcnt_lo_u32_b32 v11, -1, 0
	v_mbcnt_hi_u32_b32 v11, -1, v11
	v_and_b32_e32 v14, 15, v11
	v_cmp_eq_u32_e32 vcc, 0, v14
	s_waitcnt lgkmcnt(0)
	v_add_u32_e32 v12, v8, v6
	v_add_u32_e32 v13, v9, v7
	s_nop 0
	v_mov_b32_dpp v15, v12 row_shr:1 row_mask:0xf bank_mask:0xf
	v_mov_b32_dpp v16, v13 row_shr:1 row_mask:0xf bank_mask:0xf
	v_cndmask_b32_e64 v15, v15, 0, vcc
	v_add_u32_e32 v12, v15, v12
	v_cndmask_b32_e64 v15, v16, 0, vcc
	v_add_u32_e32 v13, v15, v13
	v_cmp_lt_u32_e32 vcc, 1, v14
	v_mov_b32_dpp v15, v12 row_shr:2 row_mask:0xf bank_mask:0xf
	v_mov_b32_dpp v16, v13 row_shr:2 row_mask:0xf bank_mask:0xf
	v_cndmask_b32_e32 v16, 0, v16, vcc
	v_add_u32_e32 v13, v16, v13
	v_cndmask_b32_e32 v15, 0, v15, vcc
	v_add_u32_e32 v12, v12, v15
	v_mov_b32_dpp v16, v13 row_shr:4 row_mask:0xf bank_mask:0xf
	v_cmp_lt_u32_e32 vcc, 3, v14
	v_mov_b32_dpp v15, v12 row_shr:4 row_mask:0xf bank_mask:0xf
	v_cndmask_b32_e32 v16, 0, v16, vcc
	v_add_u32_e32 v13, v16, v13
	v_cndmask_b32_e32 v15, 0, v15, vcc
	v_add_u32_e32 v12, v15, v12
	v_mov_b32_dpp v16, v13 row_shr:8 row_mask:0xf bank_mask:0xf
	v_cmp_lt_u32_e32 vcc, 7, v14
	v_mov_b32_dpp v15, v12 row_shr:8 row_mask:0xf bank_mask:0xf
	v_cndmask_b32_e32 v14, 0, v16, vcc
	v_add_u32_e32 v13, v14, v13
	v_cndmask_b32_e32 v14, 0, v15, vcc
	v_add_u32_e32 v12, v14, v12
	v_bfe_i32 v16, v11, 4, 1
	v_mov_b32_dpp v15, v13 row_bcast:15 row_mask:0xf bank_mask:0xf
	v_mov_b32_dpp v14, v12 row_bcast:15 row_mask:0xf bank_mask:0xf
	v_and_b32_e32 v14, v16, v14
	v_add_u32_e32 v12, v14, v12
	v_and_b32_e32 v14, v16, v15
	v_add_u32_e32 v13, v14, v13
	v_cmp_lt_u32_e32 vcc, 31, v11
	v_mov_b32_dpp v14, v12 row_bcast:31 row_mask:0xf bank_mask:0xf
	v_mov_b32_dpp v15, v13 row_bcast:31 row_mask:0xf bank_mask:0xf
	v_cndmask_b32_e32 v14, 0, v14, vcc
	v_add_u32_e32 v12, v14, v12
	v_cndmask_b32_e32 v14, 0, v15, vcc
	v_add_u32_e32 v13, v14, v13
	v_add_u32_e32 v14, -1, v11
	v_and_b32_e32 v15, 64, v11
	v_cmp_lt_i32_e32 vcc, v14, v15
	v_cndmask_b32_e32 v11, v14, v11, vcc
	v_lshlrev_b32_e32 v11, 2, v11
	ds_bpermute_b32 v12, v11, v12
	ds_bpermute_b32 v11, v11, v13
	v_cmp_eq_u32_e32 vcc, 0, v0
	s_waitcnt lgkmcnt(1)
	v_add_u32_e32 v6, v12, v6
	s_waitcnt lgkmcnt(0)
	v_add_u32_e32 v7, v11, v7
	v_cndmask_b32_e32 v0, v6, v4, vcc
	v_cndmask_b32_e32 v4, v7, v5, vcc
	ds_write2_b32 v10, v0, v4 offset1:1
	v_add_u32_e32 v0, v0, v8
	v_add_u32_e32 v4, v4, v9
	ds_write2_b32 v10, v0, v4 offset0:2 offset1:3
.LBB152_2:
	s_or_b64 exec, exec, s[0:1]
	s_waitcnt lgkmcnt(0)
	s_barrier
	ds_read2_b32 v[0:1], v1 offset1:1
	s_waitcnt lgkmcnt(0)
	global_store_dwordx2 v[2:3], v[0:1], off
	s_endpgm
	.section	.rodata,"a",@progbits
	.p2align	6, 0x0
	.amdhsa_kernel _Z21inclusive_scan_kernelILj128ELN6hipcub18BlockScanAlgorithmE1EN10test_utils16custom_test_typeIiEEEvPT1_
		.amdhsa_group_segment_fixed_size 1056
		.amdhsa_private_segment_fixed_size 0
		.amdhsa_kernarg_size 8
		.amdhsa_user_sgpr_count 6
		.amdhsa_user_sgpr_private_segment_buffer 1
		.amdhsa_user_sgpr_dispatch_ptr 0
		.amdhsa_user_sgpr_queue_ptr 0
		.amdhsa_user_sgpr_kernarg_segment_ptr 1
		.amdhsa_user_sgpr_dispatch_id 0
		.amdhsa_user_sgpr_flat_scratch_init 0
		.amdhsa_user_sgpr_kernarg_preload_length 0
		.amdhsa_user_sgpr_kernarg_preload_offset 0
		.amdhsa_user_sgpr_private_segment_size 0
		.amdhsa_uses_dynamic_stack 0
		.amdhsa_system_sgpr_private_segment_wavefront_offset 0
		.amdhsa_system_sgpr_workgroup_id_x 1
		.amdhsa_system_sgpr_workgroup_id_y 0
		.amdhsa_system_sgpr_workgroup_id_z 0
		.amdhsa_system_sgpr_workgroup_info 0
		.amdhsa_system_vgpr_workitem_id 0
		.amdhsa_next_free_vgpr 17
		.amdhsa_next_free_sgpr 7
		.amdhsa_accum_offset 20
		.amdhsa_reserve_vcc 1
		.amdhsa_reserve_flat_scratch 0
		.amdhsa_float_round_mode_32 0
		.amdhsa_float_round_mode_16_64 0
		.amdhsa_float_denorm_mode_32 3
		.amdhsa_float_denorm_mode_16_64 3
		.amdhsa_dx10_clamp 1
		.amdhsa_ieee_mode 1
		.amdhsa_fp16_overflow 0
		.amdhsa_tg_split 0
		.amdhsa_exception_fp_ieee_invalid_op 0
		.amdhsa_exception_fp_denorm_src 0
		.amdhsa_exception_fp_ieee_div_zero 0
		.amdhsa_exception_fp_ieee_overflow 0
		.amdhsa_exception_fp_ieee_underflow 0
		.amdhsa_exception_fp_ieee_inexact 0
		.amdhsa_exception_int_div_zero 0
	.end_amdhsa_kernel
	.section	.text._Z21inclusive_scan_kernelILj128ELN6hipcub18BlockScanAlgorithmE1EN10test_utils16custom_test_typeIiEEEvPT1_,"axG",@progbits,_Z21inclusive_scan_kernelILj128ELN6hipcub18BlockScanAlgorithmE1EN10test_utils16custom_test_typeIiEEEvPT1_,comdat
.Lfunc_end152:
	.size	_Z21inclusive_scan_kernelILj128ELN6hipcub18BlockScanAlgorithmE1EN10test_utils16custom_test_typeIiEEEvPT1_, .Lfunc_end152-_Z21inclusive_scan_kernelILj128ELN6hipcub18BlockScanAlgorithmE1EN10test_utils16custom_test_typeIiEEEvPT1_
                                        ; -- End function
	.section	.AMDGPU.csdata,"",@progbits
; Kernel info:
; codeLenInByte = 516
; NumSgprs: 11
; NumVgprs: 17
; NumAgprs: 0
; TotalNumVgprs: 17
; ScratchSize: 0
; MemoryBound: 0
; FloatMode: 240
; IeeeMode: 1
; LDSByteSize: 1056 bytes/workgroup (compile time only)
; SGPRBlocks: 1
; VGPRBlocks: 2
; NumSGPRsForWavesPerEU: 11
; NumVGPRsForWavesPerEU: 17
; AccumOffset: 20
; Occupancy: 8
; WaveLimiterHint : 0
; COMPUTE_PGM_RSRC2:SCRATCH_EN: 0
; COMPUTE_PGM_RSRC2:USER_SGPR: 6
; COMPUTE_PGM_RSRC2:TRAP_HANDLER: 0
; COMPUTE_PGM_RSRC2:TGID_X_EN: 1
; COMPUTE_PGM_RSRC2:TGID_Y_EN: 0
; COMPUTE_PGM_RSRC2:TGID_Z_EN: 0
; COMPUTE_PGM_RSRC2:TIDIG_COMP_CNT: 0
; COMPUTE_PGM_RSRC3_GFX90A:ACCUM_OFFSET: 4
; COMPUTE_PGM_RSRC3_GFX90A:TG_SPLIT: 0
	.section	.text._Z21inclusive_scan_kernelILj64ELN6hipcub18BlockScanAlgorithmE1EN10test_utils16custom_test_typeIiEEEvPT1_,"axG",@progbits,_Z21inclusive_scan_kernelILj64ELN6hipcub18BlockScanAlgorithmE1EN10test_utils16custom_test_typeIiEEEvPT1_,comdat
	.protected	_Z21inclusive_scan_kernelILj64ELN6hipcub18BlockScanAlgorithmE1EN10test_utils16custom_test_typeIiEEEvPT1_ ; -- Begin function _Z21inclusive_scan_kernelILj64ELN6hipcub18BlockScanAlgorithmE1EN10test_utils16custom_test_typeIiEEEvPT1_
	.globl	_Z21inclusive_scan_kernelILj64ELN6hipcub18BlockScanAlgorithmE1EN10test_utils16custom_test_typeIiEEEvPT1_
	.p2align	8
	.type	_Z21inclusive_scan_kernelILj64ELN6hipcub18BlockScanAlgorithmE1EN10test_utils16custom_test_typeIiEEEvPT1_,@function
_Z21inclusive_scan_kernelILj64ELN6hipcub18BlockScanAlgorithmE1EN10test_utils16custom_test_typeIiEEEvPT1_: ; @_Z21inclusive_scan_kernelILj64ELN6hipcub18BlockScanAlgorithmE1EN10test_utils16custom_test_typeIiEEEvPT1_
; %bb.0:
	s_load_dwordx2 s[0:1], s[4:5], 0x0
	v_lshl_or_b32 v4, s6, 6, v0
	v_mov_b32_e32 v5, 0
	v_lshlrev_b64 v[2:3], 3, v[4:5]
	s_waitcnt lgkmcnt(0)
	v_mov_b32_e32 v1, s1
	v_add_co_u32_e32 v2, vcc, s0, v2
	v_addc_co_u32_e32 v3, vcc, v1, v3, vcc
	global_load_dwordx2 v[6:7], v[2:3], off
	v_mbcnt_lo_u32_b32 v1, -1, 0
	v_mbcnt_hi_u32_b32 v1, -1, v1
	v_and_b32_e32 v4, 15, v1
	v_cmp_eq_u32_e32 vcc, 0, v4
	v_bfe_i32 v8, v1, 4, 1
	s_waitcnt vmcnt(0)
	v_mov_b32_dpp v9, v6 row_shr:1 row_mask:0xf bank_mask:0xf
	v_mov_b32_dpp v10, v7 row_shr:1 row_mask:0xf bank_mask:0xf
	v_cndmask_b32_e64 v9, v9, 0, vcc
	v_cndmask_b32_e64 v10, v10, 0, vcc
	v_add_u32_e32 v6, v9, v6
	v_add_u32_e32 v7, v10, v7
	v_cmp_lt_u32_e32 vcc, 1, v4
	v_mov_b32_dpp v9, v6 row_shr:2 row_mask:0xf bank_mask:0xf
	v_mov_b32_dpp v10, v7 row_shr:2 row_mask:0xf bank_mask:0xf
	v_cndmask_b32_e32 v10, 0, v10, vcc
	v_cndmask_b32_e32 v9, 0, v9, vcc
	v_add_u32_e32 v7, v7, v10
	v_add_u32_e32 v6, v6, v9
	v_cmp_lt_u32_e32 vcc, 3, v4
	v_mov_b32_dpp v10, v7 row_shr:4 row_mask:0xf bank_mask:0xf
	v_mov_b32_dpp v9, v6 row_shr:4 row_mask:0xf bank_mask:0xf
	v_cndmask_b32_e32 v10, 0, v10, vcc
	v_cndmask_b32_e32 v9, 0, v9, vcc
	;; [unrolled: 7-line block ×3, first 2 shown]
	v_add_u32_e32 v4, v7, v4
	v_add_u32_e32 v6, v6, v9
	v_cmp_lt_u32_e32 vcc, 31, v1
	v_mov_b32_dpp v9, v4 row_bcast:15 row_mask:0xf bank_mask:0xf
	v_mov_b32_dpp v7, v6 row_bcast:15 row_mask:0xf bank_mask:0xf
	v_and_b32_e32 v7, v8, v7
	v_and_b32_e32 v8, v8, v9
	v_add_u32_e32 v6, v6, v7
	v_add_u32_e32 v4, v4, v8
	s_nop 0
	v_mov_b32_dpp v7, v6 row_bcast:31 row_mask:0xf bank_mask:0xf
	v_mov_b32_dpp v8, v4 row_bcast:31 row_mask:0xf bank_mask:0xf
	v_cndmask_b32_e32 v1, 0, v7, vcc
	v_cndmask_b32_e32 v7, 0, v8, vcc
	v_add_u32_e32 v6, v6, v1
	v_add_u32_e32 v7, v4, v7
	v_cmp_eq_u32_e32 vcc, 63, v0
	s_and_saveexec_b64 s[0:1], vcc
	s_cbranch_execz .LBB153_2
; %bb.1:
	ds_write_b64 v5, v[6:7]
.LBB153_2:
	s_or_b64 exec, exec, s[0:1]
	s_waitcnt lgkmcnt(0)
	; wave barrier
	s_waitcnt lgkmcnt(0)
	global_store_dwordx2 v[2:3], v[6:7], off
	s_endpgm
	.section	.rodata,"a",@progbits
	.p2align	6, 0x0
	.amdhsa_kernel _Z21inclusive_scan_kernelILj64ELN6hipcub18BlockScanAlgorithmE1EN10test_utils16custom_test_typeIiEEEvPT1_
		.amdhsa_group_segment_fixed_size 8
		.amdhsa_private_segment_fixed_size 0
		.amdhsa_kernarg_size 8
		.amdhsa_user_sgpr_count 6
		.amdhsa_user_sgpr_private_segment_buffer 1
		.amdhsa_user_sgpr_dispatch_ptr 0
		.amdhsa_user_sgpr_queue_ptr 0
		.amdhsa_user_sgpr_kernarg_segment_ptr 1
		.amdhsa_user_sgpr_dispatch_id 0
		.amdhsa_user_sgpr_flat_scratch_init 0
		.amdhsa_user_sgpr_kernarg_preload_length 0
		.amdhsa_user_sgpr_kernarg_preload_offset 0
		.amdhsa_user_sgpr_private_segment_size 0
		.amdhsa_uses_dynamic_stack 0
		.amdhsa_system_sgpr_private_segment_wavefront_offset 0
		.amdhsa_system_sgpr_workgroup_id_x 1
		.amdhsa_system_sgpr_workgroup_id_y 0
		.amdhsa_system_sgpr_workgroup_id_z 0
		.amdhsa_system_sgpr_workgroup_info 0
		.amdhsa_system_vgpr_workitem_id 0
		.amdhsa_next_free_vgpr 11
		.amdhsa_next_free_sgpr 7
		.amdhsa_accum_offset 12
		.amdhsa_reserve_vcc 1
		.amdhsa_reserve_flat_scratch 0
		.amdhsa_float_round_mode_32 0
		.amdhsa_float_round_mode_16_64 0
		.amdhsa_float_denorm_mode_32 3
		.amdhsa_float_denorm_mode_16_64 3
		.amdhsa_dx10_clamp 1
		.amdhsa_ieee_mode 1
		.amdhsa_fp16_overflow 0
		.amdhsa_tg_split 0
		.amdhsa_exception_fp_ieee_invalid_op 0
		.amdhsa_exception_fp_denorm_src 0
		.amdhsa_exception_fp_ieee_div_zero 0
		.amdhsa_exception_fp_ieee_overflow 0
		.amdhsa_exception_fp_ieee_underflow 0
		.amdhsa_exception_fp_ieee_inexact 0
		.amdhsa_exception_int_div_zero 0
	.end_amdhsa_kernel
	.section	.text._Z21inclusive_scan_kernelILj64ELN6hipcub18BlockScanAlgorithmE1EN10test_utils16custom_test_typeIiEEEvPT1_,"axG",@progbits,_Z21inclusive_scan_kernelILj64ELN6hipcub18BlockScanAlgorithmE1EN10test_utils16custom_test_typeIiEEEvPT1_,comdat
.Lfunc_end153:
	.size	_Z21inclusive_scan_kernelILj64ELN6hipcub18BlockScanAlgorithmE1EN10test_utils16custom_test_typeIiEEEvPT1_, .Lfunc_end153-_Z21inclusive_scan_kernelILj64ELN6hipcub18BlockScanAlgorithmE1EN10test_utils16custom_test_typeIiEEEvPT1_
                                        ; -- End function
	.section	.AMDGPU.csdata,"",@progbits
; Kernel info:
; codeLenInByte = 352
; NumSgprs: 11
; NumVgprs: 11
; NumAgprs: 0
; TotalNumVgprs: 11
; ScratchSize: 0
; MemoryBound: 0
; FloatMode: 240
; IeeeMode: 1
; LDSByteSize: 8 bytes/workgroup (compile time only)
; SGPRBlocks: 1
; VGPRBlocks: 1
; NumSGPRsForWavesPerEU: 11
; NumVGPRsForWavesPerEU: 11
; AccumOffset: 12
; Occupancy: 8
; WaveLimiterHint : 0
; COMPUTE_PGM_RSRC2:SCRATCH_EN: 0
; COMPUTE_PGM_RSRC2:USER_SGPR: 6
; COMPUTE_PGM_RSRC2:TRAP_HANDLER: 0
; COMPUTE_PGM_RSRC2:TGID_X_EN: 1
; COMPUTE_PGM_RSRC2:TGID_Y_EN: 0
; COMPUTE_PGM_RSRC2:TGID_Z_EN: 0
; COMPUTE_PGM_RSRC2:TIDIG_COMP_CNT: 0
; COMPUTE_PGM_RSRC3_GFX90A:ACCUM_OFFSET: 2
; COMPUTE_PGM_RSRC3_GFX90A:TG_SPLIT: 0
	.section	.text._Z21inclusive_scan_kernelILj377ELN6hipcub18BlockScanAlgorithmE0EN10test_utils16custom_test_typeIlEEEvPT1_,"axG",@progbits,_Z21inclusive_scan_kernelILj377ELN6hipcub18BlockScanAlgorithmE0EN10test_utils16custom_test_typeIlEEEvPT1_,comdat
	.protected	_Z21inclusive_scan_kernelILj377ELN6hipcub18BlockScanAlgorithmE0EN10test_utils16custom_test_typeIlEEEvPT1_ ; -- Begin function _Z21inclusive_scan_kernelILj377ELN6hipcub18BlockScanAlgorithmE0EN10test_utils16custom_test_typeIlEEEvPT1_
	.globl	_Z21inclusive_scan_kernelILj377ELN6hipcub18BlockScanAlgorithmE0EN10test_utils16custom_test_typeIlEEEvPT1_
	.p2align	8
	.type	_Z21inclusive_scan_kernelILj377ELN6hipcub18BlockScanAlgorithmE0EN10test_utils16custom_test_typeIlEEEvPT1_,@function
_Z21inclusive_scan_kernelILj377ELN6hipcub18BlockScanAlgorithmE0EN10test_utils16custom_test_typeIlEEEvPT1_: ; @_Z21inclusive_scan_kernelILj377ELN6hipcub18BlockScanAlgorithmE0EN10test_utils16custom_test_typeIlEEEvPT1_
; %bb.0:
	s_load_dwordx2 s[0:1], s[4:5], 0x0
	s_mulk_i32 s6, 0x179
	v_add_u32_e32 v2, s6, v0
	v_mov_b32_e32 v3, 0
	v_lshlrev_b64 v[2:3], 4, v[2:3]
	s_waitcnt lgkmcnt(0)
	v_mov_b32_e32 v1, s1
	v_add_co_u32_e32 v10, vcc, s0, v2
	v_addc_co_u32_e32 v11, vcc, v1, v3, vcc
	global_load_dwordx4 v[2:5], v[10:11], off
	v_mbcnt_lo_u32_b32 v1, -1, 0
	v_mbcnt_hi_u32_b32 v1, -1, v1
	v_and_b32_e32 v8, 15, v1
	v_cmp_ne_u32_e32 vcc, 0, v8
	s_waitcnt vmcnt(0)
	v_mov_b32_dpp v12, v2 row_shr:1 row_mask:0xf bank_mask:0xf
	v_mov_b32_dpp v9, v3 row_shr:1 row_mask:0xf bank_mask:0xf
	;; [unrolled: 1-line block ×4, first 2 shown]
	v_mov_b32_e32 v6, v4
	v_mov_b32_e32 v7, v2
	s_and_saveexec_b64 s[0:1], vcc
; %bb.1:
	v_add_co_u32_e32 v6, vcc, v4, v14
	v_addc_co_u32_e32 v5, vcc, 0, v5, vcc
	v_add_co_u32_e32 v4, vcc, 0, v6
	v_addc_co_u32_e32 v5, vcc, v13, v5, vcc
	v_add_co_u32_e32 v7, vcc, v2, v12
	v_addc_co_u32_e32 v3, vcc, 0, v3, vcc
	v_add_co_u32_e32 v2, vcc, 0, v7
	v_addc_co_u32_e32 v3, vcc, v9, v3, vcc
; %bb.2:
	s_or_b64 exec, exec, s[0:1]
	v_mov_b32_dpp v12, v7 row_shr:2 row_mask:0xf bank_mask:0xf
	v_mov_b32_dpp v9, v3 row_shr:2 row_mask:0xf bank_mask:0xf
	v_mov_b32_dpp v14, v6 row_shr:2 row_mask:0xf bank_mask:0xf
	v_mov_b32_dpp v13, v5 row_shr:2 row_mask:0xf bank_mask:0xf
	v_cmp_lt_u32_e32 vcc, 1, v8
	s_and_saveexec_b64 s[0:1], vcc
; %bb.3:
	v_add_co_u32_e32 v6, vcc, v4, v14
	v_addc_co_u32_e32 v5, vcc, 0, v5, vcc
	v_add_co_u32_e32 v4, vcc, 0, v6
	v_addc_co_u32_e32 v5, vcc, v13, v5, vcc
	v_add_co_u32_e32 v7, vcc, v2, v12
	v_addc_co_u32_e32 v3, vcc, 0, v3, vcc
	v_add_co_u32_e32 v2, vcc, 0, v7
	v_addc_co_u32_e32 v3, vcc, v9, v3, vcc
; %bb.4:
	s_or_b64 exec, exec, s[0:1]
	v_mov_b32_dpp v12, v7 row_shr:4 row_mask:0xf bank_mask:0xf
	v_mov_b32_dpp v9, v3 row_shr:4 row_mask:0xf bank_mask:0xf
	v_mov_b32_dpp v14, v6 row_shr:4 row_mask:0xf bank_mask:0xf
	v_mov_b32_dpp v13, v5 row_shr:4 row_mask:0xf bank_mask:0xf
	v_cmp_lt_u32_e32 vcc, 3, v8
	;; [unrolled: 17-line block ×3, first 2 shown]
	s_and_saveexec_b64 s[0:1], vcc
; %bb.7:
	v_add_co_u32_e32 v6, vcc, v4, v14
	v_addc_co_u32_e32 v5, vcc, 0, v5, vcc
	v_add_co_u32_e32 v4, vcc, 0, v6
	v_addc_co_u32_e32 v5, vcc, v13, v5, vcc
	;; [unrolled: 2-line block ×4, first 2 shown]
; %bb.8:
	s_or_b64 exec, exec, s[0:1]
	v_and_b32_e32 v14, 16, v1
	v_mov_b32_dpp v9, v7 row_bcast:15 row_mask:0xf bank_mask:0xf
	v_mov_b32_dpp v8, v3 row_bcast:15 row_mask:0xf bank_mask:0xf
	;; [unrolled: 1-line block ×4, first 2 shown]
	v_cmp_ne_u32_e32 vcc, 0, v14
	s_and_saveexec_b64 s[0:1], vcc
; %bb.9:
	v_add_co_u32_e32 v6, vcc, v4, v13
	v_addc_co_u32_e32 v5, vcc, 0, v5, vcc
	v_add_co_u32_e32 v4, vcc, 0, v6
	v_addc_co_u32_e32 v5, vcc, v12, v5, vcc
	;; [unrolled: 2-line block ×4, first 2 shown]
; %bb.10:
	s_or_b64 exec, exec, s[0:1]
	v_mov_b32_dpp v8, v7 row_bcast:31 row_mask:0xf bank_mask:0xf
	v_mov_b32_dpp v7, v3 row_bcast:31 row_mask:0xf bank_mask:0xf
	v_mov_b32_dpp v9, v6 row_bcast:31 row_mask:0xf bank_mask:0xf
	v_mov_b32_dpp v6, v5 row_bcast:31 row_mask:0xf bank_mask:0xf
	v_cmp_lt_u32_e32 vcc, 31, v1
	s_and_saveexec_b64 s[0:1], vcc
; %bb.11:
	v_add_co_u32_e32 v4, vcc, v4, v9
	v_addc_co_u32_e32 v5, vcc, 0, v5, vcc
	v_add_co_u32_e32 v4, vcc, 0, v4
	v_addc_co_u32_e32 v5, vcc, v5, v6, vcc
	;; [unrolled: 2-line block ×4, first 2 shown]
; %bb.12:
	s_or_b64 exec, exec, s[0:1]
	v_and_b32_e32 v6, 0x1c0, v0
	v_min_u32_e32 v6, 0x139, v6
	v_add_u32_e32 v6, 63, v6
	v_lshrrev_b32_e32 v12, 6, v0
	v_cmp_eq_u32_e32 vcc, v6, v0
	s_and_saveexec_b64 s[0:1], vcc
	s_cbranch_execz .LBB154_14
; %bb.13:
	v_lshlrev_b32_e32 v6, 4, v12
	ds_write2_b64 v6, v[2:3], v[4:5] offset1:1
.LBB154_14:
	s_or_b64 exec, exec, s[0:1]
	v_cmp_gt_u32_e32 vcc, 6, v0
	s_waitcnt lgkmcnt(0)
	s_barrier
	s_and_saveexec_b64 s[0:1], vcc
	s_cbranch_execz .LBB154_22
; %bb.15:
	v_lshlrev_b32_e32 v13, 4, v0
	ds_read2_b64 v[6:9], v13 offset1:1
	v_and_b32_e32 v1, 7, v1
	v_cmp_ne_u32_e32 vcc, 0, v1
	s_waitcnt lgkmcnt(0)
	v_mov_b32_dpp v17, v6 row_shr:1 row_mask:0xf bank_mask:0xf
	v_mov_b32_dpp v16, v7 row_shr:1 row_mask:0xf bank_mask:0xf
	;; [unrolled: 1-line block ×4, first 2 shown]
	v_mov_b32_e32 v14, v8
	v_mov_b32_e32 v15, v6
	s_and_saveexec_b64 s[2:3], vcc
; %bb.16:
	v_add_co_u32_e32 v14, vcc, v8, v19
	v_addc_co_u32_e32 v9, vcc, 0, v9, vcc
	v_add_co_u32_e32 v8, vcc, 0, v14
	v_addc_co_u32_e32 v9, vcc, v18, v9, vcc
	;; [unrolled: 2-line block ×4, first 2 shown]
; %bb.17:
	s_or_b64 exec, exec, s[2:3]
	v_mov_b32_dpp v17, v15 row_shr:2 row_mask:0xf bank_mask:0xf
	v_mov_b32_dpp v16, v7 row_shr:2 row_mask:0xf bank_mask:0xf
	;; [unrolled: 1-line block ×4, first 2 shown]
	v_cmp_lt_u32_e32 vcc, 1, v1
	s_and_saveexec_b64 s[2:3], vcc
; %bb.18:
	v_add_co_u32_e32 v14, vcc, v8, v19
	v_addc_co_u32_e32 v9, vcc, 0, v9, vcc
	v_add_co_u32_e32 v8, vcc, 0, v14
	v_addc_co_u32_e32 v9, vcc, v18, v9, vcc
	;; [unrolled: 2-line block ×4, first 2 shown]
; %bb.19:
	s_or_b64 exec, exec, s[2:3]
	v_mov_b32_dpp v16, v15 row_shr:4 row_mask:0xf bank_mask:0xf
	v_mov_b32_dpp v15, v7 row_shr:4 row_mask:0xf bank_mask:0xf
	;; [unrolled: 1-line block ×4, first 2 shown]
	v_cmp_lt_u32_e32 vcc, 3, v1
	s_and_saveexec_b64 s[2:3], vcc
; %bb.20:
	v_add_co_u32_e32 v1, vcc, v8, v17
	v_addc_co_u32_e32 v9, vcc, 0, v9, vcc
	v_add_co_u32_e32 v8, vcc, 0, v1
	v_addc_co_u32_e32 v9, vcc, v9, v14, vcc
	;; [unrolled: 2-line block ×4, first 2 shown]
; %bb.21:
	s_or_b64 exec, exec, s[2:3]
	ds_write2_b64 v13, v[6:7], v[8:9] offset1:1
.LBB154_22:
	s_or_b64 exec, exec, s[0:1]
	v_cmp_lt_u32_e32 vcc, 63, v0
	s_waitcnt lgkmcnt(0)
	s_barrier
	s_and_saveexec_b64 s[0:1], vcc
	s_cbranch_execz .LBB154_24
; %bb.23:
	v_lshl_add_u32 v0, v12, 4, -16
	ds_read2_b64 v[6:9], v0 offset1:1
	s_waitcnt lgkmcnt(0)
	v_add_co_u32_e32 v2, vcc, v6, v2
	v_addc_co_u32_e32 v3, vcc, v7, v3, vcc
	v_add_co_u32_e32 v4, vcc, v8, v4
	v_addc_co_u32_e32 v5, vcc, v9, v5, vcc
.LBB154_24:
	s_or_b64 exec, exec, s[0:1]
	global_store_dwordx4 v[10:11], v[2:5], off
	s_endpgm
	.section	.rodata,"a",@progbits
	.p2align	6, 0x0
	.amdhsa_kernel _Z21inclusive_scan_kernelILj377ELN6hipcub18BlockScanAlgorithmE0EN10test_utils16custom_test_typeIlEEEvPT1_
		.amdhsa_group_segment_fixed_size 96
		.amdhsa_private_segment_fixed_size 0
		.amdhsa_kernarg_size 8
		.amdhsa_user_sgpr_count 6
		.amdhsa_user_sgpr_private_segment_buffer 1
		.amdhsa_user_sgpr_dispatch_ptr 0
		.amdhsa_user_sgpr_queue_ptr 0
		.amdhsa_user_sgpr_kernarg_segment_ptr 1
		.amdhsa_user_sgpr_dispatch_id 0
		.amdhsa_user_sgpr_flat_scratch_init 0
		.amdhsa_user_sgpr_kernarg_preload_length 0
		.amdhsa_user_sgpr_kernarg_preload_offset 0
		.amdhsa_user_sgpr_private_segment_size 0
		.amdhsa_uses_dynamic_stack 0
		.amdhsa_system_sgpr_private_segment_wavefront_offset 0
		.amdhsa_system_sgpr_workgroup_id_x 1
		.amdhsa_system_sgpr_workgroup_id_y 0
		.amdhsa_system_sgpr_workgroup_id_z 0
		.amdhsa_system_sgpr_workgroup_info 0
		.amdhsa_system_vgpr_workitem_id 0
		.amdhsa_next_free_vgpr 20
		.amdhsa_next_free_sgpr 7
		.amdhsa_accum_offset 20
		.amdhsa_reserve_vcc 1
		.amdhsa_reserve_flat_scratch 0
		.amdhsa_float_round_mode_32 0
		.amdhsa_float_round_mode_16_64 0
		.amdhsa_float_denorm_mode_32 3
		.amdhsa_float_denorm_mode_16_64 3
		.amdhsa_dx10_clamp 1
		.amdhsa_ieee_mode 1
		.amdhsa_fp16_overflow 0
		.amdhsa_tg_split 0
		.amdhsa_exception_fp_ieee_invalid_op 0
		.amdhsa_exception_fp_denorm_src 0
		.amdhsa_exception_fp_ieee_div_zero 0
		.amdhsa_exception_fp_ieee_overflow 0
		.amdhsa_exception_fp_ieee_underflow 0
		.amdhsa_exception_fp_ieee_inexact 0
		.amdhsa_exception_int_div_zero 0
	.end_amdhsa_kernel
	.section	.text._Z21inclusive_scan_kernelILj377ELN6hipcub18BlockScanAlgorithmE0EN10test_utils16custom_test_typeIlEEEvPT1_,"axG",@progbits,_Z21inclusive_scan_kernelILj377ELN6hipcub18BlockScanAlgorithmE0EN10test_utils16custom_test_typeIlEEEvPT1_,comdat
.Lfunc_end154:
	.size	_Z21inclusive_scan_kernelILj377ELN6hipcub18BlockScanAlgorithmE0EN10test_utils16custom_test_typeIlEEEvPT1_, .Lfunc_end154-_Z21inclusive_scan_kernelILj377ELN6hipcub18BlockScanAlgorithmE0EN10test_utils16custom_test_typeIlEEEvPT1_
                                        ; -- End function
	.section	.AMDGPU.csdata,"",@progbits
; Kernel info:
; codeLenInByte = 956
; NumSgprs: 11
; NumVgprs: 20
; NumAgprs: 0
; TotalNumVgprs: 20
; ScratchSize: 0
; MemoryBound: 0
; FloatMode: 240
; IeeeMode: 1
; LDSByteSize: 96 bytes/workgroup (compile time only)
; SGPRBlocks: 1
; VGPRBlocks: 2
; NumSGPRsForWavesPerEU: 11
; NumVGPRsForWavesPerEU: 20
; AccumOffset: 20
; Occupancy: 8
; WaveLimiterHint : 0
; COMPUTE_PGM_RSRC2:SCRATCH_EN: 0
; COMPUTE_PGM_RSRC2:USER_SGPR: 6
; COMPUTE_PGM_RSRC2:TRAP_HANDLER: 0
; COMPUTE_PGM_RSRC2:TGID_X_EN: 1
; COMPUTE_PGM_RSRC2:TGID_Y_EN: 0
; COMPUTE_PGM_RSRC2:TGID_Z_EN: 0
; COMPUTE_PGM_RSRC2:TIDIG_COMP_CNT: 0
; COMPUTE_PGM_RSRC3_GFX90A:ACCUM_OFFSET: 4
; COMPUTE_PGM_RSRC3_GFX90A:TG_SPLIT: 0
	.section	.text._Z21inclusive_scan_kernelILj256ELN6hipcub18BlockScanAlgorithmE0EN10test_utils16custom_test_typeIlEEEvPT1_,"axG",@progbits,_Z21inclusive_scan_kernelILj256ELN6hipcub18BlockScanAlgorithmE0EN10test_utils16custom_test_typeIlEEEvPT1_,comdat
	.protected	_Z21inclusive_scan_kernelILj256ELN6hipcub18BlockScanAlgorithmE0EN10test_utils16custom_test_typeIlEEEvPT1_ ; -- Begin function _Z21inclusive_scan_kernelILj256ELN6hipcub18BlockScanAlgorithmE0EN10test_utils16custom_test_typeIlEEEvPT1_
	.globl	_Z21inclusive_scan_kernelILj256ELN6hipcub18BlockScanAlgorithmE0EN10test_utils16custom_test_typeIlEEEvPT1_
	.p2align	8
	.type	_Z21inclusive_scan_kernelILj256ELN6hipcub18BlockScanAlgorithmE0EN10test_utils16custom_test_typeIlEEEvPT1_,@function
_Z21inclusive_scan_kernelILj256ELN6hipcub18BlockScanAlgorithmE0EN10test_utils16custom_test_typeIlEEEvPT1_: ; @_Z21inclusive_scan_kernelILj256ELN6hipcub18BlockScanAlgorithmE0EN10test_utils16custom_test_typeIlEEEvPT1_
; %bb.0:
	s_load_dwordx2 s[0:1], s[4:5], 0x0
	v_lshl_or_b32 v2, s6, 8, v0
	v_mov_b32_e32 v3, 0
	v_lshlrev_b64 v[2:3], 4, v[2:3]
	s_waitcnt lgkmcnt(0)
	v_mov_b32_e32 v1, s1
	v_add_co_u32_e32 v10, vcc, s0, v2
	v_addc_co_u32_e32 v11, vcc, v1, v3, vcc
	global_load_dwordx4 v[2:5], v[10:11], off
	v_mbcnt_lo_u32_b32 v1, -1, 0
	v_mbcnt_hi_u32_b32 v1, -1, v1
	v_and_b32_e32 v8, 15, v1
	v_cmp_ne_u32_e32 vcc, 0, v8
	s_waitcnt vmcnt(0)
	v_mov_b32_dpp v12, v2 row_shr:1 row_mask:0xf bank_mask:0xf
	v_mov_b32_dpp v9, v3 row_shr:1 row_mask:0xf bank_mask:0xf
	;; [unrolled: 1-line block ×4, first 2 shown]
	v_mov_b32_e32 v6, v4
	v_mov_b32_e32 v7, v2
	s_and_saveexec_b64 s[0:1], vcc
; %bb.1:
	v_add_co_u32_e32 v6, vcc, v4, v14
	v_addc_co_u32_e32 v5, vcc, 0, v5, vcc
	v_add_co_u32_e32 v4, vcc, 0, v6
	v_addc_co_u32_e32 v5, vcc, v13, v5, vcc
	v_add_co_u32_e32 v7, vcc, v2, v12
	v_addc_co_u32_e32 v3, vcc, 0, v3, vcc
	v_add_co_u32_e32 v2, vcc, 0, v7
	v_addc_co_u32_e32 v3, vcc, v9, v3, vcc
; %bb.2:
	s_or_b64 exec, exec, s[0:1]
	v_mov_b32_dpp v12, v7 row_shr:2 row_mask:0xf bank_mask:0xf
	v_mov_b32_dpp v9, v3 row_shr:2 row_mask:0xf bank_mask:0xf
	v_mov_b32_dpp v14, v6 row_shr:2 row_mask:0xf bank_mask:0xf
	v_mov_b32_dpp v13, v5 row_shr:2 row_mask:0xf bank_mask:0xf
	v_cmp_lt_u32_e32 vcc, 1, v8
	s_and_saveexec_b64 s[0:1], vcc
; %bb.3:
	v_add_co_u32_e32 v6, vcc, v4, v14
	v_addc_co_u32_e32 v5, vcc, 0, v5, vcc
	v_add_co_u32_e32 v4, vcc, 0, v6
	v_addc_co_u32_e32 v5, vcc, v13, v5, vcc
	v_add_co_u32_e32 v7, vcc, v2, v12
	v_addc_co_u32_e32 v3, vcc, 0, v3, vcc
	v_add_co_u32_e32 v2, vcc, 0, v7
	v_addc_co_u32_e32 v3, vcc, v9, v3, vcc
; %bb.4:
	s_or_b64 exec, exec, s[0:1]
	v_mov_b32_dpp v12, v7 row_shr:4 row_mask:0xf bank_mask:0xf
	v_mov_b32_dpp v9, v3 row_shr:4 row_mask:0xf bank_mask:0xf
	v_mov_b32_dpp v14, v6 row_shr:4 row_mask:0xf bank_mask:0xf
	v_mov_b32_dpp v13, v5 row_shr:4 row_mask:0xf bank_mask:0xf
	v_cmp_lt_u32_e32 vcc, 3, v8
	;; [unrolled: 17-line block ×3, first 2 shown]
	s_and_saveexec_b64 s[0:1], vcc
; %bb.7:
	v_add_co_u32_e32 v6, vcc, v4, v14
	v_addc_co_u32_e32 v5, vcc, 0, v5, vcc
	v_add_co_u32_e32 v4, vcc, 0, v6
	v_addc_co_u32_e32 v5, vcc, v13, v5, vcc
	;; [unrolled: 2-line block ×4, first 2 shown]
; %bb.8:
	s_or_b64 exec, exec, s[0:1]
	v_and_b32_e32 v14, 16, v1
	v_mov_b32_dpp v9, v7 row_bcast:15 row_mask:0xf bank_mask:0xf
	v_mov_b32_dpp v8, v3 row_bcast:15 row_mask:0xf bank_mask:0xf
	;; [unrolled: 1-line block ×4, first 2 shown]
	v_cmp_ne_u32_e32 vcc, 0, v14
	s_and_saveexec_b64 s[0:1], vcc
; %bb.9:
	v_add_co_u32_e32 v6, vcc, v4, v13
	v_addc_co_u32_e32 v5, vcc, 0, v5, vcc
	v_add_co_u32_e32 v4, vcc, 0, v6
	v_addc_co_u32_e32 v5, vcc, v12, v5, vcc
	;; [unrolled: 2-line block ×4, first 2 shown]
; %bb.10:
	s_or_b64 exec, exec, s[0:1]
	v_mov_b32_dpp v8, v7 row_bcast:31 row_mask:0xf bank_mask:0xf
	v_mov_b32_dpp v7, v3 row_bcast:31 row_mask:0xf bank_mask:0xf
	;; [unrolled: 1-line block ×4, first 2 shown]
	v_cmp_lt_u32_e32 vcc, 31, v1
	s_and_saveexec_b64 s[0:1], vcc
; %bb.11:
	v_add_co_u32_e32 v4, vcc, v4, v9
	v_addc_co_u32_e32 v5, vcc, 0, v5, vcc
	v_add_co_u32_e32 v4, vcc, 0, v4
	v_addc_co_u32_e32 v5, vcc, v5, v6, vcc
	;; [unrolled: 2-line block ×4, first 2 shown]
; %bb.12:
	s_or_b64 exec, exec, s[0:1]
	v_or_b32_e32 v6, 63, v0
	v_lshrrev_b32_e32 v12, 6, v0
	v_cmp_eq_u32_e32 vcc, v6, v0
	s_and_saveexec_b64 s[0:1], vcc
	s_cbranch_execz .LBB155_14
; %bb.13:
	v_lshlrev_b32_e32 v6, 4, v12
	ds_write2_b64 v6, v[2:3], v[4:5] offset1:1
.LBB155_14:
	s_or_b64 exec, exec, s[0:1]
	v_cmp_gt_u32_e32 vcc, 4, v0
	s_waitcnt lgkmcnt(0)
	s_barrier
	s_and_saveexec_b64 s[0:1], vcc
	s_cbranch_execz .LBB155_20
; %bb.15:
	v_lshlrev_b32_e32 v13, 4, v0
	ds_read2_b64 v[6:9], v13 offset1:1
	v_and_b32_e32 v1, 3, v1
	v_cmp_ne_u32_e32 vcc, 0, v1
	s_waitcnt lgkmcnt(0)
	v_mov_b32_dpp v17, v6 row_shr:1 row_mask:0xf bank_mask:0xf
	v_mov_b32_dpp v16, v7 row_shr:1 row_mask:0xf bank_mask:0xf
	;; [unrolled: 1-line block ×4, first 2 shown]
	v_mov_b32_e32 v14, v8
	v_mov_b32_e32 v15, v6
	s_and_saveexec_b64 s[2:3], vcc
; %bb.16:
	v_add_co_u32_e32 v14, vcc, v8, v19
	v_addc_co_u32_e32 v9, vcc, 0, v9, vcc
	v_add_co_u32_e32 v8, vcc, 0, v14
	v_addc_co_u32_e32 v9, vcc, v18, v9, vcc
	;; [unrolled: 2-line block ×4, first 2 shown]
; %bb.17:
	s_or_b64 exec, exec, s[2:3]
	v_mov_b32_dpp v16, v15 row_shr:2 row_mask:0xf bank_mask:0xf
	v_mov_b32_dpp v15, v7 row_shr:2 row_mask:0xf bank_mask:0xf
	;; [unrolled: 1-line block ×4, first 2 shown]
	v_cmp_lt_u32_e32 vcc, 1, v1
	s_and_saveexec_b64 s[2:3], vcc
; %bb.18:
	v_add_co_u32_e32 v1, vcc, v8, v17
	v_addc_co_u32_e32 v9, vcc, 0, v9, vcc
	v_add_co_u32_e32 v8, vcc, 0, v1
	v_addc_co_u32_e32 v9, vcc, v9, v14, vcc
	;; [unrolled: 2-line block ×4, first 2 shown]
; %bb.19:
	s_or_b64 exec, exec, s[2:3]
	ds_write2_b64 v13, v[6:7], v[8:9] offset1:1
.LBB155_20:
	s_or_b64 exec, exec, s[0:1]
	v_cmp_lt_u32_e32 vcc, 63, v0
	s_waitcnt lgkmcnt(0)
	s_barrier
	s_and_saveexec_b64 s[0:1], vcc
	s_cbranch_execz .LBB155_22
; %bb.21:
	v_lshl_add_u32 v0, v12, 4, -16
	ds_read2_b64 v[6:9], v0 offset1:1
	s_waitcnt lgkmcnt(0)
	v_add_co_u32_e32 v2, vcc, v6, v2
	v_addc_co_u32_e32 v3, vcc, v7, v3, vcc
	v_add_co_u32_e32 v4, vcc, v8, v4
	v_addc_co_u32_e32 v5, vcc, v9, v5, vcc
.LBB155_22:
	s_or_b64 exec, exec, s[0:1]
	global_store_dwordx4 v[10:11], v[2:5], off
	s_endpgm
	.section	.rodata,"a",@progbits
	.p2align	6, 0x0
	.amdhsa_kernel _Z21inclusive_scan_kernelILj256ELN6hipcub18BlockScanAlgorithmE0EN10test_utils16custom_test_typeIlEEEvPT1_
		.amdhsa_group_segment_fixed_size 64
		.amdhsa_private_segment_fixed_size 0
		.amdhsa_kernarg_size 8
		.amdhsa_user_sgpr_count 6
		.amdhsa_user_sgpr_private_segment_buffer 1
		.amdhsa_user_sgpr_dispatch_ptr 0
		.amdhsa_user_sgpr_queue_ptr 0
		.amdhsa_user_sgpr_kernarg_segment_ptr 1
		.amdhsa_user_sgpr_dispatch_id 0
		.amdhsa_user_sgpr_flat_scratch_init 0
		.amdhsa_user_sgpr_kernarg_preload_length 0
		.amdhsa_user_sgpr_kernarg_preload_offset 0
		.amdhsa_user_sgpr_private_segment_size 0
		.amdhsa_uses_dynamic_stack 0
		.amdhsa_system_sgpr_private_segment_wavefront_offset 0
		.amdhsa_system_sgpr_workgroup_id_x 1
		.amdhsa_system_sgpr_workgroup_id_y 0
		.amdhsa_system_sgpr_workgroup_id_z 0
		.amdhsa_system_sgpr_workgroup_info 0
		.amdhsa_system_vgpr_workitem_id 0
		.amdhsa_next_free_vgpr 20
		.amdhsa_next_free_sgpr 7
		.amdhsa_accum_offset 20
		.amdhsa_reserve_vcc 1
		.amdhsa_reserve_flat_scratch 0
		.amdhsa_float_round_mode_32 0
		.amdhsa_float_round_mode_16_64 0
		.amdhsa_float_denorm_mode_32 3
		.amdhsa_float_denorm_mode_16_64 3
		.amdhsa_dx10_clamp 1
		.amdhsa_ieee_mode 1
		.amdhsa_fp16_overflow 0
		.amdhsa_tg_split 0
		.amdhsa_exception_fp_ieee_invalid_op 0
		.amdhsa_exception_fp_denorm_src 0
		.amdhsa_exception_fp_ieee_div_zero 0
		.amdhsa_exception_fp_ieee_overflow 0
		.amdhsa_exception_fp_ieee_underflow 0
		.amdhsa_exception_fp_ieee_inexact 0
		.amdhsa_exception_int_div_zero 0
	.end_amdhsa_kernel
	.section	.text._Z21inclusive_scan_kernelILj256ELN6hipcub18BlockScanAlgorithmE0EN10test_utils16custom_test_typeIlEEEvPT1_,"axG",@progbits,_Z21inclusive_scan_kernelILj256ELN6hipcub18BlockScanAlgorithmE0EN10test_utils16custom_test_typeIlEEEvPT1_,comdat
.Lfunc_end155:
	.size	_Z21inclusive_scan_kernelILj256ELN6hipcub18BlockScanAlgorithmE0EN10test_utils16custom_test_typeIlEEEvPT1_, .Lfunc_end155-_Z21inclusive_scan_kernelILj256ELN6hipcub18BlockScanAlgorithmE0EN10test_utils16custom_test_typeIlEEEvPT1_
                                        ; -- End function
	.section	.AMDGPU.csdata,"",@progbits
; Kernel info:
; codeLenInByte = 864
; NumSgprs: 11
; NumVgprs: 20
; NumAgprs: 0
; TotalNumVgprs: 20
; ScratchSize: 0
; MemoryBound: 0
; FloatMode: 240
; IeeeMode: 1
; LDSByteSize: 64 bytes/workgroup (compile time only)
; SGPRBlocks: 1
; VGPRBlocks: 2
; NumSGPRsForWavesPerEU: 11
; NumVGPRsForWavesPerEU: 20
; AccumOffset: 20
; Occupancy: 8
; WaveLimiterHint : 0
; COMPUTE_PGM_RSRC2:SCRATCH_EN: 0
; COMPUTE_PGM_RSRC2:USER_SGPR: 6
; COMPUTE_PGM_RSRC2:TRAP_HANDLER: 0
; COMPUTE_PGM_RSRC2:TGID_X_EN: 1
; COMPUTE_PGM_RSRC2:TGID_Y_EN: 0
; COMPUTE_PGM_RSRC2:TGID_Z_EN: 0
; COMPUTE_PGM_RSRC2:TIDIG_COMP_CNT: 0
; COMPUTE_PGM_RSRC3_GFX90A:ACCUM_OFFSET: 4
; COMPUTE_PGM_RSRC3_GFX90A:TG_SPLIT: 0
	.section	.text._Z21inclusive_scan_kernelILj64ELN6hipcub18BlockScanAlgorithmE0EN10test_utils16custom_test_typeIlEEEvPT1_,"axG",@progbits,_Z21inclusive_scan_kernelILj64ELN6hipcub18BlockScanAlgorithmE0EN10test_utils16custom_test_typeIlEEEvPT1_,comdat
	.protected	_Z21inclusive_scan_kernelILj64ELN6hipcub18BlockScanAlgorithmE0EN10test_utils16custom_test_typeIlEEEvPT1_ ; -- Begin function _Z21inclusive_scan_kernelILj64ELN6hipcub18BlockScanAlgorithmE0EN10test_utils16custom_test_typeIlEEEvPT1_
	.globl	_Z21inclusive_scan_kernelILj64ELN6hipcub18BlockScanAlgorithmE0EN10test_utils16custom_test_typeIlEEEvPT1_
	.p2align	8
	.type	_Z21inclusive_scan_kernelILj64ELN6hipcub18BlockScanAlgorithmE0EN10test_utils16custom_test_typeIlEEEvPT1_,@function
_Z21inclusive_scan_kernelILj64ELN6hipcub18BlockScanAlgorithmE0EN10test_utils16custom_test_typeIlEEEvPT1_: ; @_Z21inclusive_scan_kernelILj64ELN6hipcub18BlockScanAlgorithmE0EN10test_utils16custom_test_typeIlEEEvPT1_
; %bb.0:
	s_load_dwordx2 s[0:1], s[4:5], 0x0
	v_lshl_or_b32 v2, s6, 6, v0
	v_mov_b32_e32 v3, 0
	v_lshlrev_b64 v[2:3], 4, v[2:3]
	s_waitcnt lgkmcnt(0)
	v_mov_b32_e32 v1, s1
	v_add_co_u32_e32 v6, vcc, s0, v2
	v_addc_co_u32_e32 v7, vcc, v1, v3, vcc
	global_load_dwordx4 v[2:5], v[6:7], off
	v_mbcnt_lo_u32_b32 v1, -1, 0
	v_mbcnt_hi_u32_b32 v1, -1, v1
	v_and_b32_e32 v10, 15, v1
	v_cmp_ne_u32_e32 vcc, 0, v10
	s_waitcnt vmcnt(0)
	v_mov_b32_dpp v12, v2 row_shr:1 row_mask:0xf bank_mask:0xf
	v_mov_b32_dpp v11, v3 row_shr:1 row_mask:0xf bank_mask:0xf
	;; [unrolled: 1-line block ×4, first 2 shown]
	v_mov_b32_e32 v8, v4
	v_mov_b32_e32 v9, v2
	s_and_saveexec_b64 s[0:1], vcc
; %bb.1:
	v_add_co_u32_e32 v8, vcc, v4, v14
	v_addc_co_u32_e32 v5, vcc, 0, v5, vcc
	v_add_co_u32_e32 v4, vcc, 0, v8
	v_addc_co_u32_e32 v5, vcc, v13, v5, vcc
	v_add_co_u32_e32 v9, vcc, v2, v12
	v_addc_co_u32_e32 v3, vcc, 0, v3, vcc
	v_add_co_u32_e32 v2, vcc, 0, v9
	v_addc_co_u32_e32 v3, vcc, v11, v3, vcc
; %bb.2:
	s_or_b64 exec, exec, s[0:1]
	v_mov_b32_dpp v12, v9 row_shr:2 row_mask:0xf bank_mask:0xf
	v_mov_b32_dpp v11, v3 row_shr:2 row_mask:0xf bank_mask:0xf
	v_mov_b32_dpp v14, v8 row_shr:2 row_mask:0xf bank_mask:0xf
	v_mov_b32_dpp v13, v5 row_shr:2 row_mask:0xf bank_mask:0xf
	v_cmp_lt_u32_e32 vcc, 1, v10
	s_and_saveexec_b64 s[0:1], vcc
; %bb.3:
	v_add_co_u32_e32 v8, vcc, v4, v14
	v_addc_co_u32_e32 v5, vcc, 0, v5, vcc
	v_add_co_u32_e32 v4, vcc, 0, v8
	v_addc_co_u32_e32 v5, vcc, v13, v5, vcc
	v_add_co_u32_e32 v9, vcc, v2, v12
	v_addc_co_u32_e32 v3, vcc, 0, v3, vcc
	v_add_co_u32_e32 v2, vcc, 0, v9
	v_addc_co_u32_e32 v3, vcc, v11, v3, vcc
; %bb.4:
	s_or_b64 exec, exec, s[0:1]
	v_mov_b32_dpp v12, v9 row_shr:4 row_mask:0xf bank_mask:0xf
	v_mov_b32_dpp v11, v3 row_shr:4 row_mask:0xf bank_mask:0xf
	v_mov_b32_dpp v14, v8 row_shr:4 row_mask:0xf bank_mask:0xf
	v_mov_b32_dpp v13, v5 row_shr:4 row_mask:0xf bank_mask:0xf
	v_cmp_lt_u32_e32 vcc, 3, v10
	;; [unrolled: 17-line block ×3, first 2 shown]
	s_and_saveexec_b64 s[0:1], vcc
; %bb.7:
	v_add_co_u32_e32 v8, vcc, v4, v14
	v_addc_co_u32_e32 v5, vcc, 0, v5, vcc
	v_add_co_u32_e32 v4, vcc, 0, v8
	v_addc_co_u32_e32 v5, vcc, v13, v5, vcc
	;; [unrolled: 2-line block ×4, first 2 shown]
; %bb.8:
	s_or_b64 exec, exec, s[0:1]
	v_and_b32_e32 v14, 16, v1
	v_mov_b32_dpp v11, v9 row_bcast:15 row_mask:0xf bank_mask:0xf
	v_mov_b32_dpp v10, v3 row_bcast:15 row_mask:0xf bank_mask:0xf
	;; [unrolled: 1-line block ×4, first 2 shown]
	v_cmp_ne_u32_e32 vcc, 0, v14
	s_and_saveexec_b64 s[0:1], vcc
; %bb.9:
	v_add_co_u32_e32 v8, vcc, v4, v13
	v_addc_co_u32_e32 v5, vcc, 0, v5, vcc
	v_add_co_u32_e32 v4, vcc, 0, v8
	v_addc_co_u32_e32 v5, vcc, v12, v5, vcc
	;; [unrolled: 2-line block ×4, first 2 shown]
; %bb.10:
	s_or_b64 exec, exec, s[0:1]
	v_mov_b32_dpp v10, v9 row_bcast:31 row_mask:0xf bank_mask:0xf
	v_mov_b32_dpp v9, v3 row_bcast:31 row_mask:0xf bank_mask:0xf
	;; [unrolled: 1-line block ×4, first 2 shown]
	v_cmp_lt_u32_e32 vcc, 31, v1
	s_and_saveexec_b64 s[0:1], vcc
; %bb.11:
	v_add_co_u32_e32 v1, vcc, v4, v11
	v_addc_co_u32_e32 v5, vcc, 0, v5, vcc
	v_add_co_u32_e32 v4, vcc, 0, v1
	v_addc_co_u32_e32 v5, vcc, v5, v8, vcc
	;; [unrolled: 2-line block ×4, first 2 shown]
; %bb.12:
	s_or_b64 exec, exec, s[0:1]
	v_cmp_eq_u32_e32 vcc, 63, v0
	s_and_saveexec_b64 s[0:1], vcc
	s_cbranch_execz .LBB156_14
; %bb.13:
	v_mov_b32_e32 v0, 0
	ds_write_b128 v0, v[2:5]
.LBB156_14:
	s_or_b64 exec, exec, s[0:1]
	s_waitcnt lgkmcnt(0)
	; wave barrier
	s_waitcnt lgkmcnt(0)
	global_store_dwordx4 v[6:7], v[2:5], off
	s_endpgm
	.section	.rodata,"a",@progbits
	.p2align	6, 0x0
	.amdhsa_kernel _Z21inclusive_scan_kernelILj64ELN6hipcub18BlockScanAlgorithmE0EN10test_utils16custom_test_typeIlEEEvPT1_
		.amdhsa_group_segment_fixed_size 16
		.amdhsa_private_segment_fixed_size 0
		.amdhsa_kernarg_size 8
		.amdhsa_user_sgpr_count 6
		.amdhsa_user_sgpr_private_segment_buffer 1
		.amdhsa_user_sgpr_dispatch_ptr 0
		.amdhsa_user_sgpr_queue_ptr 0
		.amdhsa_user_sgpr_kernarg_segment_ptr 1
		.amdhsa_user_sgpr_dispatch_id 0
		.amdhsa_user_sgpr_flat_scratch_init 0
		.amdhsa_user_sgpr_kernarg_preload_length 0
		.amdhsa_user_sgpr_kernarg_preload_offset 0
		.amdhsa_user_sgpr_private_segment_size 0
		.amdhsa_uses_dynamic_stack 0
		.amdhsa_system_sgpr_private_segment_wavefront_offset 0
		.amdhsa_system_sgpr_workgroup_id_x 1
		.amdhsa_system_sgpr_workgroup_id_y 0
		.amdhsa_system_sgpr_workgroup_id_z 0
		.amdhsa_system_sgpr_workgroup_info 0
		.amdhsa_system_vgpr_workitem_id 0
		.amdhsa_next_free_vgpr 15
		.amdhsa_next_free_sgpr 7
		.amdhsa_accum_offset 16
		.amdhsa_reserve_vcc 1
		.amdhsa_reserve_flat_scratch 0
		.amdhsa_float_round_mode_32 0
		.amdhsa_float_round_mode_16_64 0
		.amdhsa_float_denorm_mode_32 3
		.amdhsa_float_denorm_mode_16_64 3
		.amdhsa_dx10_clamp 1
		.amdhsa_ieee_mode 1
		.amdhsa_fp16_overflow 0
		.amdhsa_tg_split 0
		.amdhsa_exception_fp_ieee_invalid_op 0
		.amdhsa_exception_fp_denorm_src 0
		.amdhsa_exception_fp_ieee_div_zero 0
		.amdhsa_exception_fp_ieee_overflow 0
		.amdhsa_exception_fp_ieee_underflow 0
		.amdhsa_exception_fp_ieee_inexact 0
		.amdhsa_exception_int_div_zero 0
	.end_amdhsa_kernel
	.section	.text._Z21inclusive_scan_kernelILj64ELN6hipcub18BlockScanAlgorithmE0EN10test_utils16custom_test_typeIlEEEvPT1_,"axG",@progbits,_Z21inclusive_scan_kernelILj64ELN6hipcub18BlockScanAlgorithmE0EN10test_utils16custom_test_typeIlEEEvPT1_,comdat
.Lfunc_end156:
	.size	_Z21inclusive_scan_kernelILj64ELN6hipcub18BlockScanAlgorithmE0EN10test_utils16custom_test_typeIlEEEvPT1_, .Lfunc_end156-_Z21inclusive_scan_kernelILj64ELN6hipcub18BlockScanAlgorithmE0EN10test_utils16custom_test_typeIlEEEvPT1_
                                        ; -- End function
	.section	.AMDGPU.csdata,"",@progbits
; Kernel info:
; codeLenInByte = 592
; NumSgprs: 11
; NumVgprs: 15
; NumAgprs: 0
; TotalNumVgprs: 15
; ScratchSize: 0
; MemoryBound: 0
; FloatMode: 240
; IeeeMode: 1
; LDSByteSize: 16 bytes/workgroup (compile time only)
; SGPRBlocks: 1
; VGPRBlocks: 1
; NumSGPRsForWavesPerEU: 11
; NumVGPRsForWavesPerEU: 15
; AccumOffset: 16
; Occupancy: 8
; WaveLimiterHint : 0
; COMPUTE_PGM_RSRC2:SCRATCH_EN: 0
; COMPUTE_PGM_RSRC2:USER_SGPR: 6
; COMPUTE_PGM_RSRC2:TRAP_HANDLER: 0
; COMPUTE_PGM_RSRC2:TGID_X_EN: 1
; COMPUTE_PGM_RSRC2:TGID_Y_EN: 0
; COMPUTE_PGM_RSRC2:TGID_Z_EN: 0
; COMPUTE_PGM_RSRC2:TIDIG_COMP_CNT: 0
; COMPUTE_PGM_RSRC3_GFX90A:ACCUM_OFFSET: 3
; COMPUTE_PGM_RSRC3_GFX90A:TG_SPLIT: 0
	.section	.text._Z21inclusive_scan_kernelILj377ELN6hipcub18BlockScanAlgorithmE0EN10test_utils16custom_test_typeIjEEEvPT1_,"axG",@progbits,_Z21inclusive_scan_kernelILj377ELN6hipcub18BlockScanAlgorithmE0EN10test_utils16custom_test_typeIjEEEvPT1_,comdat
	.protected	_Z21inclusive_scan_kernelILj377ELN6hipcub18BlockScanAlgorithmE0EN10test_utils16custom_test_typeIjEEEvPT1_ ; -- Begin function _Z21inclusive_scan_kernelILj377ELN6hipcub18BlockScanAlgorithmE0EN10test_utils16custom_test_typeIjEEEvPT1_
	.globl	_Z21inclusive_scan_kernelILj377ELN6hipcub18BlockScanAlgorithmE0EN10test_utils16custom_test_typeIjEEEvPT1_
	.p2align	8
	.type	_Z21inclusive_scan_kernelILj377ELN6hipcub18BlockScanAlgorithmE0EN10test_utils16custom_test_typeIjEEEvPT1_,@function
_Z21inclusive_scan_kernelILj377ELN6hipcub18BlockScanAlgorithmE0EN10test_utils16custom_test_typeIjEEEvPT1_: ; @_Z21inclusive_scan_kernelILj377ELN6hipcub18BlockScanAlgorithmE0EN10test_utils16custom_test_typeIjEEEvPT1_
; %bb.0:
	s_load_dwordx2 s[0:1], s[4:5], 0x0
	s_mulk_i32 s6, 0x179
	v_add_u32_e32 v2, s6, v0
	v_mov_b32_e32 v3, 0
	v_lshlrev_b64 v[2:3], 3, v[2:3]
	s_waitcnt lgkmcnt(0)
	v_mov_b32_e32 v1, s1
	v_add_co_u32_e32 v2, vcc, s0, v2
	v_addc_co_u32_e32 v3, vcc, v1, v3, vcc
	global_load_dwordx2 v[4:5], v[2:3], off
	v_mbcnt_lo_u32_b32 v1, -1, 0
	v_mbcnt_hi_u32_b32 v1, -1, v1
	v_and_b32_e32 v8, 15, v1
	v_cmp_eq_u32_e32 vcc, 0, v8
	v_bfe_i32 v9, v1, 4, 1
	v_and_b32_e32 v7, 0x1c0, v0
	v_min_u32_e32 v7, 0x139, v7
	v_add_u32_e32 v7, 63, v7
	v_lshrrev_b32_e32 v6, 6, v0
	s_waitcnt vmcnt(0)
	v_mov_b32_dpp v10, v4 row_shr:1 row_mask:0xf bank_mask:0xf
	v_mov_b32_dpp v11, v5 row_shr:1 row_mask:0xf bank_mask:0xf
	v_cndmask_b32_e64 v10, v10, 0, vcc
	v_cndmask_b32_e64 v11, v11, 0, vcc
	v_add_u32_e32 v4, v10, v4
	v_add_u32_e32 v5, v11, v5
	v_cmp_lt_u32_e32 vcc, 1, v8
	v_mov_b32_dpp v10, v4 row_shr:2 row_mask:0xf bank_mask:0xf
	v_mov_b32_dpp v11, v5 row_shr:2 row_mask:0xf bank_mask:0xf
	v_cndmask_b32_e32 v11, 0, v11, vcc
	v_cndmask_b32_e32 v10, 0, v10, vcc
	v_add_u32_e32 v5, v5, v11
	v_add_u32_e32 v4, v4, v10
	v_cmp_lt_u32_e32 vcc, 3, v8
	v_mov_b32_dpp v11, v5 row_shr:4 row_mask:0xf bank_mask:0xf
	v_mov_b32_dpp v10, v4 row_shr:4 row_mask:0xf bank_mask:0xf
	v_cndmask_b32_e32 v11, 0, v11, vcc
	v_cndmask_b32_e32 v10, 0, v10, vcc
	;; [unrolled: 7-line block ×3, first 2 shown]
	v_add_u32_e32 v5, v5, v8
	v_add_u32_e32 v4, v4, v10
	v_cmp_lt_u32_e32 vcc, 31, v1
	v_mov_b32_dpp v10, v5 row_bcast:15 row_mask:0xf bank_mask:0xf
	v_mov_b32_dpp v8, v4 row_bcast:15 row_mask:0xf bank_mask:0xf
	v_and_b32_e32 v8, v9, v8
	v_and_b32_e32 v9, v9, v10
	v_add_u32_e32 v4, v4, v8
	v_add_u32_e32 v5, v5, v9
	s_nop 0
	v_mov_b32_dpp v8, v4 row_bcast:31 row_mask:0xf bank_mask:0xf
	v_mov_b32_dpp v9, v5 row_bcast:31 row_mask:0xf bank_mask:0xf
	v_cndmask_b32_e32 v8, 0, v8, vcc
	v_cndmask_b32_e32 v9, 0, v9, vcc
	v_add_u32_e32 v4, v4, v8
	v_add_u32_e32 v5, v5, v9
	v_cmp_eq_u32_e32 vcc, v7, v0
	s_and_saveexec_b64 s[0:1], vcc
	s_cbranch_execz .LBB157_2
; %bb.1:
	v_lshlrev_b32_e32 v7, 3, v6
	ds_write2_b32 v7, v4, v5 offset1:1
.LBB157_2:
	s_or_b64 exec, exec, s[0:1]
	v_cmp_gt_u32_e32 vcc, 6, v0
	s_waitcnt lgkmcnt(0)
	s_barrier
	s_and_saveexec_b64 s[0:1], vcc
	s_cbranch_execz .LBB157_4
; %bb.3:
	v_lshlrev_b32_e32 v7, 3, v0
	ds_read2_b32 v[8:9], v7 offset1:1
	v_and_b32_e32 v1, 7, v1
	v_cmp_eq_u32_e32 vcc, 0, v1
	s_waitcnt lgkmcnt(0)
	v_mov_b32_dpp v10, v8 row_shr:1 row_mask:0xf bank_mask:0xf
	v_mov_b32_dpp v11, v9 row_shr:1 row_mask:0xf bank_mask:0xf
	v_cndmask_b32_e64 v10, v10, 0, vcc
	v_cndmask_b32_e64 v11, v11, 0, vcc
	v_add_u32_e32 v8, v10, v8
	v_add_u32_e32 v9, v11, v9
	v_cmp_lt_u32_e32 vcc, 1, v1
	v_mov_b32_dpp v10, v8 row_shr:2 row_mask:0xf bank_mask:0xf
	v_mov_b32_dpp v11, v9 row_shr:2 row_mask:0xf bank_mask:0xf
	v_cndmask_b32_e32 v10, 0, v10, vcc
	v_cndmask_b32_e32 v11, 0, v11, vcc
	v_add_u32_e32 v8, v10, v8
	v_add_u32_e32 v9, v11, v9
	v_cmp_lt_u32_e32 vcc, 3, v1
	v_mov_b32_dpp v10, v8 row_shr:4 row_mask:0xf bank_mask:0xf
	v_mov_b32_dpp v11, v9 row_shr:4 row_mask:0xf bank_mask:0xf
	v_cndmask_b32_e32 v1, 0, v10, vcc
	v_add_u32_e32 v1, v1, v8
	v_cndmask_b32_e32 v8, 0, v11, vcc
	v_add_u32_e32 v8, v8, v9
	ds_write2_b32 v7, v1, v8 offset1:1
.LBB157_4:
	s_or_b64 exec, exec, s[0:1]
	v_cmp_lt_u32_e32 vcc, 63, v0
	s_waitcnt lgkmcnt(0)
	s_barrier
	s_and_saveexec_b64 s[0:1], vcc
	s_cbranch_execz .LBB157_6
; %bb.5:
	v_lshl_add_u32 v0, v6, 3, -8
	ds_read2_b32 v[0:1], v0 offset1:1
	s_waitcnt lgkmcnt(0)
	v_add_u32_e32 v4, v4, v0
	v_add_u32_e32 v5, v5, v1
.LBB157_6:
	s_or_b64 exec, exec, s[0:1]
	global_store_dwordx2 v[2:3], v[4:5], off
	s_endpgm
	.section	.rodata,"a",@progbits
	.p2align	6, 0x0
	.amdhsa_kernel _Z21inclusive_scan_kernelILj377ELN6hipcub18BlockScanAlgorithmE0EN10test_utils16custom_test_typeIjEEEvPT1_
		.amdhsa_group_segment_fixed_size 48
		.amdhsa_private_segment_fixed_size 0
		.amdhsa_kernarg_size 8
		.amdhsa_user_sgpr_count 6
		.amdhsa_user_sgpr_private_segment_buffer 1
		.amdhsa_user_sgpr_dispatch_ptr 0
		.amdhsa_user_sgpr_queue_ptr 0
		.amdhsa_user_sgpr_kernarg_segment_ptr 1
		.amdhsa_user_sgpr_dispatch_id 0
		.amdhsa_user_sgpr_flat_scratch_init 0
		.amdhsa_user_sgpr_kernarg_preload_length 0
		.amdhsa_user_sgpr_kernarg_preload_offset 0
		.amdhsa_user_sgpr_private_segment_size 0
		.amdhsa_uses_dynamic_stack 0
		.amdhsa_system_sgpr_private_segment_wavefront_offset 0
		.amdhsa_system_sgpr_workgroup_id_x 1
		.amdhsa_system_sgpr_workgroup_id_y 0
		.amdhsa_system_sgpr_workgroup_id_z 0
		.amdhsa_system_sgpr_workgroup_info 0
		.amdhsa_system_vgpr_workitem_id 0
		.amdhsa_next_free_vgpr 12
		.amdhsa_next_free_sgpr 7
		.amdhsa_accum_offset 12
		.amdhsa_reserve_vcc 1
		.amdhsa_reserve_flat_scratch 0
		.amdhsa_float_round_mode_32 0
		.amdhsa_float_round_mode_16_64 0
		.amdhsa_float_denorm_mode_32 3
		.amdhsa_float_denorm_mode_16_64 3
		.amdhsa_dx10_clamp 1
		.amdhsa_ieee_mode 1
		.amdhsa_fp16_overflow 0
		.amdhsa_tg_split 0
		.amdhsa_exception_fp_ieee_invalid_op 0
		.amdhsa_exception_fp_denorm_src 0
		.amdhsa_exception_fp_ieee_div_zero 0
		.amdhsa_exception_fp_ieee_overflow 0
		.amdhsa_exception_fp_ieee_underflow 0
		.amdhsa_exception_fp_ieee_inexact 0
		.amdhsa_exception_int_div_zero 0
	.end_amdhsa_kernel
	.section	.text._Z21inclusive_scan_kernelILj377ELN6hipcub18BlockScanAlgorithmE0EN10test_utils16custom_test_typeIjEEEvPT1_,"axG",@progbits,_Z21inclusive_scan_kernelILj377ELN6hipcub18BlockScanAlgorithmE0EN10test_utils16custom_test_typeIjEEEvPT1_,comdat
.Lfunc_end157:
	.size	_Z21inclusive_scan_kernelILj377ELN6hipcub18BlockScanAlgorithmE0EN10test_utils16custom_test_typeIjEEEvPT1_, .Lfunc_end157-_Z21inclusive_scan_kernelILj377ELN6hipcub18BlockScanAlgorithmE0EN10test_utils16custom_test_typeIjEEEvPT1_
                                        ; -- End function
	.section	.AMDGPU.csdata,"",@progbits
; Kernel info:
; codeLenInByte = 592
; NumSgprs: 11
; NumVgprs: 12
; NumAgprs: 0
; TotalNumVgprs: 12
; ScratchSize: 0
; MemoryBound: 0
; FloatMode: 240
; IeeeMode: 1
; LDSByteSize: 48 bytes/workgroup (compile time only)
; SGPRBlocks: 1
; VGPRBlocks: 1
; NumSGPRsForWavesPerEU: 11
; NumVGPRsForWavesPerEU: 12
; AccumOffset: 12
; Occupancy: 8
; WaveLimiterHint : 0
; COMPUTE_PGM_RSRC2:SCRATCH_EN: 0
; COMPUTE_PGM_RSRC2:USER_SGPR: 6
; COMPUTE_PGM_RSRC2:TRAP_HANDLER: 0
; COMPUTE_PGM_RSRC2:TGID_X_EN: 1
; COMPUTE_PGM_RSRC2:TGID_Y_EN: 0
; COMPUTE_PGM_RSRC2:TGID_Z_EN: 0
; COMPUTE_PGM_RSRC2:TIDIG_COMP_CNT: 0
; COMPUTE_PGM_RSRC3_GFX90A:ACCUM_OFFSET: 2
; COMPUTE_PGM_RSRC3_GFX90A:TG_SPLIT: 0
	.section	.text._Z21inclusive_scan_kernelILj256ELN6hipcub18BlockScanAlgorithmE0EN10test_utils16custom_test_typeIjEEEvPT1_,"axG",@progbits,_Z21inclusive_scan_kernelILj256ELN6hipcub18BlockScanAlgorithmE0EN10test_utils16custom_test_typeIjEEEvPT1_,comdat
	.protected	_Z21inclusive_scan_kernelILj256ELN6hipcub18BlockScanAlgorithmE0EN10test_utils16custom_test_typeIjEEEvPT1_ ; -- Begin function _Z21inclusive_scan_kernelILj256ELN6hipcub18BlockScanAlgorithmE0EN10test_utils16custom_test_typeIjEEEvPT1_
	.globl	_Z21inclusive_scan_kernelILj256ELN6hipcub18BlockScanAlgorithmE0EN10test_utils16custom_test_typeIjEEEvPT1_
	.p2align	8
	.type	_Z21inclusive_scan_kernelILj256ELN6hipcub18BlockScanAlgorithmE0EN10test_utils16custom_test_typeIjEEEvPT1_,@function
_Z21inclusive_scan_kernelILj256ELN6hipcub18BlockScanAlgorithmE0EN10test_utils16custom_test_typeIjEEEvPT1_: ; @_Z21inclusive_scan_kernelILj256ELN6hipcub18BlockScanAlgorithmE0EN10test_utils16custom_test_typeIjEEEvPT1_
; %bb.0:
	s_load_dwordx2 s[0:1], s[4:5], 0x0
	v_lshl_or_b32 v2, s6, 8, v0
	v_mov_b32_e32 v3, 0
	v_lshlrev_b64 v[2:3], 3, v[2:3]
	v_or_b32_e32 v7, 63, v0
	s_waitcnt lgkmcnt(0)
	v_mov_b32_e32 v1, s1
	v_add_co_u32_e32 v2, vcc, s0, v2
	v_addc_co_u32_e32 v3, vcc, v1, v3, vcc
	global_load_dwordx2 v[4:5], v[2:3], off
	v_mbcnt_lo_u32_b32 v1, -1, 0
	v_mbcnt_hi_u32_b32 v1, -1, v1
	v_and_b32_e32 v8, 15, v1
	v_cmp_eq_u32_e32 vcc, 0, v8
	v_bfe_i32 v9, v1, 4, 1
	v_lshrrev_b32_e32 v6, 6, v0
	s_waitcnt vmcnt(0)
	v_mov_b32_dpp v10, v4 row_shr:1 row_mask:0xf bank_mask:0xf
	v_mov_b32_dpp v11, v5 row_shr:1 row_mask:0xf bank_mask:0xf
	v_cndmask_b32_e64 v10, v10, 0, vcc
	v_cndmask_b32_e64 v11, v11, 0, vcc
	v_add_u32_e32 v4, v10, v4
	v_add_u32_e32 v5, v11, v5
	v_cmp_lt_u32_e32 vcc, 1, v8
	v_mov_b32_dpp v10, v4 row_shr:2 row_mask:0xf bank_mask:0xf
	v_mov_b32_dpp v11, v5 row_shr:2 row_mask:0xf bank_mask:0xf
	v_cndmask_b32_e32 v11, 0, v11, vcc
	v_cndmask_b32_e32 v10, 0, v10, vcc
	v_add_u32_e32 v5, v5, v11
	v_add_u32_e32 v4, v4, v10
	v_cmp_lt_u32_e32 vcc, 3, v8
	v_mov_b32_dpp v11, v5 row_shr:4 row_mask:0xf bank_mask:0xf
	v_mov_b32_dpp v10, v4 row_shr:4 row_mask:0xf bank_mask:0xf
	v_cndmask_b32_e32 v11, 0, v11, vcc
	v_cndmask_b32_e32 v10, 0, v10, vcc
	v_add_u32_e32 v5, v5, v11
	v_add_u32_e32 v4, v4, v10
	v_cmp_lt_u32_e32 vcc, 7, v8
	v_mov_b32_dpp v11, v5 row_shr:8 row_mask:0xf bank_mask:0xf
	v_mov_b32_dpp v10, v4 row_shr:8 row_mask:0xf bank_mask:0xf
	v_cndmask_b32_e32 v8, 0, v11, vcc
	v_cndmask_b32_e32 v10, 0, v10, vcc
	v_add_u32_e32 v5, v5, v8
	v_add_u32_e32 v4, v4, v10
	v_cmp_lt_u32_e32 vcc, 31, v1
	v_mov_b32_dpp v10, v5 row_bcast:15 row_mask:0xf bank_mask:0xf
	v_mov_b32_dpp v8, v4 row_bcast:15 row_mask:0xf bank_mask:0xf
	v_and_b32_e32 v8, v9, v8
	v_and_b32_e32 v9, v9, v10
	v_add_u32_e32 v4, v4, v8
	v_add_u32_e32 v5, v5, v9
	s_nop 0
	v_mov_b32_dpp v8, v4 row_bcast:31 row_mask:0xf bank_mask:0xf
	v_mov_b32_dpp v9, v5 row_bcast:31 row_mask:0xf bank_mask:0xf
	v_cndmask_b32_e32 v8, 0, v8, vcc
	v_cndmask_b32_e32 v9, 0, v9, vcc
	v_add_u32_e32 v4, v4, v8
	v_add_u32_e32 v5, v5, v9
	v_cmp_eq_u32_e32 vcc, v7, v0
	s_and_saveexec_b64 s[0:1], vcc
	s_cbranch_execz .LBB158_2
; %bb.1:
	v_lshlrev_b32_e32 v7, 3, v6
	ds_write2_b32 v7, v4, v5 offset1:1
.LBB158_2:
	s_or_b64 exec, exec, s[0:1]
	v_cmp_gt_u32_e32 vcc, 4, v0
	s_waitcnt lgkmcnt(0)
	s_barrier
	s_and_saveexec_b64 s[0:1], vcc
	s_cbranch_execz .LBB158_4
; %bb.3:
	v_lshlrev_b32_e32 v7, 3, v0
	ds_read2_b32 v[8:9], v7 offset1:1
	v_and_b32_e32 v1, 3, v1
	v_cmp_eq_u32_e32 vcc, 0, v1
	s_waitcnt lgkmcnt(0)
	v_mov_b32_dpp v10, v8 row_shr:1 row_mask:0xf bank_mask:0xf
	v_mov_b32_dpp v11, v9 row_shr:1 row_mask:0xf bank_mask:0xf
	v_cndmask_b32_e64 v10, v10, 0, vcc
	v_cndmask_b32_e64 v11, v11, 0, vcc
	v_add_u32_e32 v8, v10, v8
	v_add_u32_e32 v9, v11, v9
	v_cmp_lt_u32_e32 vcc, 1, v1
	v_mov_b32_dpp v10, v8 row_shr:2 row_mask:0xf bank_mask:0xf
	v_mov_b32_dpp v11, v9 row_shr:2 row_mask:0xf bank_mask:0xf
	v_cndmask_b32_e32 v1, 0, v10, vcc
	v_add_u32_e32 v1, v1, v8
	v_cndmask_b32_e32 v8, 0, v11, vcc
	v_add_u32_e32 v8, v8, v9
	ds_write2_b32 v7, v1, v8 offset1:1
.LBB158_4:
	s_or_b64 exec, exec, s[0:1]
	v_cmp_lt_u32_e32 vcc, 63, v0
	s_waitcnt lgkmcnt(0)
	s_barrier
	s_and_saveexec_b64 s[0:1], vcc
	s_cbranch_execz .LBB158_6
; %bb.5:
	v_lshl_add_u32 v0, v6, 3, -8
	ds_read2_b32 v[0:1], v0 offset1:1
	s_waitcnt lgkmcnt(0)
	v_add_u32_e32 v4, v4, v0
	v_add_u32_e32 v5, v5, v1
.LBB158_6:
	s_or_b64 exec, exec, s[0:1]
	global_store_dwordx2 v[2:3], v[4:5], off
	s_endpgm
	.section	.rodata,"a",@progbits
	.p2align	6, 0x0
	.amdhsa_kernel _Z21inclusive_scan_kernelILj256ELN6hipcub18BlockScanAlgorithmE0EN10test_utils16custom_test_typeIjEEEvPT1_
		.amdhsa_group_segment_fixed_size 32
		.amdhsa_private_segment_fixed_size 0
		.amdhsa_kernarg_size 8
		.amdhsa_user_sgpr_count 6
		.amdhsa_user_sgpr_private_segment_buffer 1
		.amdhsa_user_sgpr_dispatch_ptr 0
		.amdhsa_user_sgpr_queue_ptr 0
		.amdhsa_user_sgpr_kernarg_segment_ptr 1
		.amdhsa_user_sgpr_dispatch_id 0
		.amdhsa_user_sgpr_flat_scratch_init 0
		.amdhsa_user_sgpr_kernarg_preload_length 0
		.amdhsa_user_sgpr_kernarg_preload_offset 0
		.amdhsa_user_sgpr_private_segment_size 0
		.amdhsa_uses_dynamic_stack 0
		.amdhsa_system_sgpr_private_segment_wavefront_offset 0
		.amdhsa_system_sgpr_workgroup_id_x 1
		.amdhsa_system_sgpr_workgroup_id_y 0
		.amdhsa_system_sgpr_workgroup_id_z 0
		.amdhsa_system_sgpr_workgroup_info 0
		.amdhsa_system_vgpr_workitem_id 0
		.amdhsa_next_free_vgpr 12
		.amdhsa_next_free_sgpr 7
		.amdhsa_accum_offset 12
		.amdhsa_reserve_vcc 1
		.amdhsa_reserve_flat_scratch 0
		.amdhsa_float_round_mode_32 0
		.amdhsa_float_round_mode_16_64 0
		.amdhsa_float_denorm_mode_32 3
		.amdhsa_float_denorm_mode_16_64 3
		.amdhsa_dx10_clamp 1
		.amdhsa_ieee_mode 1
		.amdhsa_fp16_overflow 0
		.amdhsa_tg_split 0
		.amdhsa_exception_fp_ieee_invalid_op 0
		.amdhsa_exception_fp_denorm_src 0
		.amdhsa_exception_fp_ieee_div_zero 0
		.amdhsa_exception_fp_ieee_overflow 0
		.amdhsa_exception_fp_ieee_underflow 0
		.amdhsa_exception_fp_ieee_inexact 0
		.amdhsa_exception_int_div_zero 0
	.end_amdhsa_kernel
	.section	.text._Z21inclusive_scan_kernelILj256ELN6hipcub18BlockScanAlgorithmE0EN10test_utils16custom_test_typeIjEEEvPT1_,"axG",@progbits,_Z21inclusive_scan_kernelILj256ELN6hipcub18BlockScanAlgorithmE0EN10test_utils16custom_test_typeIjEEEvPT1_,comdat
.Lfunc_end158:
	.size	_Z21inclusive_scan_kernelILj256ELN6hipcub18BlockScanAlgorithmE0EN10test_utils16custom_test_typeIjEEEvPT1_, .Lfunc_end158-_Z21inclusive_scan_kernelILj256ELN6hipcub18BlockScanAlgorithmE0EN10test_utils16custom_test_typeIjEEEvPT1_
                                        ; -- End function
	.section	.AMDGPU.csdata,"",@progbits
; Kernel info:
; codeLenInByte = 540
; NumSgprs: 11
; NumVgprs: 12
; NumAgprs: 0
; TotalNumVgprs: 12
; ScratchSize: 0
; MemoryBound: 0
; FloatMode: 240
; IeeeMode: 1
; LDSByteSize: 32 bytes/workgroup (compile time only)
; SGPRBlocks: 1
; VGPRBlocks: 1
; NumSGPRsForWavesPerEU: 11
; NumVGPRsForWavesPerEU: 12
; AccumOffset: 12
; Occupancy: 8
; WaveLimiterHint : 0
; COMPUTE_PGM_RSRC2:SCRATCH_EN: 0
; COMPUTE_PGM_RSRC2:USER_SGPR: 6
; COMPUTE_PGM_RSRC2:TRAP_HANDLER: 0
; COMPUTE_PGM_RSRC2:TGID_X_EN: 1
; COMPUTE_PGM_RSRC2:TGID_Y_EN: 0
; COMPUTE_PGM_RSRC2:TGID_Z_EN: 0
; COMPUTE_PGM_RSRC2:TIDIG_COMP_CNT: 0
; COMPUTE_PGM_RSRC3_GFX90A:ACCUM_OFFSET: 2
; COMPUTE_PGM_RSRC3_GFX90A:TG_SPLIT: 0
	.section	.text._Z21inclusive_scan_kernelILj64ELN6hipcub18BlockScanAlgorithmE0EN10test_utils16custom_test_typeIjEEEvPT1_,"axG",@progbits,_Z21inclusive_scan_kernelILj64ELN6hipcub18BlockScanAlgorithmE0EN10test_utils16custom_test_typeIjEEEvPT1_,comdat
	.protected	_Z21inclusive_scan_kernelILj64ELN6hipcub18BlockScanAlgorithmE0EN10test_utils16custom_test_typeIjEEEvPT1_ ; -- Begin function _Z21inclusive_scan_kernelILj64ELN6hipcub18BlockScanAlgorithmE0EN10test_utils16custom_test_typeIjEEEvPT1_
	.globl	_Z21inclusive_scan_kernelILj64ELN6hipcub18BlockScanAlgorithmE0EN10test_utils16custom_test_typeIjEEEvPT1_
	.p2align	8
	.type	_Z21inclusive_scan_kernelILj64ELN6hipcub18BlockScanAlgorithmE0EN10test_utils16custom_test_typeIjEEEvPT1_,@function
_Z21inclusive_scan_kernelILj64ELN6hipcub18BlockScanAlgorithmE0EN10test_utils16custom_test_typeIjEEEvPT1_: ; @_Z21inclusive_scan_kernelILj64ELN6hipcub18BlockScanAlgorithmE0EN10test_utils16custom_test_typeIjEEEvPT1_
; %bb.0:
	s_load_dwordx2 s[0:1], s[4:5], 0x0
	v_lshl_or_b32 v4, s6, 6, v0
	v_mov_b32_e32 v5, 0
	v_lshlrev_b64 v[2:3], 3, v[4:5]
	s_waitcnt lgkmcnt(0)
	v_mov_b32_e32 v1, s1
	v_add_co_u32_e32 v2, vcc, s0, v2
	v_addc_co_u32_e32 v3, vcc, v1, v3, vcc
	global_load_dwordx2 v[6:7], v[2:3], off
	v_mbcnt_lo_u32_b32 v1, -1, 0
	v_mbcnt_hi_u32_b32 v1, -1, v1
	v_and_b32_e32 v4, 15, v1
	v_cmp_eq_u32_e32 vcc, 0, v4
	v_bfe_i32 v8, v1, 4, 1
	s_waitcnt vmcnt(0)
	v_mov_b32_dpp v9, v6 row_shr:1 row_mask:0xf bank_mask:0xf
	v_mov_b32_dpp v10, v7 row_shr:1 row_mask:0xf bank_mask:0xf
	v_cndmask_b32_e64 v9, v9, 0, vcc
	v_cndmask_b32_e64 v10, v10, 0, vcc
	v_add_u32_e32 v6, v9, v6
	v_add_u32_e32 v7, v10, v7
	v_cmp_lt_u32_e32 vcc, 1, v4
	v_mov_b32_dpp v9, v6 row_shr:2 row_mask:0xf bank_mask:0xf
	v_mov_b32_dpp v10, v7 row_shr:2 row_mask:0xf bank_mask:0xf
	v_cndmask_b32_e32 v10, 0, v10, vcc
	v_cndmask_b32_e32 v9, 0, v9, vcc
	v_add_u32_e32 v7, v7, v10
	v_add_u32_e32 v6, v6, v9
	v_cmp_lt_u32_e32 vcc, 3, v4
	v_mov_b32_dpp v10, v7 row_shr:4 row_mask:0xf bank_mask:0xf
	v_mov_b32_dpp v9, v6 row_shr:4 row_mask:0xf bank_mask:0xf
	v_cndmask_b32_e32 v10, 0, v10, vcc
	v_cndmask_b32_e32 v9, 0, v9, vcc
	;; [unrolled: 7-line block ×3, first 2 shown]
	v_add_u32_e32 v4, v7, v4
	v_add_u32_e32 v6, v6, v9
	v_cmp_lt_u32_e32 vcc, 31, v1
	v_mov_b32_dpp v9, v4 row_bcast:15 row_mask:0xf bank_mask:0xf
	v_mov_b32_dpp v7, v6 row_bcast:15 row_mask:0xf bank_mask:0xf
	v_and_b32_e32 v7, v8, v7
	v_and_b32_e32 v8, v8, v9
	v_add_u32_e32 v6, v6, v7
	v_add_u32_e32 v4, v4, v8
	s_nop 0
	v_mov_b32_dpp v7, v6 row_bcast:31 row_mask:0xf bank_mask:0xf
	v_mov_b32_dpp v8, v4 row_bcast:31 row_mask:0xf bank_mask:0xf
	v_cndmask_b32_e32 v1, 0, v7, vcc
	v_cndmask_b32_e32 v7, 0, v8, vcc
	v_add_u32_e32 v6, v6, v1
	v_add_u32_e32 v7, v4, v7
	v_cmp_eq_u32_e32 vcc, 63, v0
	s_and_saveexec_b64 s[0:1], vcc
	s_cbranch_execz .LBB159_2
; %bb.1:
	ds_write_b64 v5, v[6:7]
.LBB159_2:
	s_or_b64 exec, exec, s[0:1]
	s_waitcnt lgkmcnt(0)
	; wave barrier
	s_waitcnt lgkmcnt(0)
	global_store_dwordx2 v[2:3], v[6:7], off
	s_endpgm
	.section	.rodata,"a",@progbits
	.p2align	6, 0x0
	.amdhsa_kernel _Z21inclusive_scan_kernelILj64ELN6hipcub18BlockScanAlgorithmE0EN10test_utils16custom_test_typeIjEEEvPT1_
		.amdhsa_group_segment_fixed_size 8
		.amdhsa_private_segment_fixed_size 0
		.amdhsa_kernarg_size 8
		.amdhsa_user_sgpr_count 6
		.amdhsa_user_sgpr_private_segment_buffer 1
		.amdhsa_user_sgpr_dispatch_ptr 0
		.amdhsa_user_sgpr_queue_ptr 0
		.amdhsa_user_sgpr_kernarg_segment_ptr 1
		.amdhsa_user_sgpr_dispatch_id 0
		.amdhsa_user_sgpr_flat_scratch_init 0
		.amdhsa_user_sgpr_kernarg_preload_length 0
		.amdhsa_user_sgpr_kernarg_preload_offset 0
		.amdhsa_user_sgpr_private_segment_size 0
		.amdhsa_uses_dynamic_stack 0
		.amdhsa_system_sgpr_private_segment_wavefront_offset 0
		.amdhsa_system_sgpr_workgroup_id_x 1
		.amdhsa_system_sgpr_workgroup_id_y 0
		.amdhsa_system_sgpr_workgroup_id_z 0
		.amdhsa_system_sgpr_workgroup_info 0
		.amdhsa_system_vgpr_workitem_id 0
		.amdhsa_next_free_vgpr 11
		.amdhsa_next_free_sgpr 7
		.amdhsa_accum_offset 12
		.amdhsa_reserve_vcc 1
		.amdhsa_reserve_flat_scratch 0
		.amdhsa_float_round_mode_32 0
		.amdhsa_float_round_mode_16_64 0
		.amdhsa_float_denorm_mode_32 3
		.amdhsa_float_denorm_mode_16_64 3
		.amdhsa_dx10_clamp 1
		.amdhsa_ieee_mode 1
		.amdhsa_fp16_overflow 0
		.amdhsa_tg_split 0
		.amdhsa_exception_fp_ieee_invalid_op 0
		.amdhsa_exception_fp_denorm_src 0
		.amdhsa_exception_fp_ieee_div_zero 0
		.amdhsa_exception_fp_ieee_overflow 0
		.amdhsa_exception_fp_ieee_underflow 0
		.amdhsa_exception_fp_ieee_inexact 0
		.amdhsa_exception_int_div_zero 0
	.end_amdhsa_kernel
	.section	.text._Z21inclusive_scan_kernelILj64ELN6hipcub18BlockScanAlgorithmE0EN10test_utils16custom_test_typeIjEEEvPT1_,"axG",@progbits,_Z21inclusive_scan_kernelILj64ELN6hipcub18BlockScanAlgorithmE0EN10test_utils16custom_test_typeIjEEEvPT1_,comdat
.Lfunc_end159:
	.size	_Z21inclusive_scan_kernelILj64ELN6hipcub18BlockScanAlgorithmE0EN10test_utils16custom_test_typeIjEEEvPT1_, .Lfunc_end159-_Z21inclusive_scan_kernelILj64ELN6hipcub18BlockScanAlgorithmE0EN10test_utils16custom_test_typeIjEEEvPT1_
                                        ; -- End function
	.section	.AMDGPU.csdata,"",@progbits
; Kernel info:
; codeLenInByte = 352
; NumSgprs: 11
; NumVgprs: 11
; NumAgprs: 0
; TotalNumVgprs: 11
; ScratchSize: 0
; MemoryBound: 0
; FloatMode: 240
; IeeeMode: 1
; LDSByteSize: 8 bytes/workgroup (compile time only)
; SGPRBlocks: 1
; VGPRBlocks: 1
; NumSGPRsForWavesPerEU: 11
; NumVGPRsForWavesPerEU: 11
; AccumOffset: 12
; Occupancy: 8
; WaveLimiterHint : 0
; COMPUTE_PGM_RSRC2:SCRATCH_EN: 0
; COMPUTE_PGM_RSRC2:USER_SGPR: 6
; COMPUTE_PGM_RSRC2:TRAP_HANDLER: 0
; COMPUTE_PGM_RSRC2:TGID_X_EN: 1
; COMPUTE_PGM_RSRC2:TGID_Y_EN: 0
; COMPUTE_PGM_RSRC2:TGID_Z_EN: 0
; COMPUTE_PGM_RSRC2:TIDIG_COMP_CNT: 0
; COMPUTE_PGM_RSRC3_GFX90A:ACCUM_OFFSET: 2
; COMPUTE_PGM_RSRC3_GFX90A:TG_SPLIT: 0
	.section	.text._Z21inclusive_scan_kernelILj255ELN6hipcub18BlockScanAlgorithmE0EN10test_utils16custom_test_typeIiEEEvPT1_,"axG",@progbits,_Z21inclusive_scan_kernelILj255ELN6hipcub18BlockScanAlgorithmE0EN10test_utils16custom_test_typeIiEEEvPT1_,comdat
	.protected	_Z21inclusive_scan_kernelILj255ELN6hipcub18BlockScanAlgorithmE0EN10test_utils16custom_test_typeIiEEEvPT1_ ; -- Begin function _Z21inclusive_scan_kernelILj255ELN6hipcub18BlockScanAlgorithmE0EN10test_utils16custom_test_typeIiEEEvPT1_
	.globl	_Z21inclusive_scan_kernelILj255ELN6hipcub18BlockScanAlgorithmE0EN10test_utils16custom_test_typeIiEEEvPT1_
	.p2align	8
	.type	_Z21inclusive_scan_kernelILj255ELN6hipcub18BlockScanAlgorithmE0EN10test_utils16custom_test_typeIiEEEvPT1_,@function
_Z21inclusive_scan_kernelILj255ELN6hipcub18BlockScanAlgorithmE0EN10test_utils16custom_test_typeIiEEEvPT1_: ; @_Z21inclusive_scan_kernelILj255ELN6hipcub18BlockScanAlgorithmE0EN10test_utils16custom_test_typeIiEEEvPT1_
; %bb.0:
	s_load_dwordx2 s[0:1], s[4:5], 0x0
	s_mulk_i32 s6, 0xff
	v_add_u32_e32 v2, s6, v0
	v_mov_b32_e32 v3, 0
	v_lshlrev_b64 v[2:3], 3, v[2:3]
	s_waitcnt lgkmcnt(0)
	v_mov_b32_e32 v1, s1
	v_add_co_u32_e32 v2, vcc, s0, v2
	v_addc_co_u32_e32 v3, vcc, v1, v3, vcc
	global_load_dwordx2 v[4:5], v[2:3], off
	v_mbcnt_lo_u32_b32 v1, -1, 0
	v_mbcnt_hi_u32_b32 v1, -1, v1
	v_and_b32_e32 v8, 15, v1
	v_cmp_eq_u32_e32 vcc, 0, v8
	v_bfe_i32 v9, v1, 4, 1
	v_and_b32_e32 v7, 0xc0, v0
	v_min_u32_e32 v7, 0xbf, v7
	v_add_u32_e32 v7, 63, v7
	v_lshrrev_b32_e32 v6, 6, v0
	s_waitcnt vmcnt(0)
	v_mov_b32_dpp v10, v4 row_shr:1 row_mask:0xf bank_mask:0xf
	v_mov_b32_dpp v11, v5 row_shr:1 row_mask:0xf bank_mask:0xf
	v_cndmask_b32_e64 v10, v10, 0, vcc
	v_cndmask_b32_e64 v11, v11, 0, vcc
	v_add_u32_e32 v4, v10, v4
	v_add_u32_e32 v5, v11, v5
	v_cmp_lt_u32_e32 vcc, 1, v8
	v_mov_b32_dpp v10, v4 row_shr:2 row_mask:0xf bank_mask:0xf
	v_mov_b32_dpp v11, v5 row_shr:2 row_mask:0xf bank_mask:0xf
	v_cndmask_b32_e32 v11, 0, v11, vcc
	v_cndmask_b32_e32 v10, 0, v10, vcc
	v_add_u32_e32 v5, v5, v11
	v_add_u32_e32 v4, v4, v10
	v_cmp_lt_u32_e32 vcc, 3, v8
	v_mov_b32_dpp v11, v5 row_shr:4 row_mask:0xf bank_mask:0xf
	v_mov_b32_dpp v10, v4 row_shr:4 row_mask:0xf bank_mask:0xf
	v_cndmask_b32_e32 v11, 0, v11, vcc
	v_cndmask_b32_e32 v10, 0, v10, vcc
	;; [unrolled: 7-line block ×3, first 2 shown]
	v_add_u32_e32 v5, v5, v8
	v_add_u32_e32 v4, v4, v10
	v_cmp_lt_u32_e32 vcc, 31, v1
	v_mov_b32_dpp v10, v5 row_bcast:15 row_mask:0xf bank_mask:0xf
	v_mov_b32_dpp v8, v4 row_bcast:15 row_mask:0xf bank_mask:0xf
	v_and_b32_e32 v8, v9, v8
	v_and_b32_e32 v9, v9, v10
	v_add_u32_e32 v4, v4, v8
	v_add_u32_e32 v5, v5, v9
	s_nop 0
	v_mov_b32_dpp v8, v4 row_bcast:31 row_mask:0xf bank_mask:0xf
	v_mov_b32_dpp v9, v5 row_bcast:31 row_mask:0xf bank_mask:0xf
	v_cndmask_b32_e32 v8, 0, v8, vcc
	v_cndmask_b32_e32 v9, 0, v9, vcc
	v_add_u32_e32 v4, v4, v8
	v_add_u32_e32 v5, v5, v9
	v_cmp_eq_u32_e32 vcc, v7, v0
	s_and_saveexec_b64 s[0:1], vcc
	s_cbranch_execz .LBB160_2
; %bb.1:
	v_lshlrev_b32_e32 v7, 3, v6
	ds_write2_b32 v7, v4, v5 offset1:1
.LBB160_2:
	s_or_b64 exec, exec, s[0:1]
	v_cmp_gt_u32_e32 vcc, 4, v0
	s_waitcnt lgkmcnt(0)
	s_barrier
	s_and_saveexec_b64 s[0:1], vcc
	s_cbranch_execz .LBB160_4
; %bb.3:
	v_lshlrev_b32_e32 v7, 3, v0
	ds_read2_b32 v[8:9], v7 offset1:1
	v_and_b32_e32 v1, 3, v1
	v_cmp_eq_u32_e32 vcc, 0, v1
	s_waitcnt lgkmcnt(0)
	v_mov_b32_dpp v10, v8 row_shr:1 row_mask:0xf bank_mask:0xf
	v_mov_b32_dpp v11, v9 row_shr:1 row_mask:0xf bank_mask:0xf
	v_cndmask_b32_e64 v10, v10, 0, vcc
	v_cndmask_b32_e64 v11, v11, 0, vcc
	v_add_u32_e32 v8, v10, v8
	v_add_u32_e32 v9, v11, v9
	v_cmp_lt_u32_e32 vcc, 1, v1
	v_mov_b32_dpp v10, v8 row_shr:2 row_mask:0xf bank_mask:0xf
	v_mov_b32_dpp v11, v9 row_shr:2 row_mask:0xf bank_mask:0xf
	v_cndmask_b32_e32 v1, 0, v10, vcc
	v_add_u32_e32 v1, v1, v8
	v_cndmask_b32_e32 v8, 0, v11, vcc
	v_add_u32_e32 v8, v8, v9
	ds_write2_b32 v7, v1, v8 offset1:1
.LBB160_4:
	s_or_b64 exec, exec, s[0:1]
	v_cmp_lt_u32_e32 vcc, 63, v0
	s_waitcnt lgkmcnt(0)
	s_barrier
	s_and_saveexec_b64 s[0:1], vcc
	s_cbranch_execz .LBB160_6
; %bb.5:
	v_lshl_add_u32 v0, v6, 3, -8
	ds_read2_b32 v[0:1], v0 offset1:1
	s_waitcnt lgkmcnt(0)
	v_add_u32_e32 v4, v4, v0
	v_add_u32_e32 v5, v5, v1
.LBB160_6:
	s_or_b64 exec, exec, s[0:1]
	global_store_dwordx2 v[2:3], v[4:5], off
	s_endpgm
	.section	.rodata,"a",@progbits
	.p2align	6, 0x0
	.amdhsa_kernel _Z21inclusive_scan_kernelILj255ELN6hipcub18BlockScanAlgorithmE0EN10test_utils16custom_test_typeIiEEEvPT1_
		.amdhsa_group_segment_fixed_size 32
		.amdhsa_private_segment_fixed_size 0
		.amdhsa_kernarg_size 8
		.amdhsa_user_sgpr_count 6
		.amdhsa_user_sgpr_private_segment_buffer 1
		.amdhsa_user_sgpr_dispatch_ptr 0
		.amdhsa_user_sgpr_queue_ptr 0
		.amdhsa_user_sgpr_kernarg_segment_ptr 1
		.amdhsa_user_sgpr_dispatch_id 0
		.amdhsa_user_sgpr_flat_scratch_init 0
		.amdhsa_user_sgpr_kernarg_preload_length 0
		.amdhsa_user_sgpr_kernarg_preload_offset 0
		.amdhsa_user_sgpr_private_segment_size 0
		.amdhsa_uses_dynamic_stack 0
		.amdhsa_system_sgpr_private_segment_wavefront_offset 0
		.amdhsa_system_sgpr_workgroup_id_x 1
		.amdhsa_system_sgpr_workgroup_id_y 0
		.amdhsa_system_sgpr_workgroup_id_z 0
		.amdhsa_system_sgpr_workgroup_info 0
		.amdhsa_system_vgpr_workitem_id 0
		.amdhsa_next_free_vgpr 12
		.amdhsa_next_free_sgpr 7
		.amdhsa_accum_offset 12
		.amdhsa_reserve_vcc 1
		.amdhsa_reserve_flat_scratch 0
		.amdhsa_float_round_mode_32 0
		.amdhsa_float_round_mode_16_64 0
		.amdhsa_float_denorm_mode_32 3
		.amdhsa_float_denorm_mode_16_64 3
		.amdhsa_dx10_clamp 1
		.amdhsa_ieee_mode 1
		.amdhsa_fp16_overflow 0
		.amdhsa_tg_split 0
		.amdhsa_exception_fp_ieee_invalid_op 0
		.amdhsa_exception_fp_denorm_src 0
		.amdhsa_exception_fp_ieee_div_zero 0
		.amdhsa_exception_fp_ieee_overflow 0
		.amdhsa_exception_fp_ieee_underflow 0
		.amdhsa_exception_fp_ieee_inexact 0
		.amdhsa_exception_int_div_zero 0
	.end_amdhsa_kernel
	.section	.text._Z21inclusive_scan_kernelILj255ELN6hipcub18BlockScanAlgorithmE0EN10test_utils16custom_test_typeIiEEEvPT1_,"axG",@progbits,_Z21inclusive_scan_kernelILj255ELN6hipcub18BlockScanAlgorithmE0EN10test_utils16custom_test_typeIiEEEvPT1_,comdat
.Lfunc_end160:
	.size	_Z21inclusive_scan_kernelILj255ELN6hipcub18BlockScanAlgorithmE0EN10test_utils16custom_test_typeIiEEEvPT1_, .Lfunc_end160-_Z21inclusive_scan_kernelILj255ELN6hipcub18BlockScanAlgorithmE0EN10test_utils16custom_test_typeIiEEEvPT1_
                                        ; -- End function
	.section	.AMDGPU.csdata,"",@progbits
; Kernel info:
; codeLenInByte = 556
; NumSgprs: 11
; NumVgprs: 12
; NumAgprs: 0
; TotalNumVgprs: 12
; ScratchSize: 0
; MemoryBound: 0
; FloatMode: 240
; IeeeMode: 1
; LDSByteSize: 32 bytes/workgroup (compile time only)
; SGPRBlocks: 1
; VGPRBlocks: 1
; NumSGPRsForWavesPerEU: 11
; NumVGPRsForWavesPerEU: 12
; AccumOffset: 12
; Occupancy: 8
; WaveLimiterHint : 0
; COMPUTE_PGM_RSRC2:SCRATCH_EN: 0
; COMPUTE_PGM_RSRC2:USER_SGPR: 6
; COMPUTE_PGM_RSRC2:TRAP_HANDLER: 0
; COMPUTE_PGM_RSRC2:TGID_X_EN: 1
; COMPUTE_PGM_RSRC2:TGID_Y_EN: 0
; COMPUTE_PGM_RSRC2:TGID_Z_EN: 0
; COMPUTE_PGM_RSRC2:TIDIG_COMP_CNT: 0
; COMPUTE_PGM_RSRC3_GFX90A:ACCUM_OFFSET: 2
; COMPUTE_PGM_RSRC3_GFX90A:TG_SPLIT: 0
	.section	.text._Z21inclusive_scan_kernelILj162ELN6hipcub18BlockScanAlgorithmE0EN10test_utils16custom_test_typeIiEEEvPT1_,"axG",@progbits,_Z21inclusive_scan_kernelILj162ELN6hipcub18BlockScanAlgorithmE0EN10test_utils16custom_test_typeIiEEEvPT1_,comdat
	.protected	_Z21inclusive_scan_kernelILj162ELN6hipcub18BlockScanAlgorithmE0EN10test_utils16custom_test_typeIiEEEvPT1_ ; -- Begin function _Z21inclusive_scan_kernelILj162ELN6hipcub18BlockScanAlgorithmE0EN10test_utils16custom_test_typeIiEEEvPT1_
	.globl	_Z21inclusive_scan_kernelILj162ELN6hipcub18BlockScanAlgorithmE0EN10test_utils16custom_test_typeIiEEEvPT1_
	.p2align	8
	.type	_Z21inclusive_scan_kernelILj162ELN6hipcub18BlockScanAlgorithmE0EN10test_utils16custom_test_typeIiEEEvPT1_,@function
_Z21inclusive_scan_kernelILj162ELN6hipcub18BlockScanAlgorithmE0EN10test_utils16custom_test_typeIiEEEvPT1_: ; @_Z21inclusive_scan_kernelILj162ELN6hipcub18BlockScanAlgorithmE0EN10test_utils16custom_test_typeIiEEEvPT1_
; %bb.0:
	s_load_dwordx2 s[0:1], s[4:5], 0x0
	s_mulk_i32 s6, 0xa2
	v_add_u32_e32 v2, s6, v0
	v_mov_b32_e32 v3, 0
	v_lshlrev_b64 v[2:3], 3, v[2:3]
	s_waitcnt lgkmcnt(0)
	v_mov_b32_e32 v1, s1
	v_add_co_u32_e32 v2, vcc, s0, v2
	v_addc_co_u32_e32 v3, vcc, v1, v3, vcc
	global_load_dwordx2 v[4:5], v[2:3], off
	v_mbcnt_lo_u32_b32 v1, -1, 0
	v_mbcnt_hi_u32_b32 v1, -1, v1
	v_and_b32_e32 v8, 15, v1
	v_cmp_eq_u32_e32 vcc, 0, v8
	v_bfe_i32 v9, v1, 4, 1
	v_and_b32_e32 v7, 0xc0, v0
	v_min_u32_e32 v7, 0x62, v7
	v_add_u32_e32 v7, 63, v7
	v_lshrrev_b32_e32 v6, 6, v0
	s_waitcnt vmcnt(0)
	v_mov_b32_dpp v10, v4 row_shr:1 row_mask:0xf bank_mask:0xf
	v_mov_b32_dpp v11, v5 row_shr:1 row_mask:0xf bank_mask:0xf
	v_cndmask_b32_e64 v10, v10, 0, vcc
	v_cndmask_b32_e64 v11, v11, 0, vcc
	v_add_u32_e32 v4, v10, v4
	v_add_u32_e32 v5, v11, v5
	v_cmp_lt_u32_e32 vcc, 1, v8
	v_mov_b32_dpp v10, v4 row_shr:2 row_mask:0xf bank_mask:0xf
	v_mov_b32_dpp v11, v5 row_shr:2 row_mask:0xf bank_mask:0xf
	v_cndmask_b32_e32 v11, 0, v11, vcc
	v_cndmask_b32_e32 v10, 0, v10, vcc
	v_add_u32_e32 v5, v5, v11
	v_add_u32_e32 v4, v4, v10
	v_cmp_lt_u32_e32 vcc, 3, v8
	v_mov_b32_dpp v11, v5 row_shr:4 row_mask:0xf bank_mask:0xf
	v_mov_b32_dpp v10, v4 row_shr:4 row_mask:0xf bank_mask:0xf
	v_cndmask_b32_e32 v11, 0, v11, vcc
	v_cndmask_b32_e32 v10, 0, v10, vcc
	;; [unrolled: 7-line block ×3, first 2 shown]
	v_add_u32_e32 v5, v5, v8
	v_add_u32_e32 v4, v4, v10
	v_cmp_lt_u32_e32 vcc, 31, v1
	v_mov_b32_dpp v10, v5 row_bcast:15 row_mask:0xf bank_mask:0xf
	v_mov_b32_dpp v8, v4 row_bcast:15 row_mask:0xf bank_mask:0xf
	v_and_b32_e32 v8, v9, v8
	v_and_b32_e32 v9, v9, v10
	v_add_u32_e32 v4, v4, v8
	v_add_u32_e32 v5, v5, v9
	s_nop 0
	v_mov_b32_dpp v8, v4 row_bcast:31 row_mask:0xf bank_mask:0xf
	v_mov_b32_dpp v9, v5 row_bcast:31 row_mask:0xf bank_mask:0xf
	v_cndmask_b32_e32 v8, 0, v8, vcc
	v_cndmask_b32_e32 v9, 0, v9, vcc
	v_add_u32_e32 v4, v4, v8
	v_add_u32_e32 v5, v5, v9
	v_cmp_eq_u32_e32 vcc, v7, v0
	s_and_saveexec_b64 s[0:1], vcc
	s_cbranch_execz .LBB161_2
; %bb.1:
	v_lshlrev_b32_e32 v7, 3, v6
	ds_write2_b32 v7, v4, v5 offset1:1
.LBB161_2:
	s_or_b64 exec, exec, s[0:1]
	v_cmp_gt_u32_e32 vcc, 3, v0
	s_waitcnt lgkmcnt(0)
	s_barrier
	s_and_saveexec_b64 s[0:1], vcc
	s_cbranch_execz .LBB161_4
; %bb.3:
	v_lshlrev_b32_e32 v7, 3, v0
	ds_read2_b32 v[8:9], v7 offset1:1
	v_and_b32_e32 v1, 3, v1
	v_cmp_eq_u32_e32 vcc, 0, v1
	s_waitcnt lgkmcnt(0)
	v_mov_b32_dpp v10, v8 row_shr:1 row_mask:0xf bank_mask:0xf
	v_mov_b32_dpp v11, v9 row_shr:1 row_mask:0xf bank_mask:0xf
	v_cndmask_b32_e64 v10, v10, 0, vcc
	v_cndmask_b32_e64 v11, v11, 0, vcc
	v_add_u32_e32 v8, v10, v8
	v_add_u32_e32 v9, v11, v9
	v_cmp_lt_u32_e32 vcc, 1, v1
	v_mov_b32_dpp v10, v8 row_shr:2 row_mask:0xf bank_mask:0xf
	v_mov_b32_dpp v11, v9 row_shr:2 row_mask:0xf bank_mask:0xf
	v_cndmask_b32_e32 v1, 0, v10, vcc
	v_add_u32_e32 v1, v1, v8
	v_cndmask_b32_e32 v8, 0, v11, vcc
	v_add_u32_e32 v8, v8, v9
	ds_write2_b32 v7, v1, v8 offset1:1
.LBB161_4:
	s_or_b64 exec, exec, s[0:1]
	v_cmp_lt_u32_e32 vcc, 63, v0
	s_waitcnt lgkmcnt(0)
	s_barrier
	s_and_saveexec_b64 s[0:1], vcc
	s_cbranch_execz .LBB161_6
; %bb.5:
	v_lshl_add_u32 v0, v6, 3, -8
	ds_read2_b32 v[0:1], v0 offset1:1
	s_waitcnt lgkmcnt(0)
	v_add_u32_e32 v4, v4, v0
	v_add_u32_e32 v5, v5, v1
.LBB161_6:
	s_or_b64 exec, exec, s[0:1]
	global_store_dwordx2 v[2:3], v[4:5], off
	s_endpgm
	.section	.rodata,"a",@progbits
	.p2align	6, 0x0
	.amdhsa_kernel _Z21inclusive_scan_kernelILj162ELN6hipcub18BlockScanAlgorithmE0EN10test_utils16custom_test_typeIiEEEvPT1_
		.amdhsa_group_segment_fixed_size 24
		.amdhsa_private_segment_fixed_size 0
		.amdhsa_kernarg_size 8
		.amdhsa_user_sgpr_count 6
		.amdhsa_user_sgpr_private_segment_buffer 1
		.amdhsa_user_sgpr_dispatch_ptr 0
		.amdhsa_user_sgpr_queue_ptr 0
		.amdhsa_user_sgpr_kernarg_segment_ptr 1
		.amdhsa_user_sgpr_dispatch_id 0
		.amdhsa_user_sgpr_flat_scratch_init 0
		.amdhsa_user_sgpr_kernarg_preload_length 0
		.amdhsa_user_sgpr_kernarg_preload_offset 0
		.amdhsa_user_sgpr_private_segment_size 0
		.amdhsa_uses_dynamic_stack 0
		.amdhsa_system_sgpr_private_segment_wavefront_offset 0
		.amdhsa_system_sgpr_workgroup_id_x 1
		.amdhsa_system_sgpr_workgroup_id_y 0
		.amdhsa_system_sgpr_workgroup_id_z 0
		.amdhsa_system_sgpr_workgroup_info 0
		.amdhsa_system_vgpr_workitem_id 0
		.amdhsa_next_free_vgpr 12
		.amdhsa_next_free_sgpr 7
		.amdhsa_accum_offset 12
		.amdhsa_reserve_vcc 1
		.amdhsa_reserve_flat_scratch 0
		.amdhsa_float_round_mode_32 0
		.amdhsa_float_round_mode_16_64 0
		.amdhsa_float_denorm_mode_32 3
		.amdhsa_float_denorm_mode_16_64 3
		.amdhsa_dx10_clamp 1
		.amdhsa_ieee_mode 1
		.amdhsa_fp16_overflow 0
		.amdhsa_tg_split 0
		.amdhsa_exception_fp_ieee_invalid_op 0
		.amdhsa_exception_fp_denorm_src 0
		.amdhsa_exception_fp_ieee_div_zero 0
		.amdhsa_exception_fp_ieee_overflow 0
		.amdhsa_exception_fp_ieee_underflow 0
		.amdhsa_exception_fp_ieee_inexact 0
		.amdhsa_exception_int_div_zero 0
	.end_amdhsa_kernel
	.section	.text._Z21inclusive_scan_kernelILj162ELN6hipcub18BlockScanAlgorithmE0EN10test_utils16custom_test_typeIiEEEvPT1_,"axG",@progbits,_Z21inclusive_scan_kernelILj162ELN6hipcub18BlockScanAlgorithmE0EN10test_utils16custom_test_typeIiEEEvPT1_,comdat
.Lfunc_end161:
	.size	_Z21inclusive_scan_kernelILj162ELN6hipcub18BlockScanAlgorithmE0EN10test_utils16custom_test_typeIiEEEvPT1_, .Lfunc_end161-_Z21inclusive_scan_kernelILj162ELN6hipcub18BlockScanAlgorithmE0EN10test_utils16custom_test_typeIiEEEvPT1_
                                        ; -- End function
	.section	.AMDGPU.csdata,"",@progbits
; Kernel info:
; codeLenInByte = 556
; NumSgprs: 11
; NumVgprs: 12
; NumAgprs: 0
; TotalNumVgprs: 12
; ScratchSize: 0
; MemoryBound: 0
; FloatMode: 240
; IeeeMode: 1
; LDSByteSize: 24 bytes/workgroup (compile time only)
; SGPRBlocks: 1
; VGPRBlocks: 1
; NumSGPRsForWavesPerEU: 11
; NumVGPRsForWavesPerEU: 12
; AccumOffset: 12
; Occupancy: 8
; WaveLimiterHint : 0
; COMPUTE_PGM_RSRC2:SCRATCH_EN: 0
; COMPUTE_PGM_RSRC2:USER_SGPR: 6
; COMPUTE_PGM_RSRC2:TRAP_HANDLER: 0
; COMPUTE_PGM_RSRC2:TGID_X_EN: 1
; COMPUTE_PGM_RSRC2:TGID_Y_EN: 0
; COMPUTE_PGM_RSRC2:TGID_Z_EN: 0
; COMPUTE_PGM_RSRC2:TIDIG_COMP_CNT: 0
; COMPUTE_PGM_RSRC3_GFX90A:ACCUM_OFFSET: 2
; COMPUTE_PGM_RSRC3_GFX90A:TG_SPLIT: 0
	.section	.text._Z21inclusive_scan_kernelILj37ELN6hipcub18BlockScanAlgorithmE0EN10test_utils16custom_test_typeIiEEEvPT1_,"axG",@progbits,_Z21inclusive_scan_kernelILj37ELN6hipcub18BlockScanAlgorithmE0EN10test_utils16custom_test_typeIiEEEvPT1_,comdat
	.protected	_Z21inclusive_scan_kernelILj37ELN6hipcub18BlockScanAlgorithmE0EN10test_utils16custom_test_typeIiEEEvPT1_ ; -- Begin function _Z21inclusive_scan_kernelILj37ELN6hipcub18BlockScanAlgorithmE0EN10test_utils16custom_test_typeIiEEEvPT1_
	.globl	_Z21inclusive_scan_kernelILj37ELN6hipcub18BlockScanAlgorithmE0EN10test_utils16custom_test_typeIiEEEvPT1_
	.p2align	8
	.type	_Z21inclusive_scan_kernelILj37ELN6hipcub18BlockScanAlgorithmE0EN10test_utils16custom_test_typeIiEEEvPT1_,@function
_Z21inclusive_scan_kernelILj37ELN6hipcub18BlockScanAlgorithmE0EN10test_utils16custom_test_typeIiEEEvPT1_: ; @_Z21inclusive_scan_kernelILj37ELN6hipcub18BlockScanAlgorithmE0EN10test_utils16custom_test_typeIiEEEvPT1_
; %bb.0:
	s_load_dwordx2 s[0:1], s[4:5], 0x0
	v_mad_u64_u32 v[4:5], s[2:3], s6, 37, v[0:1]
	v_mov_b32_e32 v5, 0
	v_lshlrev_b64 v[2:3], 3, v[4:5]
	s_waitcnt lgkmcnt(0)
	v_mov_b32_e32 v1, s1
	v_add_co_u32_e32 v2, vcc, s0, v2
	v_addc_co_u32_e32 v3, vcc, v1, v3, vcc
	global_load_dwordx2 v[6:7], v[2:3], off
	v_mbcnt_lo_u32_b32 v1, -1, 0
	v_mbcnt_hi_u32_b32 v1, -1, v1
	v_and_b32_e32 v4, 15, v1
	v_cmp_eq_u32_e32 vcc, 0, v4
	v_bfe_i32 v8, v1, 4, 1
	s_waitcnt vmcnt(0)
	v_mov_b32_dpp v9, v6 row_shr:1 row_mask:0xf bank_mask:0xf
	v_mov_b32_dpp v10, v7 row_shr:1 row_mask:0xf bank_mask:0xf
	v_cndmask_b32_e64 v9, v9, 0, vcc
	v_cndmask_b32_e64 v10, v10, 0, vcc
	v_add_u32_e32 v6, v9, v6
	v_add_u32_e32 v7, v10, v7
	v_cmp_lt_u32_e32 vcc, 1, v4
	v_mov_b32_dpp v9, v6 row_shr:2 row_mask:0xf bank_mask:0xf
	v_mov_b32_dpp v10, v7 row_shr:2 row_mask:0xf bank_mask:0xf
	v_cndmask_b32_e32 v10, 0, v10, vcc
	v_cndmask_b32_e32 v9, 0, v9, vcc
	v_add_u32_e32 v7, v7, v10
	v_add_u32_e32 v6, v6, v9
	v_cmp_lt_u32_e32 vcc, 3, v4
	v_mov_b32_dpp v10, v7 row_shr:4 row_mask:0xf bank_mask:0xf
	v_mov_b32_dpp v9, v6 row_shr:4 row_mask:0xf bank_mask:0xf
	v_cndmask_b32_e32 v10, 0, v10, vcc
	v_cndmask_b32_e32 v9, 0, v9, vcc
	;; [unrolled: 7-line block ×3, first 2 shown]
	v_add_u32_e32 v4, v7, v4
	v_add_u32_e32 v6, v6, v9
	v_cmp_lt_u32_e32 vcc, 31, v1
	v_mov_b32_dpp v9, v4 row_bcast:15 row_mask:0xf bank_mask:0xf
	v_mov_b32_dpp v7, v6 row_bcast:15 row_mask:0xf bank_mask:0xf
	v_and_b32_e32 v7, v8, v7
	v_and_b32_e32 v8, v8, v9
	v_add_u32_e32 v6, v6, v7
	v_add_u32_e32 v4, v4, v8
	s_nop 0
	v_mov_b32_dpp v7, v6 row_bcast:31 row_mask:0xf bank_mask:0xf
	v_mov_b32_dpp v8, v4 row_bcast:31 row_mask:0xf bank_mask:0xf
	v_cndmask_b32_e32 v1, 0, v7, vcc
	v_cndmask_b32_e32 v7, 0, v8, vcc
	v_add_u32_e32 v6, v6, v1
	v_add_u32_e32 v7, v4, v7
	v_cmp_eq_u32_e32 vcc, 36, v0
	s_and_saveexec_b64 s[0:1], vcc
	s_cbranch_execz .LBB162_2
; %bb.1:
	ds_write_b64 v5, v[6:7]
.LBB162_2:
	s_or_b64 exec, exec, s[0:1]
	s_waitcnt lgkmcnt(0)
	; wave barrier
	s_waitcnt lgkmcnt(0)
	global_store_dwordx2 v[2:3], v[6:7], off
	s_endpgm
	.section	.rodata,"a",@progbits
	.p2align	6, 0x0
	.amdhsa_kernel _Z21inclusive_scan_kernelILj37ELN6hipcub18BlockScanAlgorithmE0EN10test_utils16custom_test_typeIiEEEvPT1_
		.amdhsa_group_segment_fixed_size 8
		.amdhsa_private_segment_fixed_size 0
		.amdhsa_kernarg_size 8
		.amdhsa_user_sgpr_count 6
		.amdhsa_user_sgpr_private_segment_buffer 1
		.amdhsa_user_sgpr_dispatch_ptr 0
		.amdhsa_user_sgpr_queue_ptr 0
		.amdhsa_user_sgpr_kernarg_segment_ptr 1
		.amdhsa_user_sgpr_dispatch_id 0
		.amdhsa_user_sgpr_flat_scratch_init 0
		.amdhsa_user_sgpr_kernarg_preload_length 0
		.amdhsa_user_sgpr_kernarg_preload_offset 0
		.amdhsa_user_sgpr_private_segment_size 0
		.amdhsa_uses_dynamic_stack 0
		.amdhsa_system_sgpr_private_segment_wavefront_offset 0
		.amdhsa_system_sgpr_workgroup_id_x 1
		.amdhsa_system_sgpr_workgroup_id_y 0
		.amdhsa_system_sgpr_workgroup_id_z 0
		.amdhsa_system_sgpr_workgroup_info 0
		.amdhsa_system_vgpr_workitem_id 0
		.amdhsa_next_free_vgpr 11
		.amdhsa_next_free_sgpr 7
		.amdhsa_accum_offset 12
		.amdhsa_reserve_vcc 1
		.amdhsa_reserve_flat_scratch 0
		.amdhsa_float_round_mode_32 0
		.amdhsa_float_round_mode_16_64 0
		.amdhsa_float_denorm_mode_32 3
		.amdhsa_float_denorm_mode_16_64 3
		.amdhsa_dx10_clamp 1
		.amdhsa_ieee_mode 1
		.amdhsa_fp16_overflow 0
		.amdhsa_tg_split 0
		.amdhsa_exception_fp_ieee_invalid_op 0
		.amdhsa_exception_fp_denorm_src 0
		.amdhsa_exception_fp_ieee_div_zero 0
		.amdhsa_exception_fp_ieee_overflow 0
		.amdhsa_exception_fp_ieee_underflow 0
		.amdhsa_exception_fp_ieee_inexact 0
		.amdhsa_exception_int_div_zero 0
	.end_amdhsa_kernel
	.section	.text._Z21inclusive_scan_kernelILj37ELN6hipcub18BlockScanAlgorithmE0EN10test_utils16custom_test_typeIiEEEvPT1_,"axG",@progbits,_Z21inclusive_scan_kernelILj37ELN6hipcub18BlockScanAlgorithmE0EN10test_utils16custom_test_typeIiEEEvPT1_,comdat
.Lfunc_end162:
	.size	_Z21inclusive_scan_kernelILj37ELN6hipcub18BlockScanAlgorithmE0EN10test_utils16custom_test_typeIiEEEvPT1_, .Lfunc_end162-_Z21inclusive_scan_kernelILj37ELN6hipcub18BlockScanAlgorithmE0EN10test_utils16custom_test_typeIiEEEvPT1_
                                        ; -- End function
	.section	.AMDGPU.csdata,"",@progbits
; Kernel info:
; codeLenInByte = 352
; NumSgprs: 11
; NumVgprs: 11
; NumAgprs: 0
; TotalNumVgprs: 11
; ScratchSize: 0
; MemoryBound: 0
; FloatMode: 240
; IeeeMode: 1
; LDSByteSize: 8 bytes/workgroup (compile time only)
; SGPRBlocks: 1
; VGPRBlocks: 1
; NumSGPRsForWavesPerEU: 11
; NumVGPRsForWavesPerEU: 11
; AccumOffset: 12
; Occupancy: 8
; WaveLimiterHint : 0
; COMPUTE_PGM_RSRC2:SCRATCH_EN: 0
; COMPUTE_PGM_RSRC2:USER_SGPR: 6
; COMPUTE_PGM_RSRC2:TRAP_HANDLER: 0
; COMPUTE_PGM_RSRC2:TGID_X_EN: 1
; COMPUTE_PGM_RSRC2:TGID_Y_EN: 0
; COMPUTE_PGM_RSRC2:TGID_Z_EN: 0
; COMPUTE_PGM_RSRC2:TIDIG_COMP_CNT: 0
; COMPUTE_PGM_RSRC3_GFX90A:ACCUM_OFFSET: 2
; COMPUTE_PGM_RSRC3_GFX90A:TG_SPLIT: 0
	.section	.text._Z21inclusive_scan_kernelILj65ELN6hipcub18BlockScanAlgorithmE0EN10test_utils16custom_test_typeIiEEEvPT1_,"axG",@progbits,_Z21inclusive_scan_kernelILj65ELN6hipcub18BlockScanAlgorithmE0EN10test_utils16custom_test_typeIiEEEvPT1_,comdat
	.protected	_Z21inclusive_scan_kernelILj65ELN6hipcub18BlockScanAlgorithmE0EN10test_utils16custom_test_typeIiEEEvPT1_ ; -- Begin function _Z21inclusive_scan_kernelILj65ELN6hipcub18BlockScanAlgorithmE0EN10test_utils16custom_test_typeIiEEEvPT1_
	.globl	_Z21inclusive_scan_kernelILj65ELN6hipcub18BlockScanAlgorithmE0EN10test_utils16custom_test_typeIiEEEvPT1_
	.p2align	8
	.type	_Z21inclusive_scan_kernelILj65ELN6hipcub18BlockScanAlgorithmE0EN10test_utils16custom_test_typeIiEEEvPT1_,@function
_Z21inclusive_scan_kernelILj65ELN6hipcub18BlockScanAlgorithmE0EN10test_utils16custom_test_typeIiEEEvPT1_: ; @_Z21inclusive_scan_kernelILj65ELN6hipcub18BlockScanAlgorithmE0EN10test_utils16custom_test_typeIiEEEvPT1_
; %bb.0:
	s_load_dwordx2 s[0:1], s[4:5], 0x0
	s_mulk_i32 s6, 0x41
	v_add_u32_e32 v2, s6, v0
	v_mov_b32_e32 v3, 0
	v_lshlrev_b64 v[2:3], 3, v[2:3]
	s_waitcnt lgkmcnt(0)
	v_mov_b32_e32 v1, s1
	v_add_co_u32_e32 v2, vcc, s0, v2
	v_addc_co_u32_e32 v3, vcc, v1, v3, vcc
	global_load_dwordx2 v[4:5], v[2:3], off
	v_mbcnt_lo_u32_b32 v1, -1, 0
	v_mbcnt_hi_u32_b32 v1, -1, v1
	v_cmp_gt_u32_e64 s[0:1], 64, v0
	v_and_b32_e32 v8, 15, v1
	v_cndmask_b32_e64 v7, 64, 63, s[0:1]
	v_cmp_eq_u32_e64 s[0:1], 0, v8
	v_bfe_i32 v9, v1, 4, 1
	v_lshrrev_b32_e32 v6, 6, v0
	v_cmp_lt_u32_e32 vcc, 63, v0
	s_waitcnt vmcnt(0)
	v_mov_b32_dpp v10, v4 row_shr:1 row_mask:0xf bank_mask:0xf
	v_mov_b32_dpp v11, v5 row_shr:1 row_mask:0xf bank_mask:0xf
	v_cndmask_b32_e64 v10, v10, 0, s[0:1]
	v_cndmask_b32_e64 v11, v11, 0, s[0:1]
	v_add_u32_e32 v4, v10, v4
	v_add_u32_e32 v5, v11, v5
	v_cmp_lt_u32_e64 s[0:1], 1, v8
	v_mov_b32_dpp v10, v4 row_shr:2 row_mask:0xf bank_mask:0xf
	v_mov_b32_dpp v11, v5 row_shr:2 row_mask:0xf bank_mask:0xf
	v_cndmask_b32_e64 v11, 0, v11, s[0:1]
	v_cndmask_b32_e64 v10, 0, v10, s[0:1]
	v_add_u32_e32 v5, v5, v11
	v_add_u32_e32 v4, v4, v10
	v_cmp_lt_u32_e64 s[0:1], 3, v8
	;; [unrolled: 7-line block ×4, first 2 shown]
	v_mov_b32_dpp v10, v5 row_bcast:15 row_mask:0xf bank_mask:0xf
	v_mov_b32_dpp v8, v4 row_bcast:15 row_mask:0xf bank_mask:0xf
	v_and_b32_e32 v8, v9, v8
	v_and_b32_e32 v9, v9, v10
	v_add_u32_e32 v4, v4, v8
	v_add_u32_e32 v5, v5, v9
	s_nop 0
	v_mov_b32_dpp v8, v4 row_bcast:31 row_mask:0xf bank_mask:0xf
	v_mov_b32_dpp v9, v5 row_bcast:31 row_mask:0xf bank_mask:0xf
	v_cndmask_b32_e64 v8, 0, v8, s[0:1]
	v_cndmask_b32_e64 v9, 0, v9, s[0:1]
	v_add_u32_e32 v4, v4, v8
	v_add_u32_e32 v5, v5, v9
	v_cmp_eq_u32_e64 s[0:1], v7, v0
	s_and_saveexec_b64 s[2:3], s[0:1]
	s_cbranch_execz .LBB163_2
; %bb.1:
	v_lshlrev_b32_e32 v7, 3, v6
	ds_write2_b32 v7, v4, v5 offset1:1
.LBB163_2:
	s_or_b64 exec, exec, s[2:3]
	v_cmp_gt_u32_e64 s[0:1], 2, v0
	s_waitcnt lgkmcnt(0)
	s_barrier
	s_and_saveexec_b64 s[2:3], s[0:1]
	s_cbranch_execz .LBB163_4
; %bb.3:
	v_lshlrev_b32_e32 v0, 3, v0
	ds_read2_b32 v[8:9], v0 offset1:1
	v_bfe_i32 v1, v1, 0, 1
	s_waitcnt lgkmcnt(0)
	v_mov_b32_dpp v7, v8 row_shr:1 row_mask:0xf bank_mask:0xf
	v_mov_b32_dpp v10, v9 row_shr:1 row_mask:0xf bank_mask:0xf
	v_and_b32_e32 v7, v1, v7
	v_and_b32_e32 v1, v1, v10
	v_add_u32_e32 v7, v7, v8
	v_add_u32_e32 v1, v1, v9
	ds_write2_b32 v0, v7, v1 offset1:1
.LBB163_4:
	s_or_b64 exec, exec, s[2:3]
	s_waitcnt lgkmcnt(0)
	s_barrier
	s_and_saveexec_b64 s[0:1], vcc
	s_cbranch_execz .LBB163_6
; %bb.5:
	v_lshl_add_u32 v0, v6, 3, -8
	ds_read2_b32 v[0:1], v0 offset1:1
	s_waitcnt lgkmcnt(0)
	v_add_u32_e32 v4, v4, v0
	v_add_u32_e32 v5, v5, v1
.LBB163_6:
	s_or_b64 exec, exec, s[0:1]
	global_store_dwordx2 v[2:3], v[4:5], off
	s_endpgm
	.section	.rodata,"a",@progbits
	.p2align	6, 0x0
	.amdhsa_kernel _Z21inclusive_scan_kernelILj65ELN6hipcub18BlockScanAlgorithmE0EN10test_utils16custom_test_typeIiEEEvPT1_
		.amdhsa_group_segment_fixed_size 16
		.amdhsa_private_segment_fixed_size 0
		.amdhsa_kernarg_size 8
		.amdhsa_user_sgpr_count 6
		.amdhsa_user_sgpr_private_segment_buffer 1
		.amdhsa_user_sgpr_dispatch_ptr 0
		.amdhsa_user_sgpr_queue_ptr 0
		.amdhsa_user_sgpr_kernarg_segment_ptr 1
		.amdhsa_user_sgpr_dispatch_id 0
		.amdhsa_user_sgpr_flat_scratch_init 0
		.amdhsa_user_sgpr_kernarg_preload_length 0
		.amdhsa_user_sgpr_kernarg_preload_offset 0
		.amdhsa_user_sgpr_private_segment_size 0
		.amdhsa_uses_dynamic_stack 0
		.amdhsa_system_sgpr_private_segment_wavefront_offset 0
		.amdhsa_system_sgpr_workgroup_id_x 1
		.amdhsa_system_sgpr_workgroup_id_y 0
		.amdhsa_system_sgpr_workgroup_id_z 0
		.amdhsa_system_sgpr_workgroup_info 0
		.amdhsa_system_vgpr_workitem_id 0
		.amdhsa_next_free_vgpr 12
		.amdhsa_next_free_sgpr 7
		.amdhsa_accum_offset 12
		.amdhsa_reserve_vcc 1
		.amdhsa_reserve_flat_scratch 0
		.amdhsa_float_round_mode_32 0
		.amdhsa_float_round_mode_16_64 0
		.amdhsa_float_denorm_mode_32 3
		.amdhsa_float_denorm_mode_16_64 3
		.amdhsa_dx10_clamp 1
		.amdhsa_ieee_mode 1
		.amdhsa_fp16_overflow 0
		.amdhsa_tg_split 0
		.amdhsa_exception_fp_ieee_invalid_op 0
		.amdhsa_exception_fp_denorm_src 0
		.amdhsa_exception_fp_ieee_div_zero 0
		.amdhsa_exception_fp_ieee_overflow 0
		.amdhsa_exception_fp_ieee_underflow 0
		.amdhsa_exception_fp_ieee_inexact 0
		.amdhsa_exception_int_div_zero 0
	.end_amdhsa_kernel
	.section	.text._Z21inclusive_scan_kernelILj65ELN6hipcub18BlockScanAlgorithmE0EN10test_utils16custom_test_typeIiEEEvPT1_,"axG",@progbits,_Z21inclusive_scan_kernelILj65ELN6hipcub18BlockScanAlgorithmE0EN10test_utils16custom_test_typeIiEEEvPT1_,comdat
.Lfunc_end163:
	.size	_Z21inclusive_scan_kernelILj65ELN6hipcub18BlockScanAlgorithmE0EN10test_utils16custom_test_typeIiEEEvPT1_, .Lfunc_end163-_Z21inclusive_scan_kernelILj65ELN6hipcub18BlockScanAlgorithmE0EN10test_utils16custom_test_typeIiEEEvPT1_
                                        ; -- End function
	.section	.AMDGPU.csdata,"",@progbits
; Kernel info:
; codeLenInByte = 568
; NumSgprs: 11
; NumVgprs: 12
; NumAgprs: 0
; TotalNumVgprs: 12
; ScratchSize: 0
; MemoryBound: 0
; FloatMode: 240
; IeeeMode: 1
; LDSByteSize: 16 bytes/workgroup (compile time only)
; SGPRBlocks: 1
; VGPRBlocks: 1
; NumSGPRsForWavesPerEU: 11
; NumVGPRsForWavesPerEU: 12
; AccumOffset: 12
; Occupancy: 8
; WaveLimiterHint : 0
; COMPUTE_PGM_RSRC2:SCRATCH_EN: 0
; COMPUTE_PGM_RSRC2:USER_SGPR: 6
; COMPUTE_PGM_RSRC2:TRAP_HANDLER: 0
; COMPUTE_PGM_RSRC2:TGID_X_EN: 1
; COMPUTE_PGM_RSRC2:TGID_Y_EN: 0
; COMPUTE_PGM_RSRC2:TGID_Z_EN: 0
; COMPUTE_PGM_RSRC2:TIDIG_COMP_CNT: 0
; COMPUTE_PGM_RSRC3_GFX90A:ACCUM_OFFSET: 2
; COMPUTE_PGM_RSRC3_GFX90A:TG_SPLIT: 0
	.section	.text._Z21inclusive_scan_kernelILj512ELN6hipcub18BlockScanAlgorithmE0EN10test_utils16custom_test_typeIiEEEvPT1_,"axG",@progbits,_Z21inclusive_scan_kernelILj512ELN6hipcub18BlockScanAlgorithmE0EN10test_utils16custom_test_typeIiEEEvPT1_,comdat
	.protected	_Z21inclusive_scan_kernelILj512ELN6hipcub18BlockScanAlgorithmE0EN10test_utils16custom_test_typeIiEEEvPT1_ ; -- Begin function _Z21inclusive_scan_kernelILj512ELN6hipcub18BlockScanAlgorithmE0EN10test_utils16custom_test_typeIiEEEvPT1_
	.globl	_Z21inclusive_scan_kernelILj512ELN6hipcub18BlockScanAlgorithmE0EN10test_utils16custom_test_typeIiEEEvPT1_
	.p2align	8
	.type	_Z21inclusive_scan_kernelILj512ELN6hipcub18BlockScanAlgorithmE0EN10test_utils16custom_test_typeIiEEEvPT1_,@function
_Z21inclusive_scan_kernelILj512ELN6hipcub18BlockScanAlgorithmE0EN10test_utils16custom_test_typeIiEEEvPT1_: ; @_Z21inclusive_scan_kernelILj512ELN6hipcub18BlockScanAlgorithmE0EN10test_utils16custom_test_typeIiEEEvPT1_
; %bb.0:
	s_load_dwordx2 s[0:1], s[4:5], 0x0
	v_lshl_or_b32 v2, s6, 9, v0
	v_mov_b32_e32 v3, 0
	v_lshlrev_b64 v[2:3], 3, v[2:3]
	v_or_b32_e32 v7, 63, v0
	s_waitcnt lgkmcnt(0)
	v_mov_b32_e32 v1, s1
	v_add_co_u32_e32 v2, vcc, s0, v2
	v_addc_co_u32_e32 v3, vcc, v1, v3, vcc
	global_load_dwordx2 v[4:5], v[2:3], off
	v_mbcnt_lo_u32_b32 v1, -1, 0
	v_mbcnt_hi_u32_b32 v1, -1, v1
	v_and_b32_e32 v8, 15, v1
	v_cmp_eq_u32_e32 vcc, 0, v8
	v_bfe_i32 v9, v1, 4, 1
	v_lshrrev_b32_e32 v6, 6, v0
	s_waitcnt vmcnt(0)
	v_mov_b32_dpp v10, v4 row_shr:1 row_mask:0xf bank_mask:0xf
	v_mov_b32_dpp v11, v5 row_shr:1 row_mask:0xf bank_mask:0xf
	v_cndmask_b32_e64 v10, v10, 0, vcc
	v_cndmask_b32_e64 v11, v11, 0, vcc
	v_add_u32_e32 v4, v10, v4
	v_add_u32_e32 v5, v11, v5
	v_cmp_lt_u32_e32 vcc, 1, v8
	v_mov_b32_dpp v10, v4 row_shr:2 row_mask:0xf bank_mask:0xf
	v_mov_b32_dpp v11, v5 row_shr:2 row_mask:0xf bank_mask:0xf
	v_cndmask_b32_e32 v11, 0, v11, vcc
	v_cndmask_b32_e32 v10, 0, v10, vcc
	v_add_u32_e32 v5, v5, v11
	v_add_u32_e32 v4, v4, v10
	v_cmp_lt_u32_e32 vcc, 3, v8
	v_mov_b32_dpp v11, v5 row_shr:4 row_mask:0xf bank_mask:0xf
	v_mov_b32_dpp v10, v4 row_shr:4 row_mask:0xf bank_mask:0xf
	v_cndmask_b32_e32 v11, 0, v11, vcc
	v_cndmask_b32_e32 v10, 0, v10, vcc
	;; [unrolled: 7-line block ×3, first 2 shown]
	v_add_u32_e32 v5, v5, v8
	v_add_u32_e32 v4, v4, v10
	v_cmp_lt_u32_e32 vcc, 31, v1
	v_mov_b32_dpp v10, v5 row_bcast:15 row_mask:0xf bank_mask:0xf
	v_mov_b32_dpp v8, v4 row_bcast:15 row_mask:0xf bank_mask:0xf
	v_and_b32_e32 v8, v9, v8
	v_and_b32_e32 v9, v9, v10
	v_add_u32_e32 v4, v4, v8
	v_add_u32_e32 v5, v5, v9
	s_nop 0
	v_mov_b32_dpp v8, v4 row_bcast:31 row_mask:0xf bank_mask:0xf
	v_mov_b32_dpp v9, v5 row_bcast:31 row_mask:0xf bank_mask:0xf
	v_cndmask_b32_e32 v8, 0, v8, vcc
	v_cndmask_b32_e32 v9, 0, v9, vcc
	v_add_u32_e32 v4, v4, v8
	v_add_u32_e32 v5, v5, v9
	v_cmp_eq_u32_e32 vcc, v7, v0
	s_and_saveexec_b64 s[0:1], vcc
	s_cbranch_execz .LBB164_2
; %bb.1:
	v_lshlrev_b32_e32 v7, 3, v6
	ds_write2_b32 v7, v4, v5 offset1:1
.LBB164_2:
	s_or_b64 exec, exec, s[0:1]
	v_cmp_gt_u32_e32 vcc, 8, v0
	s_waitcnt lgkmcnt(0)
	s_barrier
	s_and_saveexec_b64 s[0:1], vcc
	s_cbranch_execz .LBB164_4
; %bb.3:
	v_lshlrev_b32_e32 v7, 3, v0
	ds_read2_b32 v[8:9], v7 offset1:1
	v_and_b32_e32 v1, 7, v1
	v_cmp_eq_u32_e32 vcc, 0, v1
	s_waitcnt lgkmcnt(0)
	v_mov_b32_dpp v10, v8 row_shr:1 row_mask:0xf bank_mask:0xf
	v_mov_b32_dpp v11, v9 row_shr:1 row_mask:0xf bank_mask:0xf
	v_cndmask_b32_e64 v10, v10, 0, vcc
	v_cndmask_b32_e64 v11, v11, 0, vcc
	v_add_u32_e32 v8, v10, v8
	v_add_u32_e32 v9, v11, v9
	v_cmp_lt_u32_e32 vcc, 1, v1
	v_mov_b32_dpp v10, v8 row_shr:2 row_mask:0xf bank_mask:0xf
	v_mov_b32_dpp v11, v9 row_shr:2 row_mask:0xf bank_mask:0xf
	v_cndmask_b32_e32 v10, 0, v10, vcc
	v_cndmask_b32_e32 v11, 0, v11, vcc
	v_add_u32_e32 v8, v10, v8
	v_add_u32_e32 v9, v11, v9
	v_cmp_lt_u32_e32 vcc, 3, v1
	v_mov_b32_dpp v10, v8 row_shr:4 row_mask:0xf bank_mask:0xf
	v_mov_b32_dpp v11, v9 row_shr:4 row_mask:0xf bank_mask:0xf
	v_cndmask_b32_e32 v1, 0, v10, vcc
	v_add_u32_e32 v1, v1, v8
	v_cndmask_b32_e32 v8, 0, v11, vcc
	v_add_u32_e32 v8, v8, v9
	ds_write2_b32 v7, v1, v8 offset1:1
.LBB164_4:
	s_or_b64 exec, exec, s[0:1]
	v_cmp_lt_u32_e32 vcc, 63, v0
	s_waitcnt lgkmcnt(0)
	s_barrier
	s_and_saveexec_b64 s[0:1], vcc
	s_cbranch_execz .LBB164_6
; %bb.5:
	v_lshl_add_u32 v0, v6, 3, -8
	ds_read2_b32 v[0:1], v0 offset1:1
	s_waitcnt lgkmcnt(0)
	v_add_u32_e32 v4, v4, v0
	v_add_u32_e32 v5, v5, v1
.LBB164_6:
	s_or_b64 exec, exec, s[0:1]
	global_store_dwordx2 v[2:3], v[4:5], off
	s_endpgm
	.section	.rodata,"a",@progbits
	.p2align	6, 0x0
	.amdhsa_kernel _Z21inclusive_scan_kernelILj512ELN6hipcub18BlockScanAlgorithmE0EN10test_utils16custom_test_typeIiEEEvPT1_
		.amdhsa_group_segment_fixed_size 64
		.amdhsa_private_segment_fixed_size 0
		.amdhsa_kernarg_size 8
		.amdhsa_user_sgpr_count 6
		.amdhsa_user_sgpr_private_segment_buffer 1
		.amdhsa_user_sgpr_dispatch_ptr 0
		.amdhsa_user_sgpr_queue_ptr 0
		.amdhsa_user_sgpr_kernarg_segment_ptr 1
		.amdhsa_user_sgpr_dispatch_id 0
		.amdhsa_user_sgpr_flat_scratch_init 0
		.amdhsa_user_sgpr_kernarg_preload_length 0
		.amdhsa_user_sgpr_kernarg_preload_offset 0
		.amdhsa_user_sgpr_private_segment_size 0
		.amdhsa_uses_dynamic_stack 0
		.amdhsa_system_sgpr_private_segment_wavefront_offset 0
		.amdhsa_system_sgpr_workgroup_id_x 1
		.amdhsa_system_sgpr_workgroup_id_y 0
		.amdhsa_system_sgpr_workgroup_id_z 0
		.amdhsa_system_sgpr_workgroup_info 0
		.amdhsa_system_vgpr_workitem_id 0
		.amdhsa_next_free_vgpr 12
		.amdhsa_next_free_sgpr 7
		.amdhsa_accum_offset 12
		.amdhsa_reserve_vcc 1
		.amdhsa_reserve_flat_scratch 0
		.amdhsa_float_round_mode_32 0
		.amdhsa_float_round_mode_16_64 0
		.amdhsa_float_denorm_mode_32 3
		.amdhsa_float_denorm_mode_16_64 3
		.amdhsa_dx10_clamp 1
		.amdhsa_ieee_mode 1
		.amdhsa_fp16_overflow 0
		.amdhsa_tg_split 0
		.amdhsa_exception_fp_ieee_invalid_op 0
		.amdhsa_exception_fp_denorm_src 0
		.amdhsa_exception_fp_ieee_div_zero 0
		.amdhsa_exception_fp_ieee_overflow 0
		.amdhsa_exception_fp_ieee_underflow 0
		.amdhsa_exception_fp_ieee_inexact 0
		.amdhsa_exception_int_div_zero 0
	.end_amdhsa_kernel
	.section	.text._Z21inclusive_scan_kernelILj512ELN6hipcub18BlockScanAlgorithmE0EN10test_utils16custom_test_typeIiEEEvPT1_,"axG",@progbits,_Z21inclusive_scan_kernelILj512ELN6hipcub18BlockScanAlgorithmE0EN10test_utils16custom_test_typeIiEEEvPT1_,comdat
.Lfunc_end164:
	.size	_Z21inclusive_scan_kernelILj512ELN6hipcub18BlockScanAlgorithmE0EN10test_utils16custom_test_typeIiEEEvPT1_, .Lfunc_end164-_Z21inclusive_scan_kernelILj512ELN6hipcub18BlockScanAlgorithmE0EN10test_utils16custom_test_typeIiEEEvPT1_
                                        ; -- End function
	.section	.AMDGPU.csdata,"",@progbits
; Kernel info:
; codeLenInByte = 576
; NumSgprs: 11
; NumVgprs: 12
; NumAgprs: 0
; TotalNumVgprs: 12
; ScratchSize: 0
; MemoryBound: 0
; FloatMode: 240
; IeeeMode: 1
; LDSByteSize: 64 bytes/workgroup (compile time only)
; SGPRBlocks: 1
; VGPRBlocks: 1
; NumSGPRsForWavesPerEU: 11
; NumVGPRsForWavesPerEU: 12
; AccumOffset: 12
; Occupancy: 8
; WaveLimiterHint : 0
; COMPUTE_PGM_RSRC2:SCRATCH_EN: 0
; COMPUTE_PGM_RSRC2:USER_SGPR: 6
; COMPUTE_PGM_RSRC2:TRAP_HANDLER: 0
; COMPUTE_PGM_RSRC2:TGID_X_EN: 1
; COMPUTE_PGM_RSRC2:TGID_Y_EN: 0
; COMPUTE_PGM_RSRC2:TGID_Z_EN: 0
; COMPUTE_PGM_RSRC2:TIDIG_COMP_CNT: 0
; COMPUTE_PGM_RSRC3_GFX90A:ACCUM_OFFSET: 2
; COMPUTE_PGM_RSRC3_GFX90A:TG_SPLIT: 0
	.section	.text._Z21inclusive_scan_kernelILj256ELN6hipcub18BlockScanAlgorithmE0EN10test_utils16custom_test_typeIiEEEvPT1_,"axG",@progbits,_Z21inclusive_scan_kernelILj256ELN6hipcub18BlockScanAlgorithmE0EN10test_utils16custom_test_typeIiEEEvPT1_,comdat
	.protected	_Z21inclusive_scan_kernelILj256ELN6hipcub18BlockScanAlgorithmE0EN10test_utils16custom_test_typeIiEEEvPT1_ ; -- Begin function _Z21inclusive_scan_kernelILj256ELN6hipcub18BlockScanAlgorithmE0EN10test_utils16custom_test_typeIiEEEvPT1_
	.globl	_Z21inclusive_scan_kernelILj256ELN6hipcub18BlockScanAlgorithmE0EN10test_utils16custom_test_typeIiEEEvPT1_
	.p2align	8
	.type	_Z21inclusive_scan_kernelILj256ELN6hipcub18BlockScanAlgorithmE0EN10test_utils16custom_test_typeIiEEEvPT1_,@function
_Z21inclusive_scan_kernelILj256ELN6hipcub18BlockScanAlgorithmE0EN10test_utils16custom_test_typeIiEEEvPT1_: ; @_Z21inclusive_scan_kernelILj256ELN6hipcub18BlockScanAlgorithmE0EN10test_utils16custom_test_typeIiEEEvPT1_
; %bb.0:
	s_load_dwordx2 s[0:1], s[4:5], 0x0
	v_lshl_or_b32 v2, s6, 8, v0
	v_mov_b32_e32 v3, 0
	v_lshlrev_b64 v[2:3], 3, v[2:3]
	v_or_b32_e32 v7, 63, v0
	s_waitcnt lgkmcnt(0)
	v_mov_b32_e32 v1, s1
	v_add_co_u32_e32 v2, vcc, s0, v2
	v_addc_co_u32_e32 v3, vcc, v1, v3, vcc
	global_load_dwordx2 v[4:5], v[2:3], off
	v_mbcnt_lo_u32_b32 v1, -1, 0
	v_mbcnt_hi_u32_b32 v1, -1, v1
	v_and_b32_e32 v8, 15, v1
	v_cmp_eq_u32_e32 vcc, 0, v8
	v_bfe_i32 v9, v1, 4, 1
	v_lshrrev_b32_e32 v6, 6, v0
	s_waitcnt vmcnt(0)
	v_mov_b32_dpp v10, v4 row_shr:1 row_mask:0xf bank_mask:0xf
	v_mov_b32_dpp v11, v5 row_shr:1 row_mask:0xf bank_mask:0xf
	v_cndmask_b32_e64 v10, v10, 0, vcc
	v_cndmask_b32_e64 v11, v11, 0, vcc
	v_add_u32_e32 v4, v10, v4
	v_add_u32_e32 v5, v11, v5
	v_cmp_lt_u32_e32 vcc, 1, v8
	v_mov_b32_dpp v10, v4 row_shr:2 row_mask:0xf bank_mask:0xf
	v_mov_b32_dpp v11, v5 row_shr:2 row_mask:0xf bank_mask:0xf
	v_cndmask_b32_e32 v11, 0, v11, vcc
	v_cndmask_b32_e32 v10, 0, v10, vcc
	v_add_u32_e32 v5, v5, v11
	v_add_u32_e32 v4, v4, v10
	v_cmp_lt_u32_e32 vcc, 3, v8
	v_mov_b32_dpp v11, v5 row_shr:4 row_mask:0xf bank_mask:0xf
	v_mov_b32_dpp v10, v4 row_shr:4 row_mask:0xf bank_mask:0xf
	v_cndmask_b32_e32 v11, 0, v11, vcc
	v_cndmask_b32_e32 v10, 0, v10, vcc
	;; [unrolled: 7-line block ×3, first 2 shown]
	v_add_u32_e32 v5, v5, v8
	v_add_u32_e32 v4, v4, v10
	v_cmp_lt_u32_e32 vcc, 31, v1
	v_mov_b32_dpp v10, v5 row_bcast:15 row_mask:0xf bank_mask:0xf
	v_mov_b32_dpp v8, v4 row_bcast:15 row_mask:0xf bank_mask:0xf
	v_and_b32_e32 v8, v9, v8
	v_and_b32_e32 v9, v9, v10
	v_add_u32_e32 v4, v4, v8
	v_add_u32_e32 v5, v5, v9
	s_nop 0
	v_mov_b32_dpp v8, v4 row_bcast:31 row_mask:0xf bank_mask:0xf
	v_mov_b32_dpp v9, v5 row_bcast:31 row_mask:0xf bank_mask:0xf
	v_cndmask_b32_e32 v8, 0, v8, vcc
	v_cndmask_b32_e32 v9, 0, v9, vcc
	v_add_u32_e32 v4, v4, v8
	v_add_u32_e32 v5, v5, v9
	v_cmp_eq_u32_e32 vcc, v7, v0
	s_and_saveexec_b64 s[0:1], vcc
	s_cbranch_execz .LBB165_2
; %bb.1:
	v_lshlrev_b32_e32 v7, 3, v6
	ds_write2_b32 v7, v4, v5 offset1:1
.LBB165_2:
	s_or_b64 exec, exec, s[0:1]
	v_cmp_gt_u32_e32 vcc, 4, v0
	s_waitcnt lgkmcnt(0)
	s_barrier
	s_and_saveexec_b64 s[0:1], vcc
	s_cbranch_execz .LBB165_4
; %bb.3:
	v_lshlrev_b32_e32 v7, 3, v0
	ds_read2_b32 v[8:9], v7 offset1:1
	v_and_b32_e32 v1, 3, v1
	v_cmp_eq_u32_e32 vcc, 0, v1
	s_waitcnt lgkmcnt(0)
	v_mov_b32_dpp v10, v8 row_shr:1 row_mask:0xf bank_mask:0xf
	v_mov_b32_dpp v11, v9 row_shr:1 row_mask:0xf bank_mask:0xf
	v_cndmask_b32_e64 v10, v10, 0, vcc
	v_cndmask_b32_e64 v11, v11, 0, vcc
	v_add_u32_e32 v8, v10, v8
	v_add_u32_e32 v9, v11, v9
	v_cmp_lt_u32_e32 vcc, 1, v1
	v_mov_b32_dpp v10, v8 row_shr:2 row_mask:0xf bank_mask:0xf
	v_mov_b32_dpp v11, v9 row_shr:2 row_mask:0xf bank_mask:0xf
	v_cndmask_b32_e32 v1, 0, v10, vcc
	v_add_u32_e32 v1, v1, v8
	v_cndmask_b32_e32 v8, 0, v11, vcc
	v_add_u32_e32 v8, v8, v9
	ds_write2_b32 v7, v1, v8 offset1:1
.LBB165_4:
	s_or_b64 exec, exec, s[0:1]
	v_cmp_lt_u32_e32 vcc, 63, v0
	s_waitcnt lgkmcnt(0)
	s_barrier
	s_and_saveexec_b64 s[0:1], vcc
	s_cbranch_execz .LBB165_6
; %bb.5:
	v_lshl_add_u32 v0, v6, 3, -8
	ds_read2_b32 v[0:1], v0 offset1:1
	s_waitcnt lgkmcnt(0)
	v_add_u32_e32 v4, v4, v0
	v_add_u32_e32 v5, v5, v1
.LBB165_6:
	s_or_b64 exec, exec, s[0:1]
	global_store_dwordx2 v[2:3], v[4:5], off
	s_endpgm
	.section	.rodata,"a",@progbits
	.p2align	6, 0x0
	.amdhsa_kernel _Z21inclusive_scan_kernelILj256ELN6hipcub18BlockScanAlgorithmE0EN10test_utils16custom_test_typeIiEEEvPT1_
		.amdhsa_group_segment_fixed_size 32
		.amdhsa_private_segment_fixed_size 0
		.amdhsa_kernarg_size 8
		.amdhsa_user_sgpr_count 6
		.amdhsa_user_sgpr_private_segment_buffer 1
		.amdhsa_user_sgpr_dispatch_ptr 0
		.amdhsa_user_sgpr_queue_ptr 0
		.amdhsa_user_sgpr_kernarg_segment_ptr 1
		.amdhsa_user_sgpr_dispatch_id 0
		.amdhsa_user_sgpr_flat_scratch_init 0
		.amdhsa_user_sgpr_kernarg_preload_length 0
		.amdhsa_user_sgpr_kernarg_preload_offset 0
		.amdhsa_user_sgpr_private_segment_size 0
		.amdhsa_uses_dynamic_stack 0
		.amdhsa_system_sgpr_private_segment_wavefront_offset 0
		.amdhsa_system_sgpr_workgroup_id_x 1
		.amdhsa_system_sgpr_workgroup_id_y 0
		.amdhsa_system_sgpr_workgroup_id_z 0
		.amdhsa_system_sgpr_workgroup_info 0
		.amdhsa_system_vgpr_workitem_id 0
		.amdhsa_next_free_vgpr 12
		.amdhsa_next_free_sgpr 7
		.amdhsa_accum_offset 12
		.amdhsa_reserve_vcc 1
		.amdhsa_reserve_flat_scratch 0
		.amdhsa_float_round_mode_32 0
		.amdhsa_float_round_mode_16_64 0
		.amdhsa_float_denorm_mode_32 3
		.amdhsa_float_denorm_mode_16_64 3
		.amdhsa_dx10_clamp 1
		.amdhsa_ieee_mode 1
		.amdhsa_fp16_overflow 0
		.amdhsa_tg_split 0
		.amdhsa_exception_fp_ieee_invalid_op 0
		.amdhsa_exception_fp_denorm_src 0
		.amdhsa_exception_fp_ieee_div_zero 0
		.amdhsa_exception_fp_ieee_overflow 0
		.amdhsa_exception_fp_ieee_underflow 0
		.amdhsa_exception_fp_ieee_inexact 0
		.amdhsa_exception_int_div_zero 0
	.end_amdhsa_kernel
	.section	.text._Z21inclusive_scan_kernelILj256ELN6hipcub18BlockScanAlgorithmE0EN10test_utils16custom_test_typeIiEEEvPT1_,"axG",@progbits,_Z21inclusive_scan_kernelILj256ELN6hipcub18BlockScanAlgorithmE0EN10test_utils16custom_test_typeIiEEEvPT1_,comdat
.Lfunc_end165:
	.size	_Z21inclusive_scan_kernelILj256ELN6hipcub18BlockScanAlgorithmE0EN10test_utils16custom_test_typeIiEEEvPT1_, .Lfunc_end165-_Z21inclusive_scan_kernelILj256ELN6hipcub18BlockScanAlgorithmE0EN10test_utils16custom_test_typeIiEEEvPT1_
                                        ; -- End function
	.section	.AMDGPU.csdata,"",@progbits
; Kernel info:
; codeLenInByte = 540
; NumSgprs: 11
; NumVgprs: 12
; NumAgprs: 0
; TotalNumVgprs: 12
; ScratchSize: 0
; MemoryBound: 0
; FloatMode: 240
; IeeeMode: 1
; LDSByteSize: 32 bytes/workgroup (compile time only)
; SGPRBlocks: 1
; VGPRBlocks: 1
; NumSGPRsForWavesPerEU: 11
; NumVGPRsForWavesPerEU: 12
; AccumOffset: 12
; Occupancy: 8
; WaveLimiterHint : 0
; COMPUTE_PGM_RSRC2:SCRATCH_EN: 0
; COMPUTE_PGM_RSRC2:USER_SGPR: 6
; COMPUTE_PGM_RSRC2:TRAP_HANDLER: 0
; COMPUTE_PGM_RSRC2:TGID_X_EN: 1
; COMPUTE_PGM_RSRC2:TGID_Y_EN: 0
; COMPUTE_PGM_RSRC2:TGID_Z_EN: 0
; COMPUTE_PGM_RSRC2:TIDIG_COMP_CNT: 0
; COMPUTE_PGM_RSRC3_GFX90A:ACCUM_OFFSET: 2
; COMPUTE_PGM_RSRC3_GFX90A:TG_SPLIT: 0
	.section	.text._Z21inclusive_scan_kernelILj128ELN6hipcub18BlockScanAlgorithmE0EN10test_utils16custom_test_typeIiEEEvPT1_,"axG",@progbits,_Z21inclusive_scan_kernelILj128ELN6hipcub18BlockScanAlgorithmE0EN10test_utils16custom_test_typeIiEEEvPT1_,comdat
	.protected	_Z21inclusive_scan_kernelILj128ELN6hipcub18BlockScanAlgorithmE0EN10test_utils16custom_test_typeIiEEEvPT1_ ; -- Begin function _Z21inclusive_scan_kernelILj128ELN6hipcub18BlockScanAlgorithmE0EN10test_utils16custom_test_typeIiEEEvPT1_
	.globl	_Z21inclusive_scan_kernelILj128ELN6hipcub18BlockScanAlgorithmE0EN10test_utils16custom_test_typeIiEEEvPT1_
	.p2align	8
	.type	_Z21inclusive_scan_kernelILj128ELN6hipcub18BlockScanAlgorithmE0EN10test_utils16custom_test_typeIiEEEvPT1_,@function
_Z21inclusive_scan_kernelILj128ELN6hipcub18BlockScanAlgorithmE0EN10test_utils16custom_test_typeIiEEEvPT1_: ; @_Z21inclusive_scan_kernelILj128ELN6hipcub18BlockScanAlgorithmE0EN10test_utils16custom_test_typeIiEEEvPT1_
; %bb.0:
	s_load_dwordx2 s[0:1], s[4:5], 0x0
	v_lshl_or_b32 v2, s6, 7, v0
	v_mov_b32_e32 v3, 0
	v_lshlrev_b64 v[2:3], 3, v[2:3]
	v_or_b32_e32 v7, 63, v0
	s_waitcnt lgkmcnt(0)
	v_mov_b32_e32 v1, s1
	v_add_co_u32_e32 v2, vcc, s0, v2
	v_addc_co_u32_e32 v3, vcc, v1, v3, vcc
	global_load_dwordx2 v[4:5], v[2:3], off
	v_mbcnt_lo_u32_b32 v1, -1, 0
	v_mbcnt_hi_u32_b32 v1, -1, v1
	v_and_b32_e32 v8, 15, v1
	v_cmp_eq_u32_e32 vcc, 0, v8
	v_bfe_i32 v9, v1, 4, 1
	v_lshrrev_b32_e32 v6, 6, v0
	s_waitcnt vmcnt(0)
	v_mov_b32_dpp v10, v4 row_shr:1 row_mask:0xf bank_mask:0xf
	v_mov_b32_dpp v11, v5 row_shr:1 row_mask:0xf bank_mask:0xf
	v_cndmask_b32_e64 v10, v10, 0, vcc
	v_cndmask_b32_e64 v11, v11, 0, vcc
	v_add_u32_e32 v4, v10, v4
	v_add_u32_e32 v5, v11, v5
	v_cmp_lt_u32_e32 vcc, 1, v8
	v_mov_b32_dpp v10, v4 row_shr:2 row_mask:0xf bank_mask:0xf
	v_mov_b32_dpp v11, v5 row_shr:2 row_mask:0xf bank_mask:0xf
	v_cndmask_b32_e32 v11, 0, v11, vcc
	v_cndmask_b32_e32 v10, 0, v10, vcc
	v_add_u32_e32 v5, v5, v11
	v_add_u32_e32 v4, v4, v10
	v_cmp_lt_u32_e32 vcc, 3, v8
	v_mov_b32_dpp v11, v5 row_shr:4 row_mask:0xf bank_mask:0xf
	v_mov_b32_dpp v10, v4 row_shr:4 row_mask:0xf bank_mask:0xf
	v_cndmask_b32_e32 v11, 0, v11, vcc
	v_cndmask_b32_e32 v10, 0, v10, vcc
	;; [unrolled: 7-line block ×3, first 2 shown]
	v_add_u32_e32 v5, v5, v8
	v_add_u32_e32 v4, v4, v10
	v_cmp_lt_u32_e32 vcc, 31, v1
	v_mov_b32_dpp v10, v5 row_bcast:15 row_mask:0xf bank_mask:0xf
	v_mov_b32_dpp v8, v4 row_bcast:15 row_mask:0xf bank_mask:0xf
	v_and_b32_e32 v8, v9, v8
	v_and_b32_e32 v9, v9, v10
	v_add_u32_e32 v4, v4, v8
	v_add_u32_e32 v5, v5, v9
	s_nop 0
	v_mov_b32_dpp v8, v4 row_bcast:31 row_mask:0xf bank_mask:0xf
	v_mov_b32_dpp v9, v5 row_bcast:31 row_mask:0xf bank_mask:0xf
	v_cndmask_b32_e32 v8, 0, v8, vcc
	v_cndmask_b32_e32 v9, 0, v9, vcc
	v_add_u32_e32 v4, v4, v8
	v_add_u32_e32 v5, v5, v9
	v_cmp_eq_u32_e32 vcc, v7, v0
	s_and_saveexec_b64 s[0:1], vcc
	s_cbranch_execz .LBB166_2
; %bb.1:
	v_lshlrev_b32_e32 v7, 3, v6
	ds_write2_b32 v7, v4, v5 offset1:1
.LBB166_2:
	s_or_b64 exec, exec, s[0:1]
	v_cmp_gt_u32_e32 vcc, 2, v0
	s_waitcnt lgkmcnt(0)
	s_barrier
	s_and_saveexec_b64 s[0:1], vcc
	s_cbranch_execz .LBB166_4
; %bb.3:
	v_lshlrev_b32_e32 v7, 3, v0
	ds_read2_b32 v[8:9], v7 offset1:1
	v_bfe_i32 v1, v1, 0, 1
	s_waitcnt lgkmcnt(0)
	v_mov_b32_dpp v10, v8 row_shr:1 row_mask:0xf bank_mask:0xf
	v_mov_b32_dpp v11, v9 row_shr:1 row_mask:0xf bank_mask:0xf
	v_and_b32_e32 v10, v1, v10
	v_and_b32_e32 v1, v1, v11
	v_add_u32_e32 v8, v10, v8
	v_add_u32_e32 v1, v1, v9
	ds_write2_b32 v7, v8, v1 offset1:1
.LBB166_4:
	s_or_b64 exec, exec, s[0:1]
	v_cmp_lt_u32_e32 vcc, 63, v0
	s_waitcnt lgkmcnt(0)
	s_barrier
	s_and_saveexec_b64 s[0:1], vcc
	s_cbranch_execz .LBB166_6
; %bb.5:
	v_lshl_add_u32 v0, v6, 3, -8
	ds_read2_b32 v[0:1], v0 offset1:1
	s_waitcnt lgkmcnt(0)
	v_add_u32_e32 v4, v4, v0
	v_add_u32_e32 v5, v5, v1
.LBB166_6:
	s_or_b64 exec, exec, s[0:1]
	global_store_dwordx2 v[2:3], v[4:5], off
	s_endpgm
	.section	.rodata,"a",@progbits
	.p2align	6, 0x0
	.amdhsa_kernel _Z21inclusive_scan_kernelILj128ELN6hipcub18BlockScanAlgorithmE0EN10test_utils16custom_test_typeIiEEEvPT1_
		.amdhsa_group_segment_fixed_size 16
		.amdhsa_private_segment_fixed_size 0
		.amdhsa_kernarg_size 8
		.amdhsa_user_sgpr_count 6
		.amdhsa_user_sgpr_private_segment_buffer 1
		.amdhsa_user_sgpr_dispatch_ptr 0
		.amdhsa_user_sgpr_queue_ptr 0
		.amdhsa_user_sgpr_kernarg_segment_ptr 1
		.amdhsa_user_sgpr_dispatch_id 0
		.amdhsa_user_sgpr_flat_scratch_init 0
		.amdhsa_user_sgpr_kernarg_preload_length 0
		.amdhsa_user_sgpr_kernarg_preload_offset 0
		.amdhsa_user_sgpr_private_segment_size 0
		.amdhsa_uses_dynamic_stack 0
		.amdhsa_system_sgpr_private_segment_wavefront_offset 0
		.amdhsa_system_sgpr_workgroup_id_x 1
		.amdhsa_system_sgpr_workgroup_id_y 0
		.amdhsa_system_sgpr_workgroup_id_z 0
		.amdhsa_system_sgpr_workgroup_info 0
		.amdhsa_system_vgpr_workitem_id 0
		.amdhsa_next_free_vgpr 12
		.amdhsa_next_free_sgpr 7
		.amdhsa_accum_offset 12
		.amdhsa_reserve_vcc 1
		.amdhsa_reserve_flat_scratch 0
		.amdhsa_float_round_mode_32 0
		.amdhsa_float_round_mode_16_64 0
		.amdhsa_float_denorm_mode_32 3
		.amdhsa_float_denorm_mode_16_64 3
		.amdhsa_dx10_clamp 1
		.amdhsa_ieee_mode 1
		.amdhsa_fp16_overflow 0
		.amdhsa_tg_split 0
		.amdhsa_exception_fp_ieee_invalid_op 0
		.amdhsa_exception_fp_denorm_src 0
		.amdhsa_exception_fp_ieee_div_zero 0
		.amdhsa_exception_fp_ieee_overflow 0
		.amdhsa_exception_fp_ieee_underflow 0
		.amdhsa_exception_fp_ieee_inexact 0
		.amdhsa_exception_int_div_zero 0
	.end_amdhsa_kernel
	.section	.text._Z21inclusive_scan_kernelILj128ELN6hipcub18BlockScanAlgorithmE0EN10test_utils16custom_test_typeIiEEEvPT1_,"axG",@progbits,_Z21inclusive_scan_kernelILj128ELN6hipcub18BlockScanAlgorithmE0EN10test_utils16custom_test_typeIiEEEvPT1_,comdat
.Lfunc_end166:
	.size	_Z21inclusive_scan_kernelILj128ELN6hipcub18BlockScanAlgorithmE0EN10test_utils16custom_test_typeIiEEEvPT1_, .Lfunc_end166-_Z21inclusive_scan_kernelILj128ELN6hipcub18BlockScanAlgorithmE0EN10test_utils16custom_test_typeIiEEEvPT1_
                                        ; -- End function
	.section	.AMDGPU.csdata,"",@progbits
; Kernel info:
; codeLenInByte = 496
; NumSgprs: 11
; NumVgprs: 12
; NumAgprs: 0
; TotalNumVgprs: 12
; ScratchSize: 0
; MemoryBound: 0
; FloatMode: 240
; IeeeMode: 1
; LDSByteSize: 16 bytes/workgroup (compile time only)
; SGPRBlocks: 1
; VGPRBlocks: 1
; NumSGPRsForWavesPerEU: 11
; NumVGPRsForWavesPerEU: 12
; AccumOffset: 12
; Occupancy: 8
; WaveLimiterHint : 0
; COMPUTE_PGM_RSRC2:SCRATCH_EN: 0
; COMPUTE_PGM_RSRC2:USER_SGPR: 6
; COMPUTE_PGM_RSRC2:TRAP_HANDLER: 0
; COMPUTE_PGM_RSRC2:TGID_X_EN: 1
; COMPUTE_PGM_RSRC2:TGID_Y_EN: 0
; COMPUTE_PGM_RSRC2:TGID_Z_EN: 0
; COMPUTE_PGM_RSRC2:TIDIG_COMP_CNT: 0
; COMPUTE_PGM_RSRC3_GFX90A:ACCUM_OFFSET: 2
; COMPUTE_PGM_RSRC3_GFX90A:TG_SPLIT: 0
	.section	.text._Z21inclusive_scan_kernelILj64ELN6hipcub18BlockScanAlgorithmE0EN10test_utils16custom_test_typeIiEEEvPT1_,"axG",@progbits,_Z21inclusive_scan_kernelILj64ELN6hipcub18BlockScanAlgorithmE0EN10test_utils16custom_test_typeIiEEEvPT1_,comdat
	.protected	_Z21inclusive_scan_kernelILj64ELN6hipcub18BlockScanAlgorithmE0EN10test_utils16custom_test_typeIiEEEvPT1_ ; -- Begin function _Z21inclusive_scan_kernelILj64ELN6hipcub18BlockScanAlgorithmE0EN10test_utils16custom_test_typeIiEEEvPT1_
	.globl	_Z21inclusive_scan_kernelILj64ELN6hipcub18BlockScanAlgorithmE0EN10test_utils16custom_test_typeIiEEEvPT1_
	.p2align	8
	.type	_Z21inclusive_scan_kernelILj64ELN6hipcub18BlockScanAlgorithmE0EN10test_utils16custom_test_typeIiEEEvPT1_,@function
_Z21inclusive_scan_kernelILj64ELN6hipcub18BlockScanAlgorithmE0EN10test_utils16custom_test_typeIiEEEvPT1_: ; @_Z21inclusive_scan_kernelILj64ELN6hipcub18BlockScanAlgorithmE0EN10test_utils16custom_test_typeIiEEEvPT1_
; %bb.0:
	s_load_dwordx2 s[0:1], s[4:5], 0x0
	v_lshl_or_b32 v4, s6, 6, v0
	v_mov_b32_e32 v5, 0
	v_lshlrev_b64 v[2:3], 3, v[4:5]
	s_waitcnt lgkmcnt(0)
	v_mov_b32_e32 v1, s1
	v_add_co_u32_e32 v2, vcc, s0, v2
	v_addc_co_u32_e32 v3, vcc, v1, v3, vcc
	global_load_dwordx2 v[6:7], v[2:3], off
	v_mbcnt_lo_u32_b32 v1, -1, 0
	v_mbcnt_hi_u32_b32 v1, -1, v1
	v_and_b32_e32 v4, 15, v1
	v_cmp_eq_u32_e32 vcc, 0, v4
	v_bfe_i32 v8, v1, 4, 1
	s_waitcnt vmcnt(0)
	v_mov_b32_dpp v9, v6 row_shr:1 row_mask:0xf bank_mask:0xf
	v_mov_b32_dpp v10, v7 row_shr:1 row_mask:0xf bank_mask:0xf
	v_cndmask_b32_e64 v9, v9, 0, vcc
	v_cndmask_b32_e64 v10, v10, 0, vcc
	v_add_u32_e32 v6, v9, v6
	v_add_u32_e32 v7, v10, v7
	v_cmp_lt_u32_e32 vcc, 1, v4
	v_mov_b32_dpp v9, v6 row_shr:2 row_mask:0xf bank_mask:0xf
	v_mov_b32_dpp v10, v7 row_shr:2 row_mask:0xf bank_mask:0xf
	v_cndmask_b32_e32 v10, 0, v10, vcc
	v_cndmask_b32_e32 v9, 0, v9, vcc
	v_add_u32_e32 v7, v7, v10
	v_add_u32_e32 v6, v6, v9
	v_cmp_lt_u32_e32 vcc, 3, v4
	v_mov_b32_dpp v10, v7 row_shr:4 row_mask:0xf bank_mask:0xf
	v_mov_b32_dpp v9, v6 row_shr:4 row_mask:0xf bank_mask:0xf
	v_cndmask_b32_e32 v10, 0, v10, vcc
	v_cndmask_b32_e32 v9, 0, v9, vcc
	v_add_u32_e32 v7, v7, v10
	v_add_u32_e32 v6, v6, v9
	v_cmp_lt_u32_e32 vcc, 7, v4
	v_mov_b32_dpp v10, v7 row_shr:8 row_mask:0xf bank_mask:0xf
	v_mov_b32_dpp v9, v6 row_shr:8 row_mask:0xf bank_mask:0xf
	v_cndmask_b32_e32 v4, 0, v10, vcc
	v_cndmask_b32_e32 v9, 0, v9, vcc
	v_add_u32_e32 v4, v7, v4
	v_add_u32_e32 v6, v6, v9
	v_cmp_lt_u32_e32 vcc, 31, v1
	v_mov_b32_dpp v9, v4 row_bcast:15 row_mask:0xf bank_mask:0xf
	v_mov_b32_dpp v7, v6 row_bcast:15 row_mask:0xf bank_mask:0xf
	v_and_b32_e32 v7, v8, v7
	v_and_b32_e32 v8, v8, v9
	v_add_u32_e32 v6, v6, v7
	v_add_u32_e32 v4, v4, v8
	s_nop 0
	v_mov_b32_dpp v7, v6 row_bcast:31 row_mask:0xf bank_mask:0xf
	v_mov_b32_dpp v8, v4 row_bcast:31 row_mask:0xf bank_mask:0xf
	v_cndmask_b32_e32 v1, 0, v7, vcc
	v_cndmask_b32_e32 v7, 0, v8, vcc
	v_add_u32_e32 v6, v6, v1
	v_add_u32_e32 v7, v4, v7
	v_cmp_eq_u32_e32 vcc, 63, v0
	s_and_saveexec_b64 s[0:1], vcc
	s_cbranch_execz .LBB167_2
; %bb.1:
	ds_write_b64 v5, v[6:7]
.LBB167_2:
	s_or_b64 exec, exec, s[0:1]
	s_waitcnt lgkmcnt(0)
	; wave barrier
	s_waitcnt lgkmcnt(0)
	global_store_dwordx2 v[2:3], v[6:7], off
	s_endpgm
	.section	.rodata,"a",@progbits
	.p2align	6, 0x0
	.amdhsa_kernel _Z21inclusive_scan_kernelILj64ELN6hipcub18BlockScanAlgorithmE0EN10test_utils16custom_test_typeIiEEEvPT1_
		.amdhsa_group_segment_fixed_size 8
		.amdhsa_private_segment_fixed_size 0
		.amdhsa_kernarg_size 8
		.amdhsa_user_sgpr_count 6
		.amdhsa_user_sgpr_private_segment_buffer 1
		.amdhsa_user_sgpr_dispatch_ptr 0
		.amdhsa_user_sgpr_queue_ptr 0
		.amdhsa_user_sgpr_kernarg_segment_ptr 1
		.amdhsa_user_sgpr_dispatch_id 0
		.amdhsa_user_sgpr_flat_scratch_init 0
		.amdhsa_user_sgpr_kernarg_preload_length 0
		.amdhsa_user_sgpr_kernarg_preload_offset 0
		.amdhsa_user_sgpr_private_segment_size 0
		.amdhsa_uses_dynamic_stack 0
		.amdhsa_system_sgpr_private_segment_wavefront_offset 0
		.amdhsa_system_sgpr_workgroup_id_x 1
		.amdhsa_system_sgpr_workgroup_id_y 0
		.amdhsa_system_sgpr_workgroup_id_z 0
		.amdhsa_system_sgpr_workgroup_info 0
		.amdhsa_system_vgpr_workitem_id 0
		.amdhsa_next_free_vgpr 11
		.amdhsa_next_free_sgpr 7
		.amdhsa_accum_offset 12
		.amdhsa_reserve_vcc 1
		.amdhsa_reserve_flat_scratch 0
		.amdhsa_float_round_mode_32 0
		.amdhsa_float_round_mode_16_64 0
		.amdhsa_float_denorm_mode_32 3
		.amdhsa_float_denorm_mode_16_64 3
		.amdhsa_dx10_clamp 1
		.amdhsa_ieee_mode 1
		.amdhsa_fp16_overflow 0
		.amdhsa_tg_split 0
		.amdhsa_exception_fp_ieee_invalid_op 0
		.amdhsa_exception_fp_denorm_src 0
		.amdhsa_exception_fp_ieee_div_zero 0
		.amdhsa_exception_fp_ieee_overflow 0
		.amdhsa_exception_fp_ieee_underflow 0
		.amdhsa_exception_fp_ieee_inexact 0
		.amdhsa_exception_int_div_zero 0
	.end_amdhsa_kernel
	.section	.text._Z21inclusive_scan_kernelILj64ELN6hipcub18BlockScanAlgorithmE0EN10test_utils16custom_test_typeIiEEEvPT1_,"axG",@progbits,_Z21inclusive_scan_kernelILj64ELN6hipcub18BlockScanAlgorithmE0EN10test_utils16custom_test_typeIiEEEvPT1_,comdat
.Lfunc_end167:
	.size	_Z21inclusive_scan_kernelILj64ELN6hipcub18BlockScanAlgorithmE0EN10test_utils16custom_test_typeIiEEEvPT1_, .Lfunc_end167-_Z21inclusive_scan_kernelILj64ELN6hipcub18BlockScanAlgorithmE0EN10test_utils16custom_test_typeIiEEEvPT1_
                                        ; -- End function
	.section	.AMDGPU.csdata,"",@progbits
; Kernel info:
; codeLenInByte = 352
; NumSgprs: 11
; NumVgprs: 11
; NumAgprs: 0
; TotalNumVgprs: 11
; ScratchSize: 0
; MemoryBound: 0
; FloatMode: 240
; IeeeMode: 1
; LDSByteSize: 8 bytes/workgroup (compile time only)
; SGPRBlocks: 1
; VGPRBlocks: 1
; NumSGPRsForWavesPerEU: 11
; NumVGPRsForWavesPerEU: 11
; AccumOffset: 12
; Occupancy: 8
; WaveLimiterHint : 0
; COMPUTE_PGM_RSRC2:SCRATCH_EN: 0
; COMPUTE_PGM_RSRC2:USER_SGPR: 6
; COMPUTE_PGM_RSRC2:TRAP_HANDLER: 0
; COMPUTE_PGM_RSRC2:TGID_X_EN: 1
; COMPUTE_PGM_RSRC2:TGID_Y_EN: 0
; COMPUTE_PGM_RSRC2:TGID_Z_EN: 0
; COMPUTE_PGM_RSRC2:TIDIG_COMP_CNT: 0
; COMPUTE_PGM_RSRC3_GFX90A:ACCUM_OFFSET: 2
; COMPUTE_PGM_RSRC3_GFX90A:TG_SPLIT: 0
	.section	.text._Z27inclusive_scan_array_kernelILj16ELj5ELN6hipcub18BlockScanAlgorithmE1E12hip_bfloat16EvPT2_,"axG",@progbits,_Z27inclusive_scan_array_kernelILj16ELj5ELN6hipcub18BlockScanAlgorithmE1E12hip_bfloat16EvPT2_,comdat
	.protected	_Z27inclusive_scan_array_kernelILj16ELj5ELN6hipcub18BlockScanAlgorithmE1E12hip_bfloat16EvPT2_ ; -- Begin function _Z27inclusive_scan_array_kernelILj16ELj5ELN6hipcub18BlockScanAlgorithmE1E12hip_bfloat16EvPT2_
	.globl	_Z27inclusive_scan_array_kernelILj16ELj5ELN6hipcub18BlockScanAlgorithmE1E12hip_bfloat16EvPT2_
	.p2align	8
	.type	_Z27inclusive_scan_array_kernelILj16ELj5ELN6hipcub18BlockScanAlgorithmE1E12hip_bfloat16EvPT2_,@function
_Z27inclusive_scan_array_kernelILj16ELj5ELN6hipcub18BlockScanAlgorithmE1E12hip_bfloat16EvPT2_: ; @_Z27inclusive_scan_array_kernelILj16ELj5ELN6hipcub18BlockScanAlgorithmE1E12hip_bfloat16EvPT2_
; %bb.0:
	s_load_dwordx2 s[0:1], s[4:5], 0x0
	v_lshl_or_b32 v1, s6, 4, v0
	v_lshl_add_u32 v10, v1, 2, v1
	v_mov_b32_e32 v11, 0
	v_lshlrev_b64 v[2:3], 1, v[10:11]
	s_waitcnt lgkmcnt(0)
	v_mov_b32_e32 v14, s1
	v_add_co_u32_e32 v2, vcc, s0, v2
	v_add_u32_e32 v4, 1, v10
	v_mov_b32_e32 v5, v11
	v_addc_co_u32_e32 v3, vcc, v14, v3, vcc
	v_lshlrev_b64 v[4:5], 1, v[4:5]
	v_add_co_u32_e32 v4, vcc, s0, v4
	v_add_u32_e32 v6, 3, v10
	v_mov_b32_e32 v7, v11
	v_addc_co_u32_e32 v5, vcc, v14, v5, vcc
	v_lshlrev_b64 v[6:7], 1, v[6:7]
	v_add_u32_e32 v12, 2, v10
	v_add_co_u32_e32 v6, vcc, s0, v6
	v_add_u32_e32 v10, 4, v10
	v_addc_co_u32_e32 v7, vcc, v14, v7, vcc
	v_lshlrev_b64 v[8:9], 1, v[10:11]
	v_add_co_u32_e32 v8, vcc, s0, v8
	global_load_ushort v1, v[2:3], off
	v_addc_co_u32_e32 v9, vcc, v14, v9, vcc
	global_load_ushort v16, v[6:7], off
	global_load_ushort v17, v[8:9], off
	;; [unrolled: 1-line block ×3, first 2 shown]
	v_mov_b32_e32 v13, v11
	v_lshlrev_b64 v[10:11], 1, v[12:13]
	v_add_co_u32_e32 v10, vcc, s0, v10
	v_addc_co_u32_e32 v11, vcc, v14, v11, vcc
	global_load_ushort v18, v[10:11], off
	s_mov_b32 s0, 0x7f800000
	s_waitcnt vmcnt(4)
	v_lshlrev_b32_e32 v12, 16, v1
	s_waitcnt vmcnt(1)
	v_lshlrev_b32_e32 v13, 16, v15
	v_mov_b32_e32 v14, v13
	v_pk_add_f32 v[14:15], v[14:15], v[12:13] op_sel_hi:[0,1]
	v_and_b32_e32 v15, 0x7f800000, v14
	v_cmp_ne_u32_e32 vcc, s0, v15
                                        ; implicit-def: $vgpr15
	s_and_saveexec_b64 s[0:1], vcc
	s_xor_b64 s[0:1], exec, s[0:1]
; %bb.1:
	v_bfe_u32 v15, v14, 16, 1
	s_movk_i32 s2, 0x7fff
	v_add3_u32 v15, v14, v15, s2
; %bb.2:
	s_andn2_saveexec_b64 s[0:1], s[0:1]
; %bb.3:
	v_mov_b32_e32 v15, 0
	v_or_b32_e32 v19, 0x10000, v14
	v_cmp_eq_u32_sdwa vcc, v14, v15 src0_sel:WORD_0 src1_sel:DWORD
	v_cndmask_b32_e32 v15, v19, v14, vcc
; %bb.4:
	s_or_b64 exec, exec, s[0:1]
	v_and_b32_e32 v19, 0xffff0000, v15
	s_waitcnt vmcnt(0)
	v_lshlrev_b32_e32 v15, 16, v18
	v_add_f32_e32 v18, v19, v15
	s_mov_b32 s0, 0x7f800000
	v_and_b32_e32 v19, 0x7f800000, v18
	v_cmp_ne_u32_e32 vcc, s0, v19
                                        ; implicit-def: $vgpr19
	s_and_saveexec_b64 s[0:1], vcc
	s_xor_b64 s[0:1], exec, s[0:1]
; %bb.5:
	v_bfe_u32 v19, v18, 16, 1
	s_movk_i32 s2, 0x7fff
	v_add3_u32 v19, v18, v19, s2
                                        ; implicit-def: $vgpr18
; %bb.6:
	s_andn2_saveexec_b64 s[0:1], s[0:1]
; %bb.7:
	v_mov_b32_e32 v19, 0
	v_or_b32_e32 v20, 0x10000, v18
	v_cmp_eq_u32_sdwa vcc, v18, v19 src0_sel:WORD_0 src1_sel:DWORD
	v_cndmask_b32_e32 v19, v20, v18, vcc
; %bb.8:
	s_or_b64 exec, exec, s[0:1]
	v_and_b32_e32 v18, 0xffff0000, v19
	v_lshlrev_b32_e32 v16, 16, v16
	v_add_f32_e32 v18, v18, v16
	s_mov_b32 s0, 0x7f800000
	v_and_b32_e32 v19, 0x7f800000, v18
	v_cmp_ne_u32_e32 vcc, s0, v19
                                        ; implicit-def: $vgpr19
	s_and_saveexec_b64 s[0:1], vcc
	s_xor_b64 s[0:1], exec, s[0:1]
; %bb.9:
	v_bfe_u32 v19, v18, 16, 1
	s_movk_i32 s2, 0x7fff
	v_add3_u32 v19, v18, v19, s2
                                        ; implicit-def: $vgpr18
; %bb.10:
	s_andn2_saveexec_b64 s[0:1], s[0:1]
; %bb.11:
	v_mov_b32_e32 v19, 0
	v_or_b32_e32 v20, 0x10000, v18
	v_cmp_eq_u32_sdwa vcc, v18, v19 src0_sel:WORD_0 src1_sel:DWORD
	v_cndmask_b32_e32 v19, v20, v18, vcc
; %bb.12:
	s_or_b64 exec, exec, s[0:1]
	v_and_b32_e32 v18, 0xffff0000, v19
	v_lshlrev_b32_e32 v17, 16, v17
	v_add_f32_e32 v18, v18, v17
	s_mov_b32 s0, 0x7f800000
	v_and_b32_e32 v19, 0x7f800000, v18
	v_cmp_ne_u32_e32 vcc, s0, v19
                                        ; implicit-def: $vgpr19
	s_and_saveexec_b64 s[0:1], vcc
	s_xor_b64 s[0:1], exec, s[0:1]
; %bb.13:
	v_bfe_u32 v19, v18, 16, 1
	s_movk_i32 s2, 0x7fff
	v_add3_u32 v19, v18, v19, s2
                                        ; implicit-def: $vgpr18
; %bb.14:
	s_andn2_saveexec_b64 s[0:1], s[0:1]
; %bb.15:
	v_mov_b32_e32 v19, 0
	v_or_b32_e32 v20, 0x10000, v18
	v_cmp_eq_u32_sdwa vcc, v18, v19 src0_sel:WORD_0 src1_sel:DWORD
	v_cndmask_b32_e32 v19, v20, v18, vcc
; %bb.16:
	s_or_b64 exec, exec, s[0:1]
	v_lshrrev_b32_e32 v20, 16, v19
	v_and_b32_e32 v21, 0xffff0000, v19
	s_mov_b32 s0, 0x7f800000
	v_mov_b32_dpp v18, v20 row_shr:1 row_mask:0xf bank_mask:0xf
	v_lshlrev_b32_e32 v18, 16, v18
	v_add_f32_e32 v18, v21, v18
	v_and_b32_e32 v19, 0x7f800000, v18
	v_cmp_ne_u32_e32 vcc, s0, v19
                                        ; implicit-def: $vgpr22
	s_and_saveexec_b64 s[0:1], vcc
	s_xor_b64 s[0:1], exec, s[0:1]
; %bb.17:
	v_bfe_u32 v19, v18, 16, 1
	s_movk_i32 s2, 0x7fff
	v_add3_u32 v22, v18, v19, s2
                                        ; implicit-def: $vgpr18
; %bb.18:
	s_andn2_saveexec_b64 s[0:1], s[0:1]
; %bb.19:
	v_mov_b32_e32 v19, 0
	v_or_b32_e32 v22, 0x10000, v18
	v_cmp_eq_u32_sdwa vcc, v18, v19 src0_sel:WORD_0 src1_sel:DWORD
	v_cndmask_b32_e32 v22, v22, v18, vcc
; %bb.20:
	s_or_b64 exec, exec, s[0:1]
	v_mbcnt_lo_u32_b32 v18, -1, 0
	v_mbcnt_hi_u32_b32 v18, -1, v18
	v_and_b32_e32 v19, 15, v18
	v_lshrrev_b32_e32 v23, 16, v22
	v_cmp_eq_u32_e32 vcc, 0, v19
	v_and_b32_e32 v22, 0xffff0000, v22
	v_cndmask_b32_e32 v20, v23, v20, vcc
	v_cndmask_b32_e32 v21, v22, v21, vcc
	s_mov_b32 s0, 0x7f800000
	v_mov_b32_dpp v22, v20 row_shr:2 row_mask:0xf bank_mask:0xf
	v_lshlrev_b32_e32 v22, 16, v22
	v_add_f32_e32 v22, v21, v22
	v_and_b32_e32 v23, 0x7f800000, v22
	v_cmp_ne_u32_e32 vcc, s0, v23
                                        ; implicit-def: $vgpr23
	s_and_saveexec_b64 s[0:1], vcc
	s_xor_b64 s[0:1], exec, s[0:1]
; %bb.21:
	v_bfe_u32 v23, v22, 16, 1
	s_movk_i32 s2, 0x7fff
	v_add3_u32 v23, v22, v23, s2
                                        ; implicit-def: $vgpr22
; %bb.22:
	s_andn2_saveexec_b64 s[0:1], s[0:1]
; %bb.23:
	v_mov_b32_e32 v23, 0
	v_or_b32_e32 v24, 0x10000, v22
	v_cmp_eq_u32_sdwa vcc, v22, v23 src0_sel:WORD_0 src1_sel:DWORD
	v_cndmask_b32_e32 v23, v24, v22, vcc
; %bb.24:
	s_or_b64 exec, exec, s[0:1]
	v_lshrrev_b32_e32 v22, 16, v23
	v_cmp_lt_u32_e32 vcc, 1, v19
	v_cndmask_b32_e32 v20, v20, v22, vcc
	v_and_b32_e32 v23, 0xffff0000, v23
	v_cndmask_b32_e32 v21, v21, v23, vcc
	v_mov_b32_dpp v22, v20 row_shr:4 row_mask:0xf bank_mask:0xf
	v_lshlrev_b32_e32 v22, 16, v22
	v_add_f32_e32 v22, v21, v22
	s_mov_b32 s0, 0x7f800000
	v_and_b32_e32 v23, 0x7f800000, v22
	v_cmp_ne_u32_e32 vcc, s0, v23
                                        ; implicit-def: $vgpr23
	s_and_saveexec_b64 s[0:1], vcc
	s_xor_b64 s[0:1], exec, s[0:1]
; %bb.25:
	v_bfe_u32 v23, v22, 16, 1
	s_movk_i32 s2, 0x7fff
	v_add3_u32 v23, v22, v23, s2
                                        ; implicit-def: $vgpr22
; %bb.26:
	s_andn2_saveexec_b64 s[0:1], s[0:1]
; %bb.27:
	v_mov_b32_e32 v23, 0
	v_or_b32_e32 v24, 0x10000, v22
	v_cmp_eq_u32_sdwa vcc, v22, v23 src0_sel:WORD_0 src1_sel:DWORD
	v_cndmask_b32_e32 v23, v24, v22, vcc
; %bb.28:
	s_or_b64 exec, exec, s[0:1]
	v_lshrrev_b32_e32 v22, 16, v23
	v_cmp_lt_u32_e32 vcc, 3, v19
	v_cndmask_b32_e32 v20, v20, v22, vcc
	v_and_b32_e32 v23, 0xffff0000, v23
	v_cndmask_b32_e32 v21, v21, v23, vcc
	v_mov_b32_dpp v22, v20 row_shr:8 row_mask:0xf bank_mask:0xf
	v_lshlrev_b32_e32 v22, 16, v22
	v_add_f32_e32 v21, v21, v22
	s_mov_b32 s0, 0x7f800000
	v_and_b32_e32 v22, 0x7f800000, v21
	v_cmp_ne_u32_e32 vcc, s0, v22
                                        ; implicit-def: $vgpr22
	s_and_saveexec_b64 s[0:1], vcc
	s_xor_b64 s[0:1], exec, s[0:1]
; %bb.29:
	v_bfe_u32 v22, v21, 16, 1
	s_movk_i32 s2, 0x7fff
	v_add3_u32 v22, v21, v22, s2
                                        ; implicit-def: $vgpr21
; %bb.30:
	s_andn2_saveexec_b64 s[0:1], s[0:1]
; %bb.31:
	v_mov_b32_e32 v22, 0
	v_or_b32_e32 v23, 0x10000, v21
	v_cmp_eq_u32_sdwa vcc, v21, v22 src0_sel:WORD_0 src1_sel:DWORD
	v_cndmask_b32_e32 v22, v23, v21, vcc
; %bb.32:
	s_or_b64 exec, exec, s[0:1]
	v_lshrrev_b32_e32 v21, 16, v22
	v_cmp_lt_u32_e32 vcc, 7, v19
	v_cndmask_b32_e32 v19, v20, v21, vcc
	v_cmp_eq_u32_e32 vcc, 15, v0
	s_and_saveexec_b64 s[0:1], vcc
	s_cbranch_execz .LBB168_34
; %bb.33:
	v_mov_b32_e32 v20, 0
	ds_write_b16 v20, v19
.LBB168_34:
	s_or_b64 exec, exec, s[0:1]
	v_add_u32_e32 v20, -1, v18
	v_and_b32_e32 v21, 0x70, v18
	v_cmp_lt_i32_e32 vcc, v20, v21
	v_cndmask_b32_e32 v18, v20, v18, vcc
	v_lshlrev_b32_e32 v18, 2, v18
	ds_bpermute_b32 v18, v18, v19
	v_cmp_ne_u32_e32 vcc, 0, v0
	s_waitcnt lgkmcnt(0)
	; wave barrier
	s_waitcnt lgkmcnt(0)
	s_and_saveexec_b64 s[0:1], vcc
	s_cbranch_execz .LBB168_40
; %bb.35:
	v_lshlrev_b32_e32 v0, 16, v18
	v_add_f32_e32 v0, v12, v0
	s_mov_b32 s2, 0x7f800000
	v_and_b32_e32 v1, 0x7f800000, v0
	v_cmp_ne_u32_e32 vcc, s2, v1
                                        ; implicit-def: $vgpr12
	s_and_saveexec_b64 s[2:3], vcc
	s_xor_b64 s[2:3], exec, s[2:3]
; %bb.36:
	v_bfe_u32 v1, v0, 16, 1
	s_movk_i32 s4, 0x7fff
	v_add3_u32 v12, v0, v1, s4
                                        ; implicit-def: $vgpr0
; %bb.37:
	s_andn2_saveexec_b64 s[2:3], s[2:3]
; %bb.38:
	v_mov_b32_e32 v1, 0
	v_or_b32_e32 v12, 0x10000, v0
	v_cmp_eq_u32_sdwa vcc, v0, v1 src0_sel:WORD_0 src1_sel:DWORD
	v_cndmask_b32_e32 v12, v12, v0, vcc
; %bb.39:
	s_or_b64 exec, exec, s[2:3]
	v_and_b32_e32 v0, 0xffff0000, v12
	v_lshrrev_b32_e32 v1, 16, v12
	v_add_f32_e32 v14, v13, v0
.LBB168_40:
	s_or_b64 exec, exec, s[0:1]
	s_mov_b32 s0, 0x7f800000
	v_and_b32_e32 v0, 0x7f800000, v14
	v_cmp_ne_u32_e32 vcc, s0, v0
                                        ; implicit-def: $vgpr0
	s_and_saveexec_b64 s[0:1], vcc
	s_xor_b64 s[0:1], exec, s[0:1]
; %bb.41:
	v_bfe_u32 v0, v14, 16, 1
	s_movk_i32 s2, 0x7fff
	v_add3_u32 v0, v14, v0, s2
                                        ; implicit-def: $vgpr14
; %bb.42:
	s_andn2_saveexec_b64 s[0:1], s[0:1]
; %bb.43:
	v_mov_b32_e32 v0, 0
	v_or_b32_e32 v12, 0x10000, v14
	v_cmp_eq_u32_sdwa vcc, v14, v0 src0_sel:WORD_0 src1_sel:DWORD
	v_cndmask_b32_e32 v0, v12, v14, vcc
; %bb.44:
	s_or_b64 exec, exec, s[0:1]
	v_and_b32_e32 v12, 0xffff0000, v0
	v_add_f32_e32 v13, v12, v15
	s_mov_b32 s0, 0x7f800000
	v_and_b32_e32 v12, 0x7f800000, v13
	v_cmp_ne_u32_e32 vcc, s0, v12
                                        ; implicit-def: $vgpr12
	s_and_saveexec_b64 s[0:1], vcc
	s_xor_b64 s[0:1], exec, s[0:1]
; %bb.45:
	v_bfe_u32 v12, v13, 16, 1
	s_movk_i32 s2, 0x7fff
	v_add3_u32 v12, v13, v12, s2
                                        ; implicit-def: $vgpr13
; %bb.46:
	s_andn2_saveexec_b64 s[0:1], s[0:1]
; %bb.47:
	v_mov_b32_e32 v12, 0
	v_or_b32_e32 v14, 0x10000, v13
	v_cmp_eq_u32_sdwa vcc, v13, v12 src0_sel:WORD_0 src1_sel:DWORD
	v_cndmask_b32_e32 v12, v14, v13, vcc
; %bb.48:
	s_or_b64 exec, exec, s[0:1]
	v_and_b32_e32 v13, 0xffff0000, v12
	v_add_f32_e32 v14, v13, v16
	s_mov_b32 s0, 0x7f800000
	v_and_b32_e32 v13, 0x7f800000, v14
	v_cmp_ne_u32_e32 vcc, s0, v13
                                        ; implicit-def: $vgpr13
	s_and_saveexec_b64 s[0:1], vcc
	s_xor_b64 s[0:1], exec, s[0:1]
; %bb.49:
	v_bfe_u32 v13, v14, 16, 1
	s_movk_i32 s2, 0x7fff
	v_add3_u32 v13, v14, v13, s2
                                        ; implicit-def: $vgpr14
; %bb.50:
	s_andn2_saveexec_b64 s[0:1], s[0:1]
; %bb.51:
	v_mov_b32_e32 v13, 0
	v_or_b32_e32 v15, 0x10000, v14
	v_cmp_eq_u32_sdwa vcc, v14, v13 src0_sel:WORD_0 src1_sel:DWORD
	v_cndmask_b32_e32 v13, v15, v14, vcc
; %bb.52:
	s_or_b64 exec, exec, s[0:1]
	v_and_b32_e32 v14, 0xffff0000, v13
	v_add_f32_e32 v14, v14, v17
	s_mov_b32 s0, 0x7f800000
	v_and_b32_e32 v15, 0x7f800000, v14
	v_cmp_ne_u32_e32 vcc, s0, v15
                                        ; implicit-def: $vgpr15
	s_and_saveexec_b64 s[0:1], vcc
	s_xor_b64 s[0:1], exec, s[0:1]
; %bb.53:
	v_bfe_u32 v15, v14, 16, 1
	s_movk_i32 s2, 0x7fff
	v_add3_u32 v15, v14, v15, s2
                                        ; implicit-def: $vgpr14
; %bb.54:
	s_andn2_saveexec_b64 s[0:1], s[0:1]
; %bb.55:
	v_mov_b32_e32 v15, 0
	v_or_b32_e32 v16, 0x10000, v14
	v_cmp_eq_u32_sdwa vcc, v14, v15 src0_sel:WORD_0 src1_sel:DWORD
	v_cndmask_b32_e32 v15, v16, v14, vcc
; %bb.56:
	s_or_b64 exec, exec, s[0:1]
	global_store_short v[2:3], v1, off
	global_store_short_d16_hi v[4:5], v0, off
	global_store_short_d16_hi v[10:11], v12, off
	;; [unrolled: 1-line block ×4, first 2 shown]
	s_endpgm
	.section	.rodata,"a",@progbits
	.p2align	6, 0x0
	.amdhsa_kernel _Z27inclusive_scan_array_kernelILj16ELj5ELN6hipcub18BlockScanAlgorithmE1E12hip_bfloat16EvPT2_
		.amdhsa_group_segment_fixed_size 2
		.amdhsa_private_segment_fixed_size 0
		.amdhsa_kernarg_size 8
		.amdhsa_user_sgpr_count 6
		.amdhsa_user_sgpr_private_segment_buffer 1
		.amdhsa_user_sgpr_dispatch_ptr 0
		.amdhsa_user_sgpr_queue_ptr 0
		.amdhsa_user_sgpr_kernarg_segment_ptr 1
		.amdhsa_user_sgpr_dispatch_id 0
		.amdhsa_user_sgpr_flat_scratch_init 0
		.amdhsa_user_sgpr_kernarg_preload_length 0
		.amdhsa_user_sgpr_kernarg_preload_offset 0
		.amdhsa_user_sgpr_private_segment_size 0
		.amdhsa_uses_dynamic_stack 0
		.amdhsa_system_sgpr_private_segment_wavefront_offset 0
		.amdhsa_system_sgpr_workgroup_id_x 1
		.amdhsa_system_sgpr_workgroup_id_y 0
		.amdhsa_system_sgpr_workgroup_id_z 0
		.amdhsa_system_sgpr_workgroup_info 0
		.amdhsa_system_vgpr_workitem_id 0
		.amdhsa_next_free_vgpr 25
		.amdhsa_next_free_sgpr 7
		.amdhsa_accum_offset 28
		.amdhsa_reserve_vcc 1
		.amdhsa_reserve_flat_scratch 0
		.amdhsa_float_round_mode_32 0
		.amdhsa_float_round_mode_16_64 0
		.amdhsa_float_denorm_mode_32 3
		.amdhsa_float_denorm_mode_16_64 3
		.amdhsa_dx10_clamp 1
		.amdhsa_ieee_mode 1
		.amdhsa_fp16_overflow 0
		.amdhsa_tg_split 0
		.amdhsa_exception_fp_ieee_invalid_op 0
		.amdhsa_exception_fp_denorm_src 0
		.amdhsa_exception_fp_ieee_div_zero 0
		.amdhsa_exception_fp_ieee_overflow 0
		.amdhsa_exception_fp_ieee_underflow 0
		.amdhsa_exception_fp_ieee_inexact 0
		.amdhsa_exception_int_div_zero 0
	.end_amdhsa_kernel
	.section	.text._Z27inclusive_scan_array_kernelILj16ELj5ELN6hipcub18BlockScanAlgorithmE1E12hip_bfloat16EvPT2_,"axG",@progbits,_Z27inclusive_scan_array_kernelILj16ELj5ELN6hipcub18BlockScanAlgorithmE1E12hip_bfloat16EvPT2_,comdat
.Lfunc_end168:
	.size	_Z27inclusive_scan_array_kernelILj16ELj5ELN6hipcub18BlockScanAlgorithmE1E12hip_bfloat16EvPT2_, .Lfunc_end168-_Z27inclusive_scan_array_kernelILj16ELj5ELN6hipcub18BlockScanAlgorithmE1E12hip_bfloat16EvPT2_
                                        ; -- End function
	.section	.AMDGPU.csdata,"",@progbits
; Kernel info:
; codeLenInByte = 1672
; NumSgprs: 11
; NumVgprs: 25
; NumAgprs: 0
; TotalNumVgprs: 25
; ScratchSize: 0
; MemoryBound: 0
; FloatMode: 240
; IeeeMode: 1
; LDSByteSize: 2 bytes/workgroup (compile time only)
; SGPRBlocks: 1
; VGPRBlocks: 3
; NumSGPRsForWavesPerEU: 11
; NumVGPRsForWavesPerEU: 25
; AccumOffset: 28
; Occupancy: 8
; WaveLimiterHint : 0
; COMPUTE_PGM_RSRC2:SCRATCH_EN: 0
; COMPUTE_PGM_RSRC2:USER_SGPR: 6
; COMPUTE_PGM_RSRC2:TRAP_HANDLER: 0
; COMPUTE_PGM_RSRC2:TGID_X_EN: 1
; COMPUTE_PGM_RSRC2:TGID_Y_EN: 0
; COMPUTE_PGM_RSRC2:TGID_Z_EN: 0
; COMPUTE_PGM_RSRC2:TIDIG_COMP_CNT: 0
; COMPUTE_PGM_RSRC3_GFX90A:ACCUM_OFFSET: 6
; COMPUTE_PGM_RSRC3_GFX90A:TG_SPLIT: 0
	.section	.text._Z27inclusive_scan_array_kernelILj65ELj5ELN6hipcub18BlockScanAlgorithmE1E6__halfEvPT2_,"axG",@progbits,_Z27inclusive_scan_array_kernelILj65ELj5ELN6hipcub18BlockScanAlgorithmE1E6__halfEvPT2_,comdat
	.protected	_Z27inclusive_scan_array_kernelILj65ELj5ELN6hipcub18BlockScanAlgorithmE1E6__halfEvPT2_ ; -- Begin function _Z27inclusive_scan_array_kernelILj65ELj5ELN6hipcub18BlockScanAlgorithmE1E6__halfEvPT2_
	.globl	_Z27inclusive_scan_array_kernelILj65ELj5ELN6hipcub18BlockScanAlgorithmE1E6__halfEvPT2_
	.p2align	8
	.type	_Z27inclusive_scan_array_kernelILj65ELj5ELN6hipcub18BlockScanAlgorithmE1E6__halfEvPT2_,@function
_Z27inclusive_scan_array_kernelILj65ELj5ELN6hipcub18BlockScanAlgorithmE1E6__halfEvPT2_: ; @_Z27inclusive_scan_array_kernelILj65ELj5ELN6hipcub18BlockScanAlgorithmE1E6__halfEvPT2_
; %bb.0:
	s_load_dwordx2 s[0:1], s[4:5], 0x0
	s_mulk_i32 s6, 0x41
	v_add_u32_e32 v1, s6, v0
	v_lshl_add_u32 v10, v1, 2, v1
	v_mov_b32_e32 v11, 0
	v_lshlrev_b64 v[2:3], 1, v[10:11]
	s_waitcnt lgkmcnt(0)
	v_mov_b32_e32 v1, s1
	v_add_co_u32_e32 v2, vcc, s0, v2
	v_add_u32_e32 v4, 1, v10
	v_mov_b32_e32 v5, v11
	v_addc_co_u32_e32 v3, vcc, v1, v3, vcc
	v_lshlrev_b64 v[4:5], 1, v[4:5]
	v_add_co_u32_e32 v4, vcc, s0, v4
	v_add_u32_e32 v6, 2, v10
	v_mov_b32_e32 v7, v11
	v_addc_co_u32_e32 v5, vcc, v1, v5, vcc
	v_lshlrev_b64 v[6:7], 1, v[6:7]
	;; [unrolled: 5-line block ×3, first 2 shown]
	v_add_co_u32_e32 v8, vcc, s0, v8
	v_add_u32_e32 v10, 4, v10
	v_addc_co_u32_e32 v9, vcc, v1, v9, vcc
	v_lshlrev_b64 v[10:11], 1, v[10:11]
	v_add_co_u32_e32 v10, vcc, s0, v10
	v_addc_co_u32_e32 v11, vcc, v1, v11, vcc
	global_load_ushort v1, v[2:3], off
	global_load_ushort v12, v[4:5], off
	;; [unrolled: 1-line block ×5, first 2 shown]
	v_lshrrev_b32_e32 v16, 5, v0
	v_add_lshl_u32 v17, v16, v0, 1
	v_cmp_gt_u32_e32 vcc, 64, v0
	s_waitcnt vmcnt(3)
	v_add_f16_e32 v16, v1, v12
	s_waitcnt vmcnt(2)
	v_add_f16_e32 v16, v16, v13
	;; [unrolled: 2-line block ×4, first 2 shown]
	ds_write_b16 v17, v16
	s_waitcnt lgkmcnt(0)
	s_barrier
	s_and_saveexec_b64 s[0:1], vcc
	s_cbranch_execz .LBB169_2
; %bb.1:
	v_lshlrev_b32_e32 v17, 1, v0
	v_lshrrev_b32_e32 v18, 4, v0
	v_add_lshl_u32 v17, v18, v17, 1
	ds_read_u16 v18, v17
	ds_read_u16 v19, v17 offset:2
	v_mbcnt_lo_u32_b32 v20, -1, 0
	v_mbcnt_hi_u32_b32 v20, -1, v20
	v_and_b32_e32 v22, 15, v20
	v_cmp_eq_u32_e32 vcc, 0, v22
	s_waitcnt lgkmcnt(0)
	v_add_f16_e32 v21, v18, v19
	s_nop 1
	v_mov_b32_dpp v23, v21 row_shr:1 row_mask:0xf bank_mask:0xf
	v_add_f16_e32 v23, v21, v23
	v_cndmask_b32_e32 v21, v23, v21, vcc
	v_and_b32_e32 v23, 0xffff, v21
	v_cmp_lt_u32_e32 vcc, 1, v22
	s_nop 0
	v_mov_b32_dpp v23, v23 row_shr:2 row_mask:0xf bank_mask:0xf
	v_add_f16_e32 v23, v21, v23
	v_cndmask_b32_e32 v21, v21, v23, vcc
	v_and_b32_e32 v23, 0xffff, v21
	v_cmp_lt_u32_e32 vcc, 3, v22
	;; [unrolled: 6-line block ×3, first 2 shown]
	s_nop 0
	v_mov_b32_dpp v23, v23 row_shr:8 row_mask:0xf bank_mask:0xf
	v_add_f16_e32 v23, v21, v23
	v_cndmask_b32_e32 v21, v21, v23, vcc
	v_and_b32_e32 v22, 0xffff, v21
	v_and_b32_e32 v23, 16, v20
	v_cmp_eq_u32_e32 vcc, 0, v23
	v_mov_b32_dpp v22, v22 row_bcast:15 row_mask:0xf bank_mask:0xf
	v_add_f16_e32 v22, v21, v22
	v_cndmask_b32_e32 v21, v22, v21, vcc
	v_and_b32_e32 v22, 0xffff, v21
	v_cmp_lt_u32_e32 vcc, 31, v20
	v_and_b32_e32 v23, 64, v20
	v_mov_b32_dpp v22, v22 row_bcast:31 row_mask:0xf bank_mask:0xf
	v_add_f16_e32 v22, v21, v22
	v_cndmask_b32_e32 v21, v21, v22, vcc
	v_add_u32_e32 v22, -1, v20
	v_cmp_lt_i32_e32 vcc, v22, v23
	v_cndmask_b32_e32 v20, v22, v20, vcc
	v_and_b32_e32 v21, 0xffff, v21
	v_lshlrev_b32_e32 v20, 2, v20
	ds_bpermute_b32 v20, v20, v21
	v_cmp_eq_u32_e32 vcc, 0, v0
	s_waitcnt lgkmcnt(0)
	v_add_f16_e32 v18, v18, v20
	v_cndmask_b32_e32 v18, v18, v16, vcc
	ds_write_b16 v17, v18
	v_add_f16_e32 v18, v19, v18
	ds_write_b16 v17, v18 offset:2
.LBB169_2:
	s_or_b64 exec, exec, s[0:1]
	v_cmp_eq_u32_e32 vcc, 0, v0
	v_cmp_ne_u32_e64 s[0:1], 0, v0
	s_waitcnt lgkmcnt(0)
	s_barrier
	s_and_saveexec_b64 s[2:3], s[0:1]
	s_cbranch_execz .LBB169_4
; %bb.3:
	v_add_u32_e32 v0, -1, v0
	v_lshrrev_b32_e32 v16, 5, v0
	v_add_lshl_u32 v0, v16, v0, 1
	ds_read_u16 v16, v0
.LBB169_4:
	s_or_b64 exec, exec, s[2:3]
	s_waitcnt lgkmcnt(0)
	v_add_f16_e32 v0, v16, v1
	v_cndmask_b32_e32 v0, v0, v1, vcc
	v_add_f16_e32 v1, v0, v12
	v_add_f16_e32 v12, v1, v13
	;; [unrolled: 1-line block ×4, first 2 shown]
	global_store_short v[2:3], v0, off
	global_store_short v[4:5], v1, off
	;; [unrolled: 1-line block ×5, first 2 shown]
	s_endpgm
	.section	.rodata,"a",@progbits
	.p2align	6, 0x0
	.amdhsa_kernel _Z27inclusive_scan_array_kernelILj65ELj5ELN6hipcub18BlockScanAlgorithmE1E6__halfEvPT2_
		.amdhsa_group_segment_fixed_size 264
		.amdhsa_private_segment_fixed_size 0
		.amdhsa_kernarg_size 8
		.amdhsa_user_sgpr_count 6
		.amdhsa_user_sgpr_private_segment_buffer 1
		.amdhsa_user_sgpr_dispatch_ptr 0
		.amdhsa_user_sgpr_queue_ptr 0
		.amdhsa_user_sgpr_kernarg_segment_ptr 1
		.amdhsa_user_sgpr_dispatch_id 0
		.amdhsa_user_sgpr_flat_scratch_init 0
		.amdhsa_user_sgpr_kernarg_preload_length 0
		.amdhsa_user_sgpr_kernarg_preload_offset 0
		.amdhsa_user_sgpr_private_segment_size 0
		.amdhsa_uses_dynamic_stack 0
		.amdhsa_system_sgpr_private_segment_wavefront_offset 0
		.amdhsa_system_sgpr_workgroup_id_x 1
		.amdhsa_system_sgpr_workgroup_id_y 0
		.amdhsa_system_sgpr_workgroup_id_z 0
		.amdhsa_system_sgpr_workgroup_info 0
		.amdhsa_system_vgpr_workitem_id 0
		.amdhsa_next_free_vgpr 24
		.amdhsa_next_free_sgpr 7
		.amdhsa_accum_offset 24
		.amdhsa_reserve_vcc 1
		.amdhsa_reserve_flat_scratch 0
		.amdhsa_float_round_mode_32 0
		.amdhsa_float_round_mode_16_64 0
		.amdhsa_float_denorm_mode_32 3
		.amdhsa_float_denorm_mode_16_64 3
		.amdhsa_dx10_clamp 1
		.amdhsa_ieee_mode 1
		.amdhsa_fp16_overflow 0
		.amdhsa_tg_split 0
		.amdhsa_exception_fp_ieee_invalid_op 0
		.amdhsa_exception_fp_denorm_src 0
		.amdhsa_exception_fp_ieee_div_zero 0
		.amdhsa_exception_fp_ieee_overflow 0
		.amdhsa_exception_fp_ieee_underflow 0
		.amdhsa_exception_fp_ieee_inexact 0
		.amdhsa_exception_int_div_zero 0
	.end_amdhsa_kernel
	.section	.text._Z27inclusive_scan_array_kernelILj65ELj5ELN6hipcub18BlockScanAlgorithmE1E6__halfEvPT2_,"axG",@progbits,_Z27inclusive_scan_array_kernelILj65ELj5ELN6hipcub18BlockScanAlgorithmE1E6__halfEvPT2_,comdat
.Lfunc_end169:
	.size	_Z27inclusive_scan_array_kernelILj65ELj5ELN6hipcub18BlockScanAlgorithmE1E6__halfEvPT2_, .Lfunc_end169-_Z27inclusive_scan_array_kernelILj65ELj5ELN6hipcub18BlockScanAlgorithmE1E6__halfEvPT2_
                                        ; -- End function
	.section	.AMDGPU.csdata,"",@progbits
; Kernel info:
; codeLenInByte = 700
; NumSgprs: 11
; NumVgprs: 24
; NumAgprs: 0
; TotalNumVgprs: 24
; ScratchSize: 0
; MemoryBound: 0
; FloatMode: 240
; IeeeMode: 1
; LDSByteSize: 264 bytes/workgroup (compile time only)
; SGPRBlocks: 1
; VGPRBlocks: 2
; NumSGPRsForWavesPerEU: 11
; NumVGPRsForWavesPerEU: 24
; AccumOffset: 24
; Occupancy: 8
; WaveLimiterHint : 0
; COMPUTE_PGM_RSRC2:SCRATCH_EN: 0
; COMPUTE_PGM_RSRC2:USER_SGPR: 6
; COMPUTE_PGM_RSRC2:TRAP_HANDLER: 0
; COMPUTE_PGM_RSRC2:TGID_X_EN: 1
; COMPUTE_PGM_RSRC2:TGID_Y_EN: 0
; COMPUTE_PGM_RSRC2:TGID_Z_EN: 0
; COMPUTE_PGM_RSRC2:TIDIG_COMP_CNT: 0
; COMPUTE_PGM_RSRC3_GFX90A:ACCUM_OFFSET: 5
; COMPUTE_PGM_RSRC3_GFX90A:TG_SPLIT: 0
	.section	.text._Z27inclusive_scan_array_kernelILj255ELj15ELN6hipcub18BlockScanAlgorithmE1EfEvPT2_,"axG",@progbits,_Z27inclusive_scan_array_kernelILj255ELj15ELN6hipcub18BlockScanAlgorithmE1EfEvPT2_,comdat
	.protected	_Z27inclusive_scan_array_kernelILj255ELj15ELN6hipcub18BlockScanAlgorithmE1EfEvPT2_ ; -- Begin function _Z27inclusive_scan_array_kernelILj255ELj15ELN6hipcub18BlockScanAlgorithmE1EfEvPT2_
	.globl	_Z27inclusive_scan_array_kernelILj255ELj15ELN6hipcub18BlockScanAlgorithmE1EfEvPT2_
	.p2align	8
	.type	_Z27inclusive_scan_array_kernelILj255ELj15ELN6hipcub18BlockScanAlgorithmE1EfEvPT2_,@function
_Z27inclusive_scan_array_kernelILj255ELj15ELN6hipcub18BlockScanAlgorithmE1EfEvPT2_: ; @_Z27inclusive_scan_array_kernelILj255ELj15ELN6hipcub18BlockScanAlgorithmE1EfEvPT2_
; %bb.0:
	s_load_dwordx2 s[0:1], s[4:5], 0x0
	s_mulk_i32 s6, 0xff
	v_add_u32_e32 v1, s6, v0
	v_mul_lo_u32 v30, v1, 15
	v_mov_b32_e32 v31, 0
	v_lshlrev_b64 v[2:3], 2, v[30:31]
	s_waitcnt lgkmcnt(0)
	v_mov_b32_e32 v39, s1
	v_add_co_u32_e32 v2, vcc, s0, v2
	v_add_u32_e32 v4, 1, v30
	v_mov_b32_e32 v5, v31
	v_addc_co_u32_e32 v3, vcc, v39, v3, vcc
	v_lshlrev_b64 v[4:5], 2, v[4:5]
	v_add_co_u32_e32 v4, vcc, s0, v4
	v_add_u32_e32 v6, 2, v30
	v_mov_b32_e32 v7, v31
	v_addc_co_u32_e32 v5, vcc, v39, v5, vcc
	v_lshlrev_b64 v[6:7], 2, v[6:7]
	;; [unrolled: 5-line block ×11, first 2 shown]
	global_load_dword v1, v[2:3], off
	global_load_dword v32, v[4:5], off
	;; [unrolled: 1-line block ×8, first 2 shown]
	v_add_co_u32_e32 v24, vcc, s0, v24
	v_add_u32_e32 v26, 12, v30
	v_mov_b32_e32 v27, v31
	v_addc_co_u32_e32 v25, vcc, v39, v25, vcc
	v_lshlrev_b64 v[26:27], 2, v[26:27]
	v_add_co_u32_e32 v26, vcc, s0, v26
	v_add_u32_e32 v28, 13, v30
	v_mov_b32_e32 v29, v31
	v_addc_co_u32_e32 v27, vcc, v39, v27, vcc
	v_lshlrev_b64 v[28:29], 2, v[28:29]
	v_add_co_u32_e32 v28, vcc, s0, v28
	v_add_u32_e32 v30, 14, v30
	v_addc_co_u32_e32 v29, vcc, v39, v29, vcc
	v_lshlrev_b64 v[30:31], 2, v[30:31]
	v_add_co_u32_e32 v30, vcc, s0, v30
	v_addc_co_u32_e32 v31, vcc, v39, v31, vcc
	global_load_dword v39, v[18:19], off
	global_load_dword v40, v[20:21], off
	;; [unrolled: 1-line block ×7, first 2 shown]
	v_lshrrev_b32_e32 v47, 5, v0
	v_add_lshl_u32 v47, v47, v0, 2
	v_cmp_gt_u32_e32 vcc, 64, v0
	s_waitcnt vmcnt(13)
	v_add_f32_e32 v46, v1, v32
	s_waitcnt vmcnt(12)
	v_add_f32_e32 v46, v33, v46
	;; [unrolled: 2-line block ×14, first 2 shown]
	ds_write_b32 v47, v46
	s_waitcnt lgkmcnt(0)
	s_barrier
	s_and_saveexec_b64 s[0:1], vcc
	s_cbranch_execz .LBB170_2
; %bb.1:
	v_lshlrev_b32_e32 v47, 2, v0
	v_lshrrev_b32_e32 v48, 3, v0
	v_add_lshl_u32 v47, v48, v47, 2
	ds_read2_b32 v[48:49], v47 offset1:1
	ds_read2_b32 v[50:51], v47 offset0:2 offset1:3
	v_mbcnt_lo_u32_b32 v52, -1, 0
	v_mbcnt_hi_u32_b32 v52, -1, v52
	v_and_b32_e32 v54, 15, v52
	s_waitcnt lgkmcnt(1)
	v_add_f32_e32 v53, v48, v49
	s_waitcnt lgkmcnt(0)
	v_add_f32_e32 v53, v53, v50
	v_add_f32_e32 v53, v53, v51
	v_cmp_eq_u32_e32 vcc, 0, v54
	s_nop 0
	v_mov_b32_dpp v55, v53 row_shr:1 row_mask:0xf bank_mask:0xf
	v_add_f32_e32 v55, v53, v55
	v_cndmask_b32_e32 v53, v55, v53, vcc
	v_cmp_lt_u32_e32 vcc, 1, v54
	s_nop 0
	v_mov_b32_dpp v55, v53 row_shr:2 row_mask:0xf bank_mask:0xf
	v_add_f32_e32 v55, v53, v55
	v_cndmask_b32_e32 v53, v53, v55, vcc
	v_cmp_lt_u32_e32 vcc, 3, v54
	;; [unrolled: 5-line block ×3, first 2 shown]
	s_nop 0
	v_mov_b32_dpp v55, v53 row_shr:8 row_mask:0xf bank_mask:0xf
	v_add_f32_e32 v55, v53, v55
	v_cndmask_b32_e32 v53, v53, v55, vcc
	v_and_b32_e32 v55, 16, v52
	v_cmp_eq_u32_e32 vcc, 0, v55
	v_mov_b32_dpp v54, v53 row_bcast:15 row_mask:0xf bank_mask:0xf
	v_add_f32_e32 v54, v53, v54
	v_cndmask_b32_e32 v53, v54, v53, vcc
	v_cmp_lt_u32_e32 vcc, 31, v52
	v_and_b32_e32 v55, 64, v52
	v_mov_b32_dpp v54, v53 row_bcast:31 row_mask:0xf bank_mask:0xf
	v_add_f32_e32 v54, v53, v54
	v_cndmask_b32_e32 v53, v53, v54, vcc
	v_add_u32_e32 v54, -1, v52
	v_cmp_lt_i32_e32 vcc, v54, v55
	v_cndmask_b32_e32 v52, v54, v52, vcc
	v_lshlrev_b32_e32 v52, 2, v52
	ds_bpermute_b32 v52, v52, v53
	v_cmp_eq_u32_e32 vcc, 0, v0
	s_waitcnt lgkmcnt(0)
	v_add_f32_e32 v48, v48, v52
	v_cndmask_b32_e32 v48, v48, v46, vcc
	v_add_f32_e32 v49, v49, v48
	ds_write2_b32 v47, v48, v49 offset1:1
	v_add_f32_e32 v48, v50, v49
	v_add_f32_e32 v49, v51, v48
	ds_write2_b32 v47, v48, v49 offset0:2 offset1:3
.LBB170_2:
	s_or_b64 exec, exec, s[0:1]
	v_cmp_eq_u32_e32 vcc, 0, v0
	v_cmp_ne_u32_e64 s[0:1], 0, v0
	s_waitcnt lgkmcnt(0)
	s_barrier
	s_and_saveexec_b64 s[2:3], s[0:1]
	s_cbranch_execz .LBB170_4
; %bb.3:
	v_add_u32_e32 v0, -1, v0
	v_lshrrev_b32_e32 v46, 5, v0
	v_add_lshl_u32 v0, v46, v0, 2
	ds_read_b32 v46, v0
.LBB170_4:
	s_or_b64 exec, exec, s[2:3]
	s_waitcnt lgkmcnt(0)
	v_add_f32_e32 v0, v1, v46
	v_cndmask_b32_e32 v0, v0, v1, vcc
	v_add_f32_e32 v1, v32, v0
	v_add_f32_e32 v32, v33, v1
	;; [unrolled: 1-line block ×14, first 2 shown]
	global_store_dword v[2:3], v0, off
	global_store_dword v[4:5], v1, off
	;; [unrolled: 1-line block ×15, first 2 shown]
	s_endpgm
	.section	.rodata,"a",@progbits
	.p2align	6, 0x0
	.amdhsa_kernel _Z27inclusive_scan_array_kernelILj255ELj15ELN6hipcub18BlockScanAlgorithmE1EfEvPT2_
		.amdhsa_group_segment_fixed_size 1056
		.amdhsa_private_segment_fixed_size 0
		.amdhsa_kernarg_size 8
		.amdhsa_user_sgpr_count 6
		.amdhsa_user_sgpr_private_segment_buffer 1
		.amdhsa_user_sgpr_dispatch_ptr 0
		.amdhsa_user_sgpr_queue_ptr 0
		.amdhsa_user_sgpr_kernarg_segment_ptr 1
		.amdhsa_user_sgpr_dispatch_id 0
		.amdhsa_user_sgpr_flat_scratch_init 0
		.amdhsa_user_sgpr_kernarg_preload_length 0
		.amdhsa_user_sgpr_kernarg_preload_offset 0
		.amdhsa_user_sgpr_private_segment_size 0
		.amdhsa_uses_dynamic_stack 0
		.amdhsa_system_sgpr_private_segment_wavefront_offset 0
		.amdhsa_system_sgpr_workgroup_id_x 1
		.amdhsa_system_sgpr_workgroup_id_y 0
		.amdhsa_system_sgpr_workgroup_id_z 0
		.amdhsa_system_sgpr_workgroup_info 0
		.amdhsa_system_vgpr_workitem_id 0
		.amdhsa_next_free_vgpr 56
		.amdhsa_next_free_sgpr 7
		.amdhsa_accum_offset 56
		.amdhsa_reserve_vcc 1
		.amdhsa_reserve_flat_scratch 0
		.amdhsa_float_round_mode_32 0
		.amdhsa_float_round_mode_16_64 0
		.amdhsa_float_denorm_mode_32 3
		.amdhsa_float_denorm_mode_16_64 3
		.amdhsa_dx10_clamp 1
		.amdhsa_ieee_mode 1
		.amdhsa_fp16_overflow 0
		.amdhsa_tg_split 0
		.amdhsa_exception_fp_ieee_invalid_op 0
		.amdhsa_exception_fp_denorm_src 0
		.amdhsa_exception_fp_ieee_div_zero 0
		.amdhsa_exception_fp_ieee_overflow 0
		.amdhsa_exception_fp_ieee_underflow 0
		.amdhsa_exception_fp_ieee_inexact 0
		.amdhsa_exception_int_div_zero 0
	.end_amdhsa_kernel
	.section	.text._Z27inclusive_scan_array_kernelILj255ELj15ELN6hipcub18BlockScanAlgorithmE1EfEvPT2_,"axG",@progbits,_Z27inclusive_scan_array_kernelILj255ELj15ELN6hipcub18BlockScanAlgorithmE1EfEvPT2_,comdat
.Lfunc_end170:
	.size	_Z27inclusive_scan_array_kernelILj255ELj15ELN6hipcub18BlockScanAlgorithmE1EfEvPT2_, .Lfunc_end170-_Z27inclusive_scan_array_kernelILj255ELj15ELN6hipcub18BlockScanAlgorithmE1EfEvPT2_
                                        ; -- End function
	.section	.AMDGPU.csdata,"",@progbits
; Kernel info:
; codeLenInByte = 1192
; NumSgprs: 11
; NumVgprs: 56
; NumAgprs: 0
; TotalNumVgprs: 56
; ScratchSize: 0
; MemoryBound: 0
; FloatMode: 240
; IeeeMode: 1
; LDSByteSize: 1056 bytes/workgroup (compile time only)
; SGPRBlocks: 1
; VGPRBlocks: 6
; NumSGPRsForWavesPerEU: 11
; NumVGPRsForWavesPerEU: 56
; AccumOffset: 56
; Occupancy: 8
; WaveLimiterHint : 0
; COMPUTE_PGM_RSRC2:SCRATCH_EN: 0
; COMPUTE_PGM_RSRC2:USER_SGPR: 6
; COMPUTE_PGM_RSRC2:TRAP_HANDLER: 0
; COMPUTE_PGM_RSRC2:TGID_X_EN: 1
; COMPUTE_PGM_RSRC2:TGID_Y_EN: 0
; COMPUTE_PGM_RSRC2:TGID_Z_EN: 0
; COMPUTE_PGM_RSRC2:TIDIG_COMP_CNT: 0
; COMPUTE_PGM_RSRC3_GFX90A:ACCUM_OFFSET: 13
; COMPUTE_PGM_RSRC3_GFX90A:TG_SPLIT: 0
	.section	.text._Z27inclusive_scan_array_kernelILj162ELj7ELN6hipcub18BlockScanAlgorithmE1EfEvPT2_,"axG",@progbits,_Z27inclusive_scan_array_kernelILj162ELj7ELN6hipcub18BlockScanAlgorithmE1EfEvPT2_,comdat
	.protected	_Z27inclusive_scan_array_kernelILj162ELj7ELN6hipcub18BlockScanAlgorithmE1EfEvPT2_ ; -- Begin function _Z27inclusive_scan_array_kernelILj162ELj7ELN6hipcub18BlockScanAlgorithmE1EfEvPT2_
	.globl	_Z27inclusive_scan_array_kernelILj162ELj7ELN6hipcub18BlockScanAlgorithmE1EfEvPT2_
	.p2align	8
	.type	_Z27inclusive_scan_array_kernelILj162ELj7ELN6hipcub18BlockScanAlgorithmE1EfEvPT2_,@function
_Z27inclusive_scan_array_kernelILj162ELj7ELN6hipcub18BlockScanAlgorithmE1EfEvPT2_: ; @_Z27inclusive_scan_array_kernelILj162ELj7ELN6hipcub18BlockScanAlgorithmE1EfEvPT2_
; %bb.0:
	s_load_dwordx2 s[0:1], s[4:5], 0x0
	s_mulk_i32 s6, 0xa2
	v_add_u32_e32 v1, s6, v0
	v_mul_lo_u32 v14, v1, 7
	v_mov_b32_e32 v15, 0
	v_lshlrev_b64 v[2:3], 2, v[14:15]
	s_waitcnt lgkmcnt(0)
	v_mov_b32_e32 v1, s1
	v_add_co_u32_e32 v2, vcc, s0, v2
	v_add_u32_e32 v4, 1, v14
	v_mov_b32_e32 v5, v15
	v_addc_co_u32_e32 v3, vcc, v1, v3, vcc
	v_lshlrev_b64 v[4:5], 2, v[4:5]
	v_add_co_u32_e32 v4, vcc, s0, v4
	v_add_u32_e32 v6, 2, v14
	v_mov_b32_e32 v7, v15
	v_addc_co_u32_e32 v5, vcc, v1, v5, vcc
	v_lshlrev_b64 v[6:7], 2, v[6:7]
	;; [unrolled: 5-line block ×5, first 2 shown]
	v_add_co_u32_e32 v12, vcc, s0, v12
	v_add_u32_e32 v14, 6, v14
	v_addc_co_u32_e32 v13, vcc, v1, v13, vcc
	v_lshlrev_b64 v[14:15], 2, v[14:15]
	v_add_co_u32_e32 v14, vcc, s0, v14
	v_addc_co_u32_e32 v15, vcc, v1, v15, vcc
	global_load_dword v1, v[2:3], off
	global_load_dword v16, v[4:5], off
	;; [unrolled: 1-line block ×7, first 2 shown]
	v_lshlrev_b32_e32 v22, 2, v0
	v_cmp_gt_u32_e32 vcc, 64, v0
	s_waitcnt vmcnt(5)
	v_add_f32_e32 v23, v1, v16
	s_waitcnt vmcnt(4)
	v_add_f32_e32 v23, v17, v23
	;; [unrolled: 2-line block ×6, first 2 shown]
	ds_write_b32 v22, v23
	s_waitcnt lgkmcnt(0)
	s_barrier
	s_and_saveexec_b64 s[0:1], vcc
	s_cbranch_execz .LBB171_2
; %bb.1:
	v_mul_u32_u24_e32 v24, 3, v0
	v_lshlrev_b32_e32 v26, 2, v24
	ds_read2_b32 v[24:25], v26 offset1:1
	ds_read_b32 v27, v26 offset:8
	v_mbcnt_lo_u32_b32 v28, -1, 0
	v_mbcnt_hi_u32_b32 v28, -1, v28
	v_and_b32_e32 v29, 15, v28
	s_waitcnt lgkmcnt(1)
	v_add_f32_e32 v30, v24, v25
	s_waitcnt lgkmcnt(0)
	v_add_f32_e32 v30, v30, v27
	v_cmp_eq_u32_e32 vcc, 0, v29
	s_nop 0
	v_mov_b32_dpp v31, v30 row_shr:1 row_mask:0xf bank_mask:0xf
	v_add_f32_e32 v31, v30, v31
	v_cndmask_b32_e32 v30, v31, v30, vcc
	v_cmp_lt_u32_e32 vcc, 1, v29
	s_nop 0
	v_mov_b32_dpp v31, v30 row_shr:2 row_mask:0xf bank_mask:0xf
	v_add_f32_e32 v31, v30, v31
	v_cndmask_b32_e32 v30, v30, v31, vcc
	v_cmp_lt_u32_e32 vcc, 3, v29
	;; [unrolled: 5-line block ×3, first 2 shown]
	s_nop 0
	v_mov_b32_dpp v31, v30 row_shr:8 row_mask:0xf bank_mask:0xf
	v_add_f32_e32 v31, v30, v31
	v_cndmask_b32_e32 v29, v30, v31, vcc
	v_and_b32_e32 v31, 16, v28
	v_cmp_eq_u32_e32 vcc, 0, v31
	v_mov_b32_dpp v30, v29 row_bcast:15 row_mask:0xf bank_mask:0xf
	v_add_f32_e32 v30, v29, v30
	v_cndmask_b32_e32 v29, v30, v29, vcc
	v_cmp_lt_u32_e32 vcc, 31, v28
	v_and_b32_e32 v31, 64, v28
	v_mov_b32_dpp v30, v29 row_bcast:31 row_mask:0xf bank_mask:0xf
	v_add_f32_e32 v30, v29, v30
	v_cndmask_b32_e32 v29, v29, v30, vcc
	v_add_u32_e32 v30, -1, v28
	v_cmp_lt_i32_e32 vcc, v30, v31
	v_cndmask_b32_e32 v28, v30, v28, vcc
	v_lshlrev_b32_e32 v28, 2, v28
	ds_bpermute_b32 v28, v28, v29
	v_cmp_eq_u32_e32 vcc, 0, v0
	s_waitcnt lgkmcnt(0)
	v_add_f32_e32 v24, v24, v28
	v_cndmask_b32_e32 v24, v24, v23, vcc
	v_add_f32_e32 v25, v25, v24
	ds_write2_b32 v26, v24, v25 offset1:1
	v_add_f32_e32 v24, v27, v25
	ds_write_b32 v26, v24 offset:8
.LBB171_2:
	s_or_b64 exec, exec, s[0:1]
	v_cmp_eq_u32_e32 vcc, 0, v0
	v_cmp_ne_u32_e64 s[0:1], 0, v0
	s_waitcnt lgkmcnt(0)
	s_barrier
	s_and_saveexec_b64 s[2:3], s[0:1]
	s_cbranch_execz .LBB171_4
; %bb.3:
	v_add_u32_e32 v0, -4, v22
	ds_read_b32 v23, v0
.LBB171_4:
	s_or_b64 exec, exec, s[2:3]
	s_waitcnt lgkmcnt(0)
	v_add_f32_e32 v0, v1, v23
	v_cndmask_b32_e32 v0, v0, v1, vcc
	v_add_f32_e32 v1, v16, v0
	v_add_f32_e32 v16, v17, v1
	;; [unrolled: 1-line block ×6, first 2 shown]
	global_store_dword v[2:3], v0, off
	global_store_dword v[4:5], v1, off
	;; [unrolled: 1-line block ×7, first 2 shown]
	s_endpgm
	.section	.rodata,"a",@progbits
	.p2align	6, 0x0
	.amdhsa_kernel _Z27inclusive_scan_array_kernelILj162ELj7ELN6hipcub18BlockScanAlgorithmE1EfEvPT2_
		.amdhsa_group_segment_fixed_size 768
		.amdhsa_private_segment_fixed_size 0
		.amdhsa_kernarg_size 8
		.amdhsa_user_sgpr_count 6
		.amdhsa_user_sgpr_private_segment_buffer 1
		.amdhsa_user_sgpr_dispatch_ptr 0
		.amdhsa_user_sgpr_queue_ptr 0
		.amdhsa_user_sgpr_kernarg_segment_ptr 1
		.amdhsa_user_sgpr_dispatch_id 0
		.amdhsa_user_sgpr_flat_scratch_init 0
		.amdhsa_user_sgpr_kernarg_preload_length 0
		.amdhsa_user_sgpr_kernarg_preload_offset 0
		.amdhsa_user_sgpr_private_segment_size 0
		.amdhsa_uses_dynamic_stack 0
		.amdhsa_system_sgpr_private_segment_wavefront_offset 0
		.amdhsa_system_sgpr_workgroup_id_x 1
		.amdhsa_system_sgpr_workgroup_id_y 0
		.amdhsa_system_sgpr_workgroup_id_z 0
		.amdhsa_system_sgpr_workgroup_info 0
		.amdhsa_system_vgpr_workitem_id 0
		.amdhsa_next_free_vgpr 32
		.amdhsa_next_free_sgpr 7
		.amdhsa_accum_offset 32
		.amdhsa_reserve_vcc 1
		.amdhsa_reserve_flat_scratch 0
		.amdhsa_float_round_mode_32 0
		.amdhsa_float_round_mode_16_64 0
		.amdhsa_float_denorm_mode_32 3
		.amdhsa_float_denorm_mode_16_64 3
		.amdhsa_dx10_clamp 1
		.amdhsa_ieee_mode 1
		.amdhsa_fp16_overflow 0
		.amdhsa_tg_split 0
		.amdhsa_exception_fp_ieee_invalid_op 0
		.amdhsa_exception_fp_denorm_src 0
		.amdhsa_exception_fp_ieee_div_zero 0
		.amdhsa_exception_fp_ieee_overflow 0
		.amdhsa_exception_fp_ieee_underflow 0
		.amdhsa_exception_fp_ieee_inexact 0
		.amdhsa_exception_int_div_zero 0
	.end_amdhsa_kernel
	.section	.text._Z27inclusive_scan_array_kernelILj162ELj7ELN6hipcub18BlockScanAlgorithmE1EfEvPT2_,"axG",@progbits,_Z27inclusive_scan_array_kernelILj162ELj7ELN6hipcub18BlockScanAlgorithmE1EfEvPT2_,comdat
.Lfunc_end171:
	.size	_Z27inclusive_scan_array_kernelILj162ELj7ELN6hipcub18BlockScanAlgorithmE1EfEvPT2_, .Lfunc_end171-_Z27inclusive_scan_array_kernelILj162ELj7ELN6hipcub18BlockScanAlgorithmE1EfEvPT2_
                                        ; -- End function
	.section	.AMDGPU.csdata,"",@progbits
; Kernel info:
; codeLenInByte = 740
; NumSgprs: 11
; NumVgprs: 32
; NumAgprs: 0
; TotalNumVgprs: 32
; ScratchSize: 0
; MemoryBound: 0
; FloatMode: 240
; IeeeMode: 1
; LDSByteSize: 768 bytes/workgroup (compile time only)
; SGPRBlocks: 1
; VGPRBlocks: 3
; NumSGPRsForWavesPerEU: 11
; NumVGPRsForWavesPerEU: 32
; AccumOffset: 32
; Occupancy: 8
; WaveLimiterHint : 0
; COMPUTE_PGM_RSRC2:SCRATCH_EN: 0
; COMPUTE_PGM_RSRC2:USER_SGPR: 6
; COMPUTE_PGM_RSRC2:TRAP_HANDLER: 0
; COMPUTE_PGM_RSRC2:TGID_X_EN: 1
; COMPUTE_PGM_RSRC2:TGID_Y_EN: 0
; COMPUTE_PGM_RSRC2:TGID_Z_EN: 0
; COMPUTE_PGM_RSRC2:TIDIG_COMP_CNT: 0
; COMPUTE_PGM_RSRC3_GFX90A:ACCUM_OFFSET: 7
; COMPUTE_PGM_RSRC3_GFX90A:TG_SPLIT: 0
	.section	.text._Z27inclusive_scan_array_kernelILj65ELj5ELN6hipcub18BlockScanAlgorithmE1EfEvPT2_,"axG",@progbits,_Z27inclusive_scan_array_kernelILj65ELj5ELN6hipcub18BlockScanAlgorithmE1EfEvPT2_,comdat
	.protected	_Z27inclusive_scan_array_kernelILj65ELj5ELN6hipcub18BlockScanAlgorithmE1EfEvPT2_ ; -- Begin function _Z27inclusive_scan_array_kernelILj65ELj5ELN6hipcub18BlockScanAlgorithmE1EfEvPT2_
	.globl	_Z27inclusive_scan_array_kernelILj65ELj5ELN6hipcub18BlockScanAlgorithmE1EfEvPT2_
	.p2align	8
	.type	_Z27inclusive_scan_array_kernelILj65ELj5ELN6hipcub18BlockScanAlgorithmE1EfEvPT2_,@function
_Z27inclusive_scan_array_kernelILj65ELj5ELN6hipcub18BlockScanAlgorithmE1EfEvPT2_: ; @_Z27inclusive_scan_array_kernelILj65ELj5ELN6hipcub18BlockScanAlgorithmE1EfEvPT2_
; %bb.0:
	s_load_dwordx2 s[0:1], s[4:5], 0x0
	s_mulk_i32 s6, 0x41
	v_add_u32_e32 v1, s6, v0
	v_lshl_add_u32 v10, v1, 2, v1
	v_mov_b32_e32 v11, 0
	v_lshlrev_b64 v[2:3], 2, v[10:11]
	s_waitcnt lgkmcnt(0)
	v_mov_b32_e32 v1, s1
	v_add_co_u32_e32 v2, vcc, s0, v2
	v_add_u32_e32 v4, 1, v10
	v_mov_b32_e32 v5, v11
	v_addc_co_u32_e32 v3, vcc, v1, v3, vcc
	v_lshlrev_b64 v[4:5], 2, v[4:5]
	v_add_co_u32_e32 v4, vcc, s0, v4
	v_add_u32_e32 v6, 2, v10
	v_mov_b32_e32 v7, v11
	v_addc_co_u32_e32 v5, vcc, v1, v5, vcc
	v_lshlrev_b64 v[6:7], 2, v[6:7]
	;; [unrolled: 5-line block ×3, first 2 shown]
	v_add_co_u32_e32 v8, vcc, s0, v8
	v_add_u32_e32 v10, 4, v10
	v_addc_co_u32_e32 v9, vcc, v1, v9, vcc
	v_lshlrev_b64 v[10:11], 2, v[10:11]
	v_add_co_u32_e32 v10, vcc, s0, v10
	v_addc_co_u32_e32 v11, vcc, v1, v11, vcc
	global_load_dword v1, v[2:3], off
	global_load_dword v12, v[4:5], off
	;; [unrolled: 1-line block ×5, first 2 shown]
	v_lshrrev_b32_e32 v16, 5, v0
	v_add_lshl_u32 v17, v16, v0, 2
	v_cmp_gt_u32_e32 vcc, 64, v0
	s_waitcnt vmcnt(3)
	v_add_f32_e32 v16, v1, v12
	s_waitcnt vmcnt(2)
	v_add_f32_e32 v16, v13, v16
	s_waitcnt vmcnt(1)
	v_add_f32_e32 v16, v14, v16
	s_waitcnt vmcnt(0)
	v_add_f32_e32 v16, v15, v16
	ds_write_b32 v17, v16
	s_waitcnt lgkmcnt(0)
	s_barrier
	s_and_saveexec_b64 s[0:1], vcc
	s_cbranch_execz .LBB172_2
; %bb.1:
	v_lshlrev_b32_e32 v17, 1, v0
	v_lshrrev_b32_e32 v18, 4, v0
	v_add_lshl_u32 v17, v18, v17, 2
	ds_read2_b32 v[18:19], v17 offset1:1
	v_mbcnt_lo_u32_b32 v20, -1, 0
	v_mbcnt_hi_u32_b32 v20, -1, v20
	v_and_b32_e32 v21, 15, v20
	v_cmp_eq_u32_e32 vcc, 0, v21
	s_waitcnt lgkmcnt(0)
	v_add_f32_e32 v22, v18, v19
	s_nop 1
	v_mov_b32_dpp v23, v22 row_shr:1 row_mask:0xf bank_mask:0xf
	v_add_f32_e32 v23, v22, v23
	v_cndmask_b32_e32 v22, v23, v22, vcc
	v_cmp_lt_u32_e32 vcc, 1, v21
	s_nop 0
	v_mov_b32_dpp v23, v22 row_shr:2 row_mask:0xf bank_mask:0xf
	v_add_f32_e32 v23, v22, v23
	v_cndmask_b32_e32 v22, v22, v23, vcc
	v_cmp_lt_u32_e32 vcc, 3, v21
	s_nop 0
	v_mov_b32_dpp v23, v22 row_shr:4 row_mask:0xf bank_mask:0xf
	v_add_f32_e32 v23, v22, v23
	v_cndmask_b32_e32 v22, v22, v23, vcc
	v_cmp_lt_u32_e32 vcc, 7, v21
	s_nop 0
	v_mov_b32_dpp v23, v22 row_shr:8 row_mask:0xf bank_mask:0xf
	v_add_f32_e32 v23, v22, v23
	v_cndmask_b32_e32 v21, v22, v23, vcc
	v_and_b32_e32 v23, 16, v20
	v_cmp_eq_u32_e32 vcc, 0, v23
	v_mov_b32_dpp v22, v21 row_bcast:15 row_mask:0xf bank_mask:0xf
	v_add_f32_e32 v22, v21, v22
	v_cndmask_b32_e32 v21, v22, v21, vcc
	v_cmp_lt_u32_e32 vcc, 31, v20
	v_and_b32_e32 v23, 64, v20
	v_mov_b32_dpp v22, v21 row_bcast:31 row_mask:0xf bank_mask:0xf
	v_add_f32_e32 v22, v21, v22
	v_cndmask_b32_e32 v21, v21, v22, vcc
	v_add_u32_e32 v22, -1, v20
	v_cmp_lt_i32_e32 vcc, v22, v23
	v_cndmask_b32_e32 v20, v22, v20, vcc
	v_lshlrev_b32_e32 v20, 2, v20
	ds_bpermute_b32 v20, v20, v21
	v_cmp_eq_u32_e32 vcc, 0, v0
	s_waitcnt lgkmcnt(0)
	v_add_f32_e32 v18, v18, v20
	v_cndmask_b32_e32 v18, v18, v16, vcc
	v_add_f32_e32 v19, v19, v18
	ds_write2_b32 v17, v18, v19 offset1:1
.LBB172_2:
	s_or_b64 exec, exec, s[0:1]
	v_cmp_eq_u32_e32 vcc, 0, v0
	v_cmp_ne_u32_e64 s[0:1], 0, v0
	s_waitcnt lgkmcnt(0)
	s_barrier
	s_and_saveexec_b64 s[2:3], s[0:1]
	s_cbranch_execz .LBB172_4
; %bb.3:
	v_add_u32_e32 v0, -1, v0
	v_lshrrev_b32_e32 v16, 5, v0
	v_add_lshl_u32 v0, v16, v0, 2
	ds_read_b32 v16, v0
.LBB172_4:
	s_or_b64 exec, exec, s[2:3]
	s_waitcnt lgkmcnt(0)
	v_add_f32_e32 v0, v1, v16
	v_cndmask_b32_e32 v0, v0, v1, vcc
	v_add_f32_e32 v1, v12, v0
	v_add_f32_e32 v12, v13, v1
	;; [unrolled: 1-line block ×4, first 2 shown]
	global_store_dword v[2:3], v0, off
	global_store_dword v[4:5], v1, off
	;; [unrolled: 1-line block ×5, first 2 shown]
	s_endpgm
	.section	.rodata,"a",@progbits
	.p2align	6, 0x0
	.amdhsa_kernel _Z27inclusive_scan_array_kernelILj65ELj5ELN6hipcub18BlockScanAlgorithmE1EfEvPT2_
		.amdhsa_group_segment_fixed_size 528
		.amdhsa_private_segment_fixed_size 0
		.amdhsa_kernarg_size 8
		.amdhsa_user_sgpr_count 6
		.amdhsa_user_sgpr_private_segment_buffer 1
		.amdhsa_user_sgpr_dispatch_ptr 0
		.amdhsa_user_sgpr_queue_ptr 0
		.amdhsa_user_sgpr_kernarg_segment_ptr 1
		.amdhsa_user_sgpr_dispatch_id 0
		.amdhsa_user_sgpr_flat_scratch_init 0
		.amdhsa_user_sgpr_kernarg_preload_length 0
		.amdhsa_user_sgpr_kernarg_preload_offset 0
		.amdhsa_user_sgpr_private_segment_size 0
		.amdhsa_uses_dynamic_stack 0
		.amdhsa_system_sgpr_private_segment_wavefront_offset 0
		.amdhsa_system_sgpr_workgroup_id_x 1
		.amdhsa_system_sgpr_workgroup_id_y 0
		.amdhsa_system_sgpr_workgroup_id_z 0
		.amdhsa_system_sgpr_workgroup_info 0
		.amdhsa_system_vgpr_workitem_id 0
		.amdhsa_next_free_vgpr 24
		.amdhsa_next_free_sgpr 7
		.amdhsa_accum_offset 24
		.amdhsa_reserve_vcc 1
		.amdhsa_reserve_flat_scratch 0
		.amdhsa_float_round_mode_32 0
		.amdhsa_float_round_mode_16_64 0
		.amdhsa_float_denorm_mode_32 3
		.amdhsa_float_denorm_mode_16_64 3
		.amdhsa_dx10_clamp 1
		.amdhsa_ieee_mode 1
		.amdhsa_fp16_overflow 0
		.amdhsa_tg_split 0
		.amdhsa_exception_fp_ieee_invalid_op 0
		.amdhsa_exception_fp_denorm_src 0
		.amdhsa_exception_fp_ieee_div_zero 0
		.amdhsa_exception_fp_ieee_overflow 0
		.amdhsa_exception_fp_ieee_underflow 0
		.amdhsa_exception_fp_ieee_inexact 0
		.amdhsa_exception_int_div_zero 0
	.end_amdhsa_kernel
	.section	.text._Z27inclusive_scan_array_kernelILj65ELj5ELN6hipcub18BlockScanAlgorithmE1EfEvPT2_,"axG",@progbits,_Z27inclusive_scan_array_kernelILj65ELj5ELN6hipcub18BlockScanAlgorithmE1EfEvPT2_,comdat
.Lfunc_end172:
	.size	_Z27inclusive_scan_array_kernelILj65ELj5ELN6hipcub18BlockScanAlgorithmE1EfEvPT2_, .Lfunc_end172-_Z27inclusive_scan_array_kernelILj65ELj5ELN6hipcub18BlockScanAlgorithmE1EfEvPT2_
                                        ; -- End function
	.section	.AMDGPU.csdata,"",@progbits
; Kernel info:
; codeLenInByte = 636
; NumSgprs: 11
; NumVgprs: 24
; NumAgprs: 0
; TotalNumVgprs: 24
; ScratchSize: 0
; MemoryBound: 0
; FloatMode: 240
; IeeeMode: 1
; LDSByteSize: 528 bytes/workgroup (compile time only)
; SGPRBlocks: 1
; VGPRBlocks: 2
; NumSGPRsForWavesPerEU: 11
; NumVGPRsForWavesPerEU: 24
; AccumOffset: 24
; Occupancy: 8
; WaveLimiterHint : 0
; COMPUTE_PGM_RSRC2:SCRATCH_EN: 0
; COMPUTE_PGM_RSRC2:USER_SGPR: 6
; COMPUTE_PGM_RSRC2:TRAP_HANDLER: 0
; COMPUTE_PGM_RSRC2:TGID_X_EN: 1
; COMPUTE_PGM_RSRC2:TGID_Y_EN: 0
; COMPUTE_PGM_RSRC2:TGID_Z_EN: 0
; COMPUTE_PGM_RSRC2:TIDIG_COMP_CNT: 0
; COMPUTE_PGM_RSRC3_GFX90A:ACCUM_OFFSET: 5
; COMPUTE_PGM_RSRC3_GFX90A:TG_SPLIT: 0
	.section	.text._Z27inclusive_scan_array_kernelILj37ELj2ELN6hipcub18BlockScanAlgorithmE1EfEvPT2_,"axG",@progbits,_Z27inclusive_scan_array_kernelILj37ELj2ELN6hipcub18BlockScanAlgorithmE1EfEvPT2_,comdat
	.protected	_Z27inclusive_scan_array_kernelILj37ELj2ELN6hipcub18BlockScanAlgorithmE1EfEvPT2_ ; -- Begin function _Z27inclusive_scan_array_kernelILj37ELj2ELN6hipcub18BlockScanAlgorithmE1EfEvPT2_
	.globl	_Z27inclusive_scan_array_kernelILj37ELj2ELN6hipcub18BlockScanAlgorithmE1EfEvPT2_
	.p2align	8
	.type	_Z27inclusive_scan_array_kernelILj37ELj2ELN6hipcub18BlockScanAlgorithmE1EfEvPT2_,@function
_Z27inclusive_scan_array_kernelILj37ELj2ELN6hipcub18BlockScanAlgorithmE1EfEvPT2_: ; @_Z27inclusive_scan_array_kernelILj37ELj2ELN6hipcub18BlockScanAlgorithmE1EfEvPT2_
; %bb.0:
	s_load_dwordx2 s[0:1], s[4:5], 0x0
	s_mul_i32 s6, s6, 37
	v_add_lshl_u32 v6, s6, v0, 1
	v_mov_b32_e32 v7, 0
	v_lshlrev_b64 v[2:3], 2, v[6:7]
	s_waitcnt lgkmcnt(0)
	v_mov_b32_e32 v1, s1
	v_add_co_u32_e32 v2, vcc, s0, v2
	v_addc_co_u32_e32 v3, vcc, v1, v3, vcc
	global_load_dwordx2 v[4:5], v[2:3], off
	v_mbcnt_lo_u32_b32 v1, -1, 0
	v_mbcnt_hi_u32_b32 v1, -1, v1
	v_and_b32_e32 v6, 15, v1
	v_cmp_eq_u32_e32 vcc, 0, v6
	v_and_b32_e32 v8, 16, v1
	s_waitcnt vmcnt(0)
	v_add_f32_e32 v9, v4, v5
	s_nop 1
	v_mov_b32_dpp v10, v9 row_shr:1 row_mask:0xf bank_mask:0xf
	v_add_f32_e32 v10, v9, v10
	v_cndmask_b32_e32 v9, v10, v9, vcc
	v_cmp_lt_u32_e32 vcc, 1, v6
	s_nop 0
	v_mov_b32_dpp v10, v9 row_shr:2 row_mask:0xf bank_mask:0xf
	v_add_f32_e32 v10, v9, v10
	v_cndmask_b32_e32 v9, v9, v10, vcc
	v_cmp_lt_u32_e32 vcc, 3, v6
	;; [unrolled: 5-line block ×3, first 2 shown]
	s_nop 0
	v_mov_b32_dpp v10, v9 row_shr:8 row_mask:0xf bank_mask:0xf
	v_add_f32_e32 v10, v9, v10
	v_cndmask_b32_e32 v6, v9, v10, vcc
	v_cmp_eq_u32_e32 vcc, 0, v8
	s_nop 0
	v_mov_b32_dpp v9, v6 row_bcast:15 row_mask:0xf bank_mask:0xf
	v_add_f32_e32 v9, v6, v9
	v_cndmask_b32_e32 v6, v9, v6, vcc
	v_cmp_lt_u32_e32 vcc, 31, v1
	s_nop 0
	v_mov_b32_dpp v8, v6 row_bcast:31 row_mask:0xf bank_mask:0xf
	v_add_f32_e32 v8, v6, v8
	v_cndmask_b32_e32 v6, v6, v8, vcc
	v_cmp_eq_u32_e32 vcc, 36, v0
	s_and_saveexec_b64 s[0:1], vcc
	s_cbranch_execz .LBB173_2
; %bb.1:
	ds_write_b32 v7, v6
.LBB173_2:
	s_or_b64 exec, exec, s[0:1]
	v_add_u32_e32 v7, -1, v1
	v_and_b32_e32 v8, 64, v1
	v_cmp_lt_i32_e32 vcc, v7, v8
	v_cndmask_b32_e32 v1, v7, v1, vcc
	v_lshlrev_b32_e32 v1, 2, v1
	ds_bpermute_b32 v1, v1, v6
	v_cmp_eq_u32_e32 vcc, 0, v0
	s_waitcnt lgkmcnt(0)
	; wave barrier
	s_waitcnt lgkmcnt(0)
	v_add_f32_e32 v1, v4, v1
	v_cndmask_b32_e32 v0, v1, v4, vcc
	v_add_f32_e32 v1, v5, v0
	global_store_dwordx2 v[2:3], v[0:1], off
	s_endpgm
	.section	.rodata,"a",@progbits
	.p2align	6, 0x0
	.amdhsa_kernel _Z27inclusive_scan_array_kernelILj37ELj2ELN6hipcub18BlockScanAlgorithmE1EfEvPT2_
		.amdhsa_group_segment_fixed_size 4
		.amdhsa_private_segment_fixed_size 0
		.amdhsa_kernarg_size 8
		.amdhsa_user_sgpr_count 6
		.amdhsa_user_sgpr_private_segment_buffer 1
		.amdhsa_user_sgpr_dispatch_ptr 0
		.amdhsa_user_sgpr_queue_ptr 0
		.amdhsa_user_sgpr_kernarg_segment_ptr 1
		.amdhsa_user_sgpr_dispatch_id 0
		.amdhsa_user_sgpr_flat_scratch_init 0
		.amdhsa_user_sgpr_kernarg_preload_length 0
		.amdhsa_user_sgpr_kernarg_preload_offset 0
		.amdhsa_user_sgpr_private_segment_size 0
		.amdhsa_uses_dynamic_stack 0
		.amdhsa_system_sgpr_private_segment_wavefront_offset 0
		.amdhsa_system_sgpr_workgroup_id_x 1
		.amdhsa_system_sgpr_workgroup_id_y 0
		.amdhsa_system_sgpr_workgroup_id_z 0
		.amdhsa_system_sgpr_workgroup_info 0
		.amdhsa_system_vgpr_workitem_id 0
		.amdhsa_next_free_vgpr 11
		.amdhsa_next_free_sgpr 7
		.amdhsa_accum_offset 12
		.amdhsa_reserve_vcc 1
		.amdhsa_reserve_flat_scratch 0
		.amdhsa_float_round_mode_32 0
		.amdhsa_float_round_mode_16_64 0
		.amdhsa_float_denorm_mode_32 3
		.amdhsa_float_denorm_mode_16_64 3
		.amdhsa_dx10_clamp 1
		.amdhsa_ieee_mode 1
		.amdhsa_fp16_overflow 0
		.amdhsa_tg_split 0
		.amdhsa_exception_fp_ieee_invalid_op 0
		.amdhsa_exception_fp_denorm_src 0
		.amdhsa_exception_fp_ieee_div_zero 0
		.amdhsa_exception_fp_ieee_overflow 0
		.amdhsa_exception_fp_ieee_underflow 0
		.amdhsa_exception_fp_ieee_inexact 0
		.amdhsa_exception_int_div_zero 0
	.end_amdhsa_kernel
	.section	.text._Z27inclusive_scan_array_kernelILj37ELj2ELN6hipcub18BlockScanAlgorithmE1EfEvPT2_,"axG",@progbits,_Z27inclusive_scan_array_kernelILj37ELj2ELN6hipcub18BlockScanAlgorithmE1EfEvPT2_,comdat
.Lfunc_end173:
	.size	_Z27inclusive_scan_array_kernelILj37ELj2ELN6hipcub18BlockScanAlgorithmE1EfEvPT2_, .Lfunc_end173-_Z27inclusive_scan_array_kernelILj37ELj2ELN6hipcub18BlockScanAlgorithmE1EfEvPT2_
                                        ; -- End function
	.section	.AMDGPU.csdata,"",@progbits
; Kernel info:
; codeLenInByte = 320
; NumSgprs: 11
; NumVgprs: 11
; NumAgprs: 0
; TotalNumVgprs: 11
; ScratchSize: 0
; MemoryBound: 0
; FloatMode: 240
; IeeeMode: 1
; LDSByteSize: 4 bytes/workgroup (compile time only)
; SGPRBlocks: 1
; VGPRBlocks: 1
; NumSGPRsForWavesPerEU: 11
; NumVGPRsForWavesPerEU: 11
; AccumOffset: 12
; Occupancy: 8
; WaveLimiterHint : 0
; COMPUTE_PGM_RSRC2:SCRATCH_EN: 0
; COMPUTE_PGM_RSRC2:USER_SGPR: 6
; COMPUTE_PGM_RSRC2:TRAP_HANDLER: 0
; COMPUTE_PGM_RSRC2:TGID_X_EN: 1
; COMPUTE_PGM_RSRC2:TGID_Y_EN: 0
; COMPUTE_PGM_RSRC2:TGID_Z_EN: 0
; COMPUTE_PGM_RSRC2:TIDIG_COMP_CNT: 0
; COMPUTE_PGM_RSRC3_GFX90A:ACCUM_OFFSET: 2
; COMPUTE_PGM_RSRC3_GFX90A:TG_SPLIT: 0
	.section	.text._Z27inclusive_scan_array_kernelILj512ELj4ELN6hipcub18BlockScanAlgorithmE1EjEvPT2_,"axG",@progbits,_Z27inclusive_scan_array_kernelILj512ELj4ELN6hipcub18BlockScanAlgorithmE1EjEvPT2_,comdat
	.protected	_Z27inclusive_scan_array_kernelILj512ELj4ELN6hipcub18BlockScanAlgorithmE1EjEvPT2_ ; -- Begin function _Z27inclusive_scan_array_kernelILj512ELj4ELN6hipcub18BlockScanAlgorithmE1EjEvPT2_
	.globl	_Z27inclusive_scan_array_kernelILj512ELj4ELN6hipcub18BlockScanAlgorithmE1EjEvPT2_
	.p2align	8
	.type	_Z27inclusive_scan_array_kernelILj512ELj4ELN6hipcub18BlockScanAlgorithmE1EjEvPT2_,@function
_Z27inclusive_scan_array_kernelILj512ELj4ELN6hipcub18BlockScanAlgorithmE1EjEvPT2_: ; @_Z27inclusive_scan_array_kernelILj512ELj4ELN6hipcub18BlockScanAlgorithmE1EjEvPT2_
; %bb.0:
	s_load_dwordx2 s[0:1], s[4:5], 0x0
	v_lshlrev_b32_e32 v1, 2, v0
	v_lshl_or_b32 v8, s6, 11, v1
	v_mov_b32_e32 v9, 0
	v_lshlrev_b64 v[2:3], 2, v[8:9]
	s_waitcnt lgkmcnt(0)
	v_mov_b32_e32 v1, s1
	v_add_co_u32_e32 v6, vcc, s0, v2
	v_addc_co_u32_e32 v7, vcc, v1, v3, vcc
	global_load_dwordx4 v[2:5], v[6:7], off
	v_lshrrev_b32_e32 v1, 5, v0
	v_add_lshl_u32 v8, v1, v0, 2
	v_cmp_gt_u32_e32 vcc, 64, v0
	s_waitcnt vmcnt(0)
	v_add_u32_e32 v1, v3, v2
	v_add3_u32 v1, v1, v4, v5
	ds_write_b32 v8, v1
	s_waitcnt lgkmcnt(0)
	s_barrier
	s_and_saveexec_b64 s[0:1], vcc
	s_cbranch_execz .LBB174_2
; %bb.1:
	v_lshlrev_b32_e32 v8, 3, v0
	v_lshrrev_b32_e32 v10, 2, v0
	v_add_lshl_u32 v8, v10, v8, 2
	ds_read2_b32 v[10:11], v8 offset1:1
	ds_read2_b32 v[12:13], v8 offset0:2 offset1:3
	ds_read2_b32 v[14:15], v8 offset0:4 offset1:5
	;; [unrolled: 1-line block ×3, first 2 shown]
	v_mbcnt_lo_u32_b32 v19, -1, 0
	s_waitcnt lgkmcnt(3)
	v_add_u32_e32 v18, v11, v10
	s_waitcnt lgkmcnt(2)
	v_add3_u32 v18, v18, v12, v13
	s_waitcnt lgkmcnt(1)
	v_add3_u32 v18, v18, v14, v15
	v_mbcnt_hi_u32_b32 v19, -1, v19
	s_waitcnt lgkmcnt(0)
	v_add3_u32 v18, v18, v16, v17
	v_and_b32_e32 v20, 15, v19
	v_cmp_ne_u32_e32 vcc, 0, v20
	v_mov_b32_dpp v21, v18 row_shr:1 row_mask:0xf bank_mask:0xf
	v_cndmask_b32_e32 v21, 0, v21, vcc
	v_add_u32_e32 v18, v21, v18
	v_cmp_lt_u32_e32 vcc, 1, v20
	s_nop 0
	v_mov_b32_dpp v21, v18 row_shr:2 row_mask:0xf bank_mask:0xf
	v_cndmask_b32_e32 v21, 0, v21, vcc
	v_add_u32_e32 v18, v18, v21
	v_cmp_lt_u32_e32 vcc, 3, v20
	s_nop 0
	;; [unrolled: 5-line block ×3, first 2 shown]
	v_mov_b32_dpp v21, v18 row_shr:8 row_mask:0xf bank_mask:0xf
	v_cndmask_b32_e32 v20, 0, v21, vcc
	v_add_u32_e32 v18, v18, v20
	v_bfe_i32 v21, v19, 4, 1
	v_cmp_lt_u32_e32 vcc, 31, v19
	v_mov_b32_dpp v20, v18 row_bcast:15 row_mask:0xf bank_mask:0xf
	v_and_b32_e32 v20, v21, v20
	v_add_u32_e32 v18, v18, v20
	v_and_b32_e32 v21, 64, v19
	s_nop 0
	v_mov_b32_dpp v20, v18 row_bcast:31 row_mask:0xf bank_mask:0xf
	v_cndmask_b32_e32 v20, 0, v20, vcc
	v_add_u32_e32 v18, v18, v20
	v_add_u32_e32 v20, -1, v19
	v_cmp_lt_i32_e32 vcc, v20, v21
	v_cndmask_b32_e32 v19, v20, v19, vcc
	v_lshlrev_b32_e32 v19, 2, v19
	ds_bpermute_b32 v18, v19, v18
	v_cmp_eq_u32_e32 vcc, 0, v0
	s_waitcnt lgkmcnt(0)
	v_add_u32_e32 v10, v18, v10
	v_cndmask_b32_e32 v1, v10, v1, vcc
	v_add_u32_e32 v10, v1, v11
	ds_write2_b32 v8, v1, v10 offset1:1
	v_add_u32_e32 v1, v10, v12
	v_add_u32_e32 v10, v1, v13
	ds_write2_b32 v8, v1, v10 offset0:2 offset1:3
	v_add_u32_e32 v1, v10, v14
	v_add_u32_e32 v10, v1, v15
	ds_write2_b32 v8, v1, v10 offset0:4 offset1:5
	;; [unrolled: 3-line block ×3, first 2 shown]
.LBB174_2:
	s_or_b64 exec, exec, s[0:1]
	v_cmp_ne_u32_e32 vcc, 0, v0
	s_waitcnt lgkmcnt(0)
	s_barrier
	s_and_saveexec_b64 s[0:1], vcc
	s_cbranch_execz .LBB174_4
; %bb.3:
	v_add_u32_e32 v0, -1, v0
	v_lshrrev_b32_e32 v1, 5, v0
	v_add_lshl_u32 v0, v1, v0, 2
	ds_read_b32 v9, v0
.LBB174_4:
	s_or_b64 exec, exec, s[0:1]
	s_waitcnt lgkmcnt(0)
	v_add_u32_e32 v0, v9, v2
	v_add_u32_e32 v1, v0, v3
	;; [unrolled: 1-line block ×4, first 2 shown]
	global_store_dwordx4 v[6:7], v[0:3], off
	s_endpgm
	.section	.rodata,"a",@progbits
	.p2align	6, 0x0
	.amdhsa_kernel _Z27inclusive_scan_array_kernelILj512ELj4ELN6hipcub18BlockScanAlgorithmE1EjEvPT2_
		.amdhsa_group_segment_fixed_size 2112
		.amdhsa_private_segment_fixed_size 0
		.amdhsa_kernarg_size 8
		.amdhsa_user_sgpr_count 6
		.amdhsa_user_sgpr_private_segment_buffer 1
		.amdhsa_user_sgpr_dispatch_ptr 0
		.amdhsa_user_sgpr_queue_ptr 0
		.amdhsa_user_sgpr_kernarg_segment_ptr 1
		.amdhsa_user_sgpr_dispatch_id 0
		.amdhsa_user_sgpr_flat_scratch_init 0
		.amdhsa_user_sgpr_kernarg_preload_length 0
		.amdhsa_user_sgpr_kernarg_preload_offset 0
		.amdhsa_user_sgpr_private_segment_size 0
		.amdhsa_uses_dynamic_stack 0
		.amdhsa_system_sgpr_private_segment_wavefront_offset 0
		.amdhsa_system_sgpr_workgroup_id_x 1
		.amdhsa_system_sgpr_workgroup_id_y 0
		.amdhsa_system_sgpr_workgroup_id_z 0
		.amdhsa_system_sgpr_workgroup_info 0
		.amdhsa_system_vgpr_workitem_id 0
		.amdhsa_next_free_vgpr 22
		.amdhsa_next_free_sgpr 7
		.amdhsa_accum_offset 24
		.amdhsa_reserve_vcc 1
		.amdhsa_reserve_flat_scratch 0
		.amdhsa_float_round_mode_32 0
		.amdhsa_float_round_mode_16_64 0
		.amdhsa_float_denorm_mode_32 3
		.amdhsa_float_denorm_mode_16_64 3
		.amdhsa_dx10_clamp 1
		.amdhsa_ieee_mode 1
		.amdhsa_fp16_overflow 0
		.amdhsa_tg_split 0
		.amdhsa_exception_fp_ieee_invalid_op 0
		.amdhsa_exception_fp_denorm_src 0
		.amdhsa_exception_fp_ieee_div_zero 0
		.amdhsa_exception_fp_ieee_overflow 0
		.amdhsa_exception_fp_ieee_underflow 0
		.amdhsa_exception_fp_ieee_inexact 0
		.amdhsa_exception_int_div_zero 0
	.end_amdhsa_kernel
	.section	.text._Z27inclusive_scan_array_kernelILj512ELj4ELN6hipcub18BlockScanAlgorithmE1EjEvPT2_,"axG",@progbits,_Z27inclusive_scan_array_kernelILj512ELj4ELN6hipcub18BlockScanAlgorithmE1EjEvPT2_,comdat
.Lfunc_end174:
	.size	_Z27inclusive_scan_array_kernelILj512ELj4ELN6hipcub18BlockScanAlgorithmE1EjEvPT2_, .Lfunc_end174-_Z27inclusive_scan_array_kernelILj512ELj4ELN6hipcub18BlockScanAlgorithmE1EjEvPT2_
                                        ; -- End function
	.section	.AMDGPU.csdata,"",@progbits
; Kernel info:
; codeLenInByte = 552
; NumSgprs: 11
; NumVgprs: 22
; NumAgprs: 0
; TotalNumVgprs: 22
; ScratchSize: 0
; MemoryBound: 0
; FloatMode: 240
; IeeeMode: 1
; LDSByteSize: 2112 bytes/workgroup (compile time only)
; SGPRBlocks: 1
; VGPRBlocks: 2
; NumSGPRsForWavesPerEU: 11
; NumVGPRsForWavesPerEU: 22
; AccumOffset: 24
; Occupancy: 8
; WaveLimiterHint : 0
; COMPUTE_PGM_RSRC2:SCRATCH_EN: 0
; COMPUTE_PGM_RSRC2:USER_SGPR: 6
; COMPUTE_PGM_RSRC2:TRAP_HANDLER: 0
; COMPUTE_PGM_RSRC2:TGID_X_EN: 1
; COMPUTE_PGM_RSRC2:TGID_Y_EN: 0
; COMPUTE_PGM_RSRC2:TGID_Z_EN: 0
; COMPUTE_PGM_RSRC2:TIDIG_COMP_CNT: 0
; COMPUTE_PGM_RSRC3_GFX90A:ACCUM_OFFSET: 5
; COMPUTE_PGM_RSRC3_GFX90A:TG_SPLIT: 0
	.section	.text._Z27inclusive_scan_array_kernelILj256ELj3ELN6hipcub18BlockScanAlgorithmE1EiEvPT2_,"axG",@progbits,_Z27inclusive_scan_array_kernelILj256ELj3ELN6hipcub18BlockScanAlgorithmE1EiEvPT2_,comdat
	.protected	_Z27inclusive_scan_array_kernelILj256ELj3ELN6hipcub18BlockScanAlgorithmE1EiEvPT2_ ; -- Begin function _Z27inclusive_scan_array_kernelILj256ELj3ELN6hipcub18BlockScanAlgorithmE1EiEvPT2_
	.globl	_Z27inclusive_scan_array_kernelILj256ELj3ELN6hipcub18BlockScanAlgorithmE1EiEvPT2_
	.p2align	8
	.type	_Z27inclusive_scan_array_kernelILj256ELj3ELN6hipcub18BlockScanAlgorithmE1EiEvPT2_,@function
_Z27inclusive_scan_array_kernelILj256ELj3ELN6hipcub18BlockScanAlgorithmE1EiEvPT2_: ; @_Z27inclusive_scan_array_kernelILj256ELj3ELN6hipcub18BlockScanAlgorithmE1EiEvPT2_
; %bb.0:
	s_load_dwordx2 s[0:1], s[4:5], 0x0
	v_lshl_or_b32 v1, s6, 8, v0
	v_lshl_add_u32 v4, v1, 1, v1
	v_mov_b32_e32 v5, 0
	v_lshlrev_b64 v[2:3], 2, v[4:5]
	s_waitcnt lgkmcnt(0)
	v_mov_b32_e32 v1, s1
	v_add_co_u32_e32 v2, vcc, s0, v2
	v_add_u32_e32 v6, 1, v4
	v_mov_b32_e32 v7, v5
	v_addc_co_u32_e32 v3, vcc, v1, v3, vcc
	v_lshlrev_b64 v[6:7], 2, v[6:7]
	v_add_co_u32_e32 v6, vcc, s0, v6
	v_add_u32_e32 v4, 2, v4
	v_addc_co_u32_e32 v7, vcc, v1, v7, vcc
	v_lshlrev_b64 v[8:9], 2, v[4:5]
	v_add_co_u32_e32 v8, vcc, s0, v8
	v_addc_co_u32_e32 v9, vcc, v1, v9, vcc
	global_load_dword v1, v[2:3], off
	global_load_dword v4, v[6:7], off
	;; [unrolled: 1-line block ×3, first 2 shown]
	v_lshrrev_b32_e32 v11, 5, v0
	v_add_lshl_u32 v12, v11, v0, 2
	v_cmp_gt_u32_e32 vcc, 64, v0
	s_waitcnt vmcnt(0)
	v_add3_u32 v11, v4, v1, v10
	ds_write_b32 v12, v11
	s_waitcnt lgkmcnt(0)
	s_barrier
	s_and_saveexec_b64 s[0:1], vcc
	s_cbranch_execz .LBB175_2
; %bb.1:
	v_lshlrev_b32_e32 v12, 2, v0
	v_lshrrev_b32_e32 v13, 3, v0
	v_add_lshl_u32 v16, v13, v12, 2
	ds_read2_b32 v[12:13], v16 offset1:1
	ds_read2_b32 v[14:15], v16 offset0:2 offset1:3
	v_mbcnt_lo_u32_b32 v17, -1, 0
	v_mbcnt_hi_u32_b32 v17, -1, v17
	v_and_b32_e32 v19, 15, v17
	s_waitcnt lgkmcnt(1)
	v_add_u32_e32 v18, v13, v12
	s_waitcnt lgkmcnt(0)
	v_add3_u32 v18, v18, v14, v15
	v_cmp_ne_u32_e32 vcc, 0, v19
	s_nop 0
	v_mov_b32_dpp v20, v18 row_shr:1 row_mask:0xf bank_mask:0xf
	v_cndmask_b32_e32 v20, 0, v20, vcc
	v_add_u32_e32 v18, v20, v18
	v_cmp_lt_u32_e32 vcc, 1, v19
	s_nop 0
	v_mov_b32_dpp v20, v18 row_shr:2 row_mask:0xf bank_mask:0xf
	v_cndmask_b32_e32 v20, 0, v20, vcc
	v_add_u32_e32 v18, v18, v20
	v_cmp_lt_u32_e32 vcc, 3, v19
	;; [unrolled: 5-line block ×3, first 2 shown]
	s_nop 0
	v_mov_b32_dpp v20, v18 row_shr:8 row_mask:0xf bank_mask:0xf
	v_cndmask_b32_e32 v19, 0, v20, vcc
	v_add_u32_e32 v18, v18, v19
	v_bfe_i32 v20, v17, 4, 1
	v_cmp_lt_u32_e32 vcc, 31, v17
	v_mov_b32_dpp v19, v18 row_bcast:15 row_mask:0xf bank_mask:0xf
	v_and_b32_e32 v19, v20, v19
	v_add_u32_e32 v18, v18, v19
	v_and_b32_e32 v20, 64, v17
	s_nop 0
	v_mov_b32_dpp v19, v18 row_bcast:31 row_mask:0xf bank_mask:0xf
	v_cndmask_b32_e32 v19, 0, v19, vcc
	v_add_u32_e32 v18, v18, v19
	v_add_u32_e32 v19, -1, v17
	v_cmp_lt_i32_e32 vcc, v19, v20
	v_cndmask_b32_e32 v17, v19, v17, vcc
	v_lshlrev_b32_e32 v17, 2, v17
	ds_bpermute_b32 v17, v17, v18
	v_cmp_eq_u32_e32 vcc, 0, v0
	s_waitcnt lgkmcnt(0)
	v_add_u32_e32 v12, v17, v12
	v_cndmask_b32_e32 v11, v12, v11, vcc
	v_add_u32_e32 v12, v11, v13
	ds_write2_b32 v16, v11, v12 offset1:1
	v_add_u32_e32 v11, v12, v14
	v_add_u32_e32 v12, v11, v15
	ds_write2_b32 v16, v11, v12 offset0:2 offset1:3
.LBB175_2:
	s_or_b64 exec, exec, s[0:1]
	v_cmp_ne_u32_e32 vcc, 0, v0
	s_waitcnt lgkmcnt(0)
	s_barrier
	s_and_saveexec_b64 s[0:1], vcc
	s_cbranch_execz .LBB175_4
; %bb.3:
	v_add_u32_e32 v0, -1, v0
	v_lshrrev_b32_e32 v5, 5, v0
	v_add_lshl_u32 v0, v5, v0, 2
	ds_read_b32 v5, v0
.LBB175_4:
	s_or_b64 exec, exec, s[0:1]
	s_waitcnt lgkmcnt(0)
	v_add_u32_e32 v0, v5, v1
	v_add_u32_e32 v1, v0, v4
	;; [unrolled: 1-line block ×3, first 2 shown]
	global_store_dword v[2:3], v0, off
	global_store_dword v[6:7], v1, off
	;; [unrolled: 1-line block ×3, first 2 shown]
	s_endpgm
	.section	.rodata,"a",@progbits
	.p2align	6, 0x0
	.amdhsa_kernel _Z27inclusive_scan_array_kernelILj256ELj3ELN6hipcub18BlockScanAlgorithmE1EiEvPT2_
		.amdhsa_group_segment_fixed_size 1056
		.amdhsa_private_segment_fixed_size 0
		.amdhsa_kernarg_size 8
		.amdhsa_user_sgpr_count 6
		.amdhsa_user_sgpr_private_segment_buffer 1
		.amdhsa_user_sgpr_dispatch_ptr 0
		.amdhsa_user_sgpr_queue_ptr 0
		.amdhsa_user_sgpr_kernarg_segment_ptr 1
		.amdhsa_user_sgpr_dispatch_id 0
		.amdhsa_user_sgpr_flat_scratch_init 0
		.amdhsa_user_sgpr_kernarg_preload_length 0
		.amdhsa_user_sgpr_kernarg_preload_offset 0
		.amdhsa_user_sgpr_private_segment_size 0
		.amdhsa_uses_dynamic_stack 0
		.amdhsa_system_sgpr_private_segment_wavefront_offset 0
		.amdhsa_system_sgpr_workgroup_id_x 1
		.amdhsa_system_sgpr_workgroup_id_y 0
		.amdhsa_system_sgpr_workgroup_id_z 0
		.amdhsa_system_sgpr_workgroup_info 0
		.amdhsa_system_vgpr_workitem_id 0
		.amdhsa_next_free_vgpr 21
		.amdhsa_next_free_sgpr 7
		.amdhsa_accum_offset 24
		.amdhsa_reserve_vcc 1
		.amdhsa_reserve_flat_scratch 0
		.amdhsa_float_round_mode_32 0
		.amdhsa_float_round_mode_16_64 0
		.amdhsa_float_denorm_mode_32 3
		.amdhsa_float_denorm_mode_16_64 3
		.amdhsa_dx10_clamp 1
		.amdhsa_ieee_mode 1
		.amdhsa_fp16_overflow 0
		.amdhsa_tg_split 0
		.amdhsa_exception_fp_ieee_invalid_op 0
		.amdhsa_exception_fp_denorm_src 0
		.amdhsa_exception_fp_ieee_div_zero 0
		.amdhsa_exception_fp_ieee_overflow 0
		.amdhsa_exception_fp_ieee_underflow 0
		.amdhsa_exception_fp_ieee_inexact 0
		.amdhsa_exception_int_div_zero 0
	.end_amdhsa_kernel
	.section	.text._Z27inclusive_scan_array_kernelILj256ELj3ELN6hipcub18BlockScanAlgorithmE1EiEvPT2_,"axG",@progbits,_Z27inclusive_scan_array_kernelILj256ELj3ELN6hipcub18BlockScanAlgorithmE1EiEvPT2_,comdat
.Lfunc_end175:
	.size	_Z27inclusive_scan_array_kernelILj256ELj3ELN6hipcub18BlockScanAlgorithmE1EiEvPT2_, .Lfunc_end175-_Z27inclusive_scan_array_kernelILj256ELj3ELN6hipcub18BlockScanAlgorithmE1EiEvPT2_
                                        ; -- End function
	.section	.AMDGPU.csdata,"",@progbits
; Kernel info:
; codeLenInByte = 556
; NumSgprs: 11
; NumVgprs: 21
; NumAgprs: 0
; TotalNumVgprs: 21
; ScratchSize: 0
; MemoryBound: 0
; FloatMode: 240
; IeeeMode: 1
; LDSByteSize: 1056 bytes/workgroup (compile time only)
; SGPRBlocks: 1
; VGPRBlocks: 2
; NumSGPRsForWavesPerEU: 11
; NumVGPRsForWavesPerEU: 21
; AccumOffset: 24
; Occupancy: 8
; WaveLimiterHint : 0
; COMPUTE_PGM_RSRC2:SCRATCH_EN: 0
; COMPUTE_PGM_RSRC2:USER_SGPR: 6
; COMPUTE_PGM_RSRC2:TRAP_HANDLER: 0
; COMPUTE_PGM_RSRC2:TGID_X_EN: 1
; COMPUTE_PGM_RSRC2:TGID_Y_EN: 0
; COMPUTE_PGM_RSRC2:TGID_Z_EN: 0
; COMPUTE_PGM_RSRC2:TIDIG_COMP_CNT: 0
; COMPUTE_PGM_RSRC3_GFX90A:ACCUM_OFFSET: 5
; COMPUTE_PGM_RSRC3_GFX90A:TG_SPLIT: 0
	.section	.text._Z27inclusive_scan_array_kernelILj32ELj2ELN6hipcub18BlockScanAlgorithmE1EfEvPT2_,"axG",@progbits,_Z27inclusive_scan_array_kernelILj32ELj2ELN6hipcub18BlockScanAlgorithmE1EfEvPT2_,comdat
	.protected	_Z27inclusive_scan_array_kernelILj32ELj2ELN6hipcub18BlockScanAlgorithmE1EfEvPT2_ ; -- Begin function _Z27inclusive_scan_array_kernelILj32ELj2ELN6hipcub18BlockScanAlgorithmE1EfEvPT2_
	.globl	_Z27inclusive_scan_array_kernelILj32ELj2ELN6hipcub18BlockScanAlgorithmE1EfEvPT2_
	.p2align	8
	.type	_Z27inclusive_scan_array_kernelILj32ELj2ELN6hipcub18BlockScanAlgorithmE1EfEvPT2_,@function
_Z27inclusive_scan_array_kernelILj32ELj2ELN6hipcub18BlockScanAlgorithmE1EfEvPT2_: ; @_Z27inclusive_scan_array_kernelILj32ELj2ELN6hipcub18BlockScanAlgorithmE1EfEvPT2_
; %bb.0:
	s_load_dwordx2 s[0:1], s[4:5], 0x0
	v_lshlrev_b32_e32 v1, 1, v0
	v_lshl_or_b32 v6, s6, 6, v1
	v_mov_b32_e32 v7, 0
	v_lshlrev_b64 v[2:3], 2, v[6:7]
	s_waitcnt lgkmcnt(0)
	v_mov_b32_e32 v1, s1
	v_add_co_u32_e32 v2, vcc, s0, v2
	v_addc_co_u32_e32 v3, vcc, v1, v3, vcc
	global_load_dwordx2 v[4:5], v[2:3], off
	v_mbcnt_lo_u32_b32 v1, -1, 0
	v_mbcnt_hi_u32_b32 v1, -1, v1
	v_and_b32_e32 v6, 15, v1
	v_cmp_eq_u32_e32 vcc, 0, v6
	v_and_b32_e32 v8, 16, v1
	s_waitcnt vmcnt(0)
	v_add_f32_e32 v9, v4, v5
	s_nop 1
	v_mov_b32_dpp v10, v9 row_shr:1 row_mask:0xf bank_mask:0xf
	v_add_f32_e32 v10, v9, v10
	v_cndmask_b32_e32 v9, v10, v9, vcc
	v_cmp_lt_u32_e32 vcc, 1, v6
	s_nop 0
	v_mov_b32_dpp v10, v9 row_shr:2 row_mask:0xf bank_mask:0xf
	v_add_f32_e32 v10, v9, v10
	v_cndmask_b32_e32 v9, v9, v10, vcc
	v_cmp_lt_u32_e32 vcc, 3, v6
	;; [unrolled: 5-line block ×3, first 2 shown]
	s_nop 0
	v_mov_b32_dpp v10, v9 row_shr:8 row_mask:0xf bank_mask:0xf
	v_add_f32_e32 v10, v9, v10
	v_cndmask_b32_e32 v6, v9, v10, vcc
	v_cmp_eq_u32_e32 vcc, 0, v8
	s_nop 0
	v_mov_b32_dpp v9, v6 row_bcast:15 row_mask:0xf bank_mask:0xf
	v_add_f32_e32 v9, v6, v9
	v_cndmask_b32_e32 v6, v9, v6, vcc
	v_cmp_eq_u32_e32 vcc, 31, v0
	s_and_saveexec_b64 s[0:1], vcc
	s_cbranch_execz .LBB176_2
; %bb.1:
	ds_write_b32 v7, v6
.LBB176_2:
	s_or_b64 exec, exec, s[0:1]
	v_add_u32_e32 v7, -1, v1
	v_and_b32_e32 v8, 0x60, v1
	v_cmp_lt_i32_e32 vcc, v7, v8
	v_cndmask_b32_e32 v1, v7, v1, vcc
	v_lshlrev_b32_e32 v1, 2, v1
	ds_bpermute_b32 v1, v1, v6
	v_cmp_eq_u32_e32 vcc, 0, v0
	s_waitcnt lgkmcnt(0)
	; wave barrier
	s_waitcnt lgkmcnt(0)
	v_add_f32_e32 v1, v4, v1
	v_cndmask_b32_e32 v0, v1, v4, vcc
	v_add_f32_e32 v1, v5, v0
	global_store_dwordx2 v[2:3], v[0:1], off
	s_endpgm
	.section	.rodata,"a",@progbits
	.p2align	6, 0x0
	.amdhsa_kernel _Z27inclusive_scan_array_kernelILj32ELj2ELN6hipcub18BlockScanAlgorithmE1EfEvPT2_
		.amdhsa_group_segment_fixed_size 4
		.amdhsa_private_segment_fixed_size 0
		.amdhsa_kernarg_size 8
		.amdhsa_user_sgpr_count 6
		.amdhsa_user_sgpr_private_segment_buffer 1
		.amdhsa_user_sgpr_dispatch_ptr 0
		.amdhsa_user_sgpr_queue_ptr 0
		.amdhsa_user_sgpr_kernarg_segment_ptr 1
		.amdhsa_user_sgpr_dispatch_id 0
		.amdhsa_user_sgpr_flat_scratch_init 0
		.amdhsa_user_sgpr_kernarg_preload_length 0
		.amdhsa_user_sgpr_kernarg_preload_offset 0
		.amdhsa_user_sgpr_private_segment_size 0
		.amdhsa_uses_dynamic_stack 0
		.amdhsa_system_sgpr_private_segment_wavefront_offset 0
		.amdhsa_system_sgpr_workgroup_id_x 1
		.amdhsa_system_sgpr_workgroup_id_y 0
		.amdhsa_system_sgpr_workgroup_id_z 0
		.amdhsa_system_sgpr_workgroup_info 0
		.amdhsa_system_vgpr_workitem_id 0
		.amdhsa_next_free_vgpr 11
		.amdhsa_next_free_sgpr 7
		.amdhsa_accum_offset 12
		.amdhsa_reserve_vcc 1
		.amdhsa_reserve_flat_scratch 0
		.amdhsa_float_round_mode_32 0
		.amdhsa_float_round_mode_16_64 0
		.amdhsa_float_denorm_mode_32 3
		.amdhsa_float_denorm_mode_16_64 3
		.amdhsa_dx10_clamp 1
		.amdhsa_ieee_mode 1
		.amdhsa_fp16_overflow 0
		.amdhsa_tg_split 0
		.amdhsa_exception_fp_ieee_invalid_op 0
		.amdhsa_exception_fp_denorm_src 0
		.amdhsa_exception_fp_ieee_div_zero 0
		.amdhsa_exception_fp_ieee_overflow 0
		.amdhsa_exception_fp_ieee_underflow 0
		.amdhsa_exception_fp_ieee_inexact 0
		.amdhsa_exception_int_div_zero 0
	.end_amdhsa_kernel
	.section	.text._Z27inclusive_scan_array_kernelILj32ELj2ELN6hipcub18BlockScanAlgorithmE1EfEvPT2_,"axG",@progbits,_Z27inclusive_scan_array_kernelILj32ELj2ELN6hipcub18BlockScanAlgorithmE1EfEvPT2_,comdat
.Lfunc_end176:
	.size	_Z27inclusive_scan_array_kernelILj32ELj2ELN6hipcub18BlockScanAlgorithmE1EfEvPT2_, .Lfunc_end176-_Z27inclusive_scan_array_kernelILj32ELj2ELN6hipcub18BlockScanAlgorithmE1EfEvPT2_
                                        ; -- End function
	.section	.AMDGPU.csdata,"",@progbits
; Kernel info:
; codeLenInByte = 300
; NumSgprs: 11
; NumVgprs: 11
; NumAgprs: 0
; TotalNumVgprs: 11
; ScratchSize: 0
; MemoryBound: 0
; FloatMode: 240
; IeeeMode: 1
; LDSByteSize: 4 bytes/workgroup (compile time only)
; SGPRBlocks: 1
; VGPRBlocks: 1
; NumSGPRsForWavesPerEU: 11
; NumVGPRsForWavesPerEU: 11
; AccumOffset: 12
; Occupancy: 8
; WaveLimiterHint : 0
; COMPUTE_PGM_RSRC2:SCRATCH_EN: 0
; COMPUTE_PGM_RSRC2:USER_SGPR: 6
; COMPUTE_PGM_RSRC2:TRAP_HANDLER: 0
; COMPUTE_PGM_RSRC2:TGID_X_EN: 1
; COMPUTE_PGM_RSRC2:TGID_Y_EN: 0
; COMPUTE_PGM_RSRC2:TGID_Z_EN: 0
; COMPUTE_PGM_RSRC2:TIDIG_COMP_CNT: 0
; COMPUTE_PGM_RSRC3_GFX90A:ACCUM_OFFSET: 2
; COMPUTE_PGM_RSRC3_GFX90A:TG_SPLIT: 0
	.section	.text._Z27inclusive_scan_array_kernelILj6ELj32ELN6hipcub18BlockScanAlgorithmE1EfEvPT2_,"axG",@progbits,_Z27inclusive_scan_array_kernelILj6ELj32ELN6hipcub18BlockScanAlgorithmE1EfEvPT2_,comdat
	.protected	_Z27inclusive_scan_array_kernelILj6ELj32ELN6hipcub18BlockScanAlgorithmE1EfEvPT2_ ; -- Begin function _Z27inclusive_scan_array_kernelILj6ELj32ELN6hipcub18BlockScanAlgorithmE1EfEvPT2_
	.globl	_Z27inclusive_scan_array_kernelILj6ELj32ELN6hipcub18BlockScanAlgorithmE1EfEvPT2_
	.p2align	8
	.type	_Z27inclusive_scan_array_kernelILj6ELj32ELN6hipcub18BlockScanAlgorithmE1EfEvPT2_,@function
_Z27inclusive_scan_array_kernelILj6ELj32ELN6hipcub18BlockScanAlgorithmE1EfEvPT2_: ; @_Z27inclusive_scan_array_kernelILj6ELj32ELN6hipcub18BlockScanAlgorithmE1EfEvPT2_
; %bb.0:
	s_load_dwordx2 s[0:1], s[4:5], 0x0
	s_mul_i32 s6, s6, 6
	v_add_lshl_u32 v36, s6, v0, 5
	v_mov_b32_e32 v37, 0
	v_lshlrev_b64 v[2:3], 2, v[36:37]
	s_waitcnt lgkmcnt(0)
	v_mov_b32_e32 v1, s1
	v_add_co_u32_e32 v34, vcc, s0, v2
	v_addc_co_u32_e32 v35, vcc, v1, v3, vcc
	global_load_dwordx4 v[30:33], v[34:35], off
	global_load_dwordx4 v[26:29], v[34:35], off offset:16
	global_load_dwordx4 v[22:25], v[34:35], off offset:32
	;; [unrolled: 1-line block ×7, first 2 shown]
	v_mbcnt_lo_u32_b32 v1, -1, 0
	v_mbcnt_hi_u32_b32 v1, -1, v1
	v_and_b32_e32 v36, 7, v1
	v_cmp_eq_u32_e32 vcc, 0, v36
	s_waitcnt vmcnt(7)
	v_add_f32_e32 v38, v30, v31
	v_add_f32_e32 v38, v38, v32
	v_add_f32_e32 v38, v38, v33
	s_waitcnt vmcnt(6)
	v_add_f32_e32 v38, v38, v26
	v_add_f32_e32 v38, v38, v27
	v_add_f32_e32 v38, v38, v28
	v_add_f32_e32 v38, v38, v29
	s_waitcnt vmcnt(5)
	v_add_f32_e32 v38, v38, v22
	;; [unrolled: 5-line block ×7, first 2 shown]
	v_add_f32_e32 v38, v38, v3
	v_add_f32_e32 v38, v38, v4
	;; [unrolled: 1-line block ×3, first 2 shown]
	s_nop 1
	v_mov_b32_dpp v39, v38 row_shr:1 row_mask:0xf bank_mask:0xf
	v_add_f32_e32 v39, v38, v39
	v_cndmask_b32_e32 v38, v39, v38, vcc
	v_cmp_lt_u32_e32 vcc, 1, v36
	s_nop 0
	v_mov_b32_dpp v39, v38 row_shr:2 row_mask:0xf bank_mask:0xf
	v_add_f32_e32 v39, v38, v39
	v_cndmask_b32_e32 v38, v38, v39, vcc
	v_cmp_lt_u32_e32 vcc, 3, v36
	s_nop 0
	v_mov_b32_dpp v39, v38 row_shr:4 row_mask:0xf bank_mask:0xf
	v_add_f32_e32 v39, v38, v39
	v_cndmask_b32_e32 v36, v38, v39, vcc
	v_cmp_eq_u32_e32 vcc, 5, v0
	s_and_saveexec_b64 s[0:1], vcc
	s_cbranch_execz .LBB177_2
; %bb.1:
	ds_write_b32 v37, v36
.LBB177_2:
	s_or_b64 exec, exec, s[0:1]
	v_add_u32_e32 v37, -1, v1
	v_and_b32_e32 v38, 0x78, v1
	v_cmp_lt_i32_e32 vcc, v37, v38
	v_cndmask_b32_e32 v1, v37, v1, vcc
	v_lshlrev_b32_e32 v1, 2, v1
	ds_bpermute_b32 v1, v1, v36
	v_cmp_eq_u32_e32 vcc, 0, v0
	s_waitcnt lgkmcnt(0)
	; wave barrier
	s_waitcnt lgkmcnt(0)
	v_add_f32_e32 v1, v30, v1
	v_cndmask_b32_e32 v30, v1, v30, vcc
	v_add_f32_e32 v31, v30, v31
	v_add_f32_e32 v32, v31, v32
	;; [unrolled: 1-line block ×31, first 2 shown]
	global_store_dwordx4 v[34:35], v[30:33], off
	global_store_dwordx4 v[34:35], v[26:29], off offset:16
	global_store_dwordx4 v[34:35], v[22:25], off offset:32
	;; [unrolled: 1-line block ×7, first 2 shown]
	s_endpgm
	.section	.rodata,"a",@progbits
	.p2align	6, 0x0
	.amdhsa_kernel _Z27inclusive_scan_array_kernelILj6ELj32ELN6hipcub18BlockScanAlgorithmE1EfEvPT2_
		.amdhsa_group_segment_fixed_size 4
		.amdhsa_private_segment_fixed_size 0
		.amdhsa_kernarg_size 8
		.amdhsa_user_sgpr_count 6
		.amdhsa_user_sgpr_private_segment_buffer 1
		.amdhsa_user_sgpr_dispatch_ptr 0
		.amdhsa_user_sgpr_queue_ptr 0
		.amdhsa_user_sgpr_kernarg_segment_ptr 1
		.amdhsa_user_sgpr_dispatch_id 0
		.amdhsa_user_sgpr_flat_scratch_init 0
		.amdhsa_user_sgpr_kernarg_preload_length 0
		.amdhsa_user_sgpr_kernarg_preload_offset 0
		.amdhsa_user_sgpr_private_segment_size 0
		.amdhsa_uses_dynamic_stack 0
		.amdhsa_system_sgpr_private_segment_wavefront_offset 0
		.amdhsa_system_sgpr_workgroup_id_x 1
		.amdhsa_system_sgpr_workgroup_id_y 0
		.amdhsa_system_sgpr_workgroup_id_z 0
		.amdhsa_system_sgpr_workgroup_info 0
		.amdhsa_system_vgpr_workitem_id 0
		.amdhsa_next_free_vgpr 40
		.amdhsa_next_free_sgpr 7
		.amdhsa_accum_offset 40
		.amdhsa_reserve_vcc 1
		.amdhsa_reserve_flat_scratch 0
		.amdhsa_float_round_mode_32 0
		.amdhsa_float_round_mode_16_64 0
		.amdhsa_float_denorm_mode_32 3
		.amdhsa_float_denorm_mode_16_64 3
		.amdhsa_dx10_clamp 1
		.amdhsa_ieee_mode 1
		.amdhsa_fp16_overflow 0
		.amdhsa_tg_split 0
		.amdhsa_exception_fp_ieee_invalid_op 0
		.amdhsa_exception_fp_denorm_src 0
		.amdhsa_exception_fp_ieee_div_zero 0
		.amdhsa_exception_fp_ieee_overflow 0
		.amdhsa_exception_fp_ieee_underflow 0
		.amdhsa_exception_fp_ieee_inexact 0
		.amdhsa_exception_int_div_zero 0
	.end_amdhsa_kernel
	.section	.text._Z27inclusive_scan_array_kernelILj6ELj32ELN6hipcub18BlockScanAlgorithmE1EfEvPT2_,"axG",@progbits,_Z27inclusive_scan_array_kernelILj6ELj32ELN6hipcub18BlockScanAlgorithmE1EfEvPT2_,comdat
.Lfunc_end177:
	.size	_Z27inclusive_scan_array_kernelILj6ELj32ELN6hipcub18BlockScanAlgorithmE1EfEvPT2_, .Lfunc_end177-_Z27inclusive_scan_array_kernelILj6ELj32ELN6hipcub18BlockScanAlgorithmE1EfEvPT2_
                                        ; -- End function
	.section	.AMDGPU.csdata,"",@progbits
; Kernel info:
; codeLenInByte = 628
; NumSgprs: 11
; NumVgprs: 40
; NumAgprs: 0
; TotalNumVgprs: 40
; ScratchSize: 0
; MemoryBound: 0
; FloatMode: 240
; IeeeMode: 1
; LDSByteSize: 4 bytes/workgroup (compile time only)
; SGPRBlocks: 1
; VGPRBlocks: 4
; NumSGPRsForWavesPerEU: 11
; NumVGPRsForWavesPerEU: 40
; AccumOffset: 40
; Occupancy: 8
; WaveLimiterHint : 0
; COMPUTE_PGM_RSRC2:SCRATCH_EN: 0
; COMPUTE_PGM_RSRC2:USER_SGPR: 6
; COMPUTE_PGM_RSRC2:TRAP_HANDLER: 0
; COMPUTE_PGM_RSRC2:TGID_X_EN: 1
; COMPUTE_PGM_RSRC2:TGID_Y_EN: 0
; COMPUTE_PGM_RSRC2:TGID_Z_EN: 0
; COMPUTE_PGM_RSRC2:TIDIG_COMP_CNT: 0
; COMPUTE_PGM_RSRC3_GFX90A:ACCUM_OFFSET: 9
; COMPUTE_PGM_RSRC3_GFX90A:TG_SPLIT: 0
	.section	.text._Z27inclusive_scan_array_kernelILj16ELj5ELN6hipcub18BlockScanAlgorithmE0E12hip_bfloat16EvPT2_,"axG",@progbits,_Z27inclusive_scan_array_kernelILj16ELj5ELN6hipcub18BlockScanAlgorithmE0E12hip_bfloat16EvPT2_,comdat
	.protected	_Z27inclusive_scan_array_kernelILj16ELj5ELN6hipcub18BlockScanAlgorithmE0E12hip_bfloat16EvPT2_ ; -- Begin function _Z27inclusive_scan_array_kernelILj16ELj5ELN6hipcub18BlockScanAlgorithmE0E12hip_bfloat16EvPT2_
	.globl	_Z27inclusive_scan_array_kernelILj16ELj5ELN6hipcub18BlockScanAlgorithmE0E12hip_bfloat16EvPT2_
	.p2align	8
	.type	_Z27inclusive_scan_array_kernelILj16ELj5ELN6hipcub18BlockScanAlgorithmE0E12hip_bfloat16EvPT2_,@function
_Z27inclusive_scan_array_kernelILj16ELj5ELN6hipcub18BlockScanAlgorithmE0E12hip_bfloat16EvPT2_: ; @_Z27inclusive_scan_array_kernelILj16ELj5ELN6hipcub18BlockScanAlgorithmE0E12hip_bfloat16EvPT2_
; %bb.0:
	s_load_dwordx2 s[0:1], s[4:5], 0x0
	v_lshl_or_b32 v1, s6, 4, v0
	v_lshl_add_u32 v10, v1, 2, v1
	v_mov_b32_e32 v11, 0
	v_lshlrev_b64 v[2:3], 1, v[10:11]
	s_waitcnt lgkmcnt(0)
	v_mov_b32_e32 v14, s1
	v_add_co_u32_e32 v2, vcc, s0, v2
	v_add_u32_e32 v4, 1, v10
	v_mov_b32_e32 v5, v11
	v_addc_co_u32_e32 v3, vcc, v14, v3, vcc
	v_lshlrev_b64 v[4:5], 1, v[4:5]
	v_add_co_u32_e32 v4, vcc, s0, v4
	v_add_u32_e32 v6, 3, v10
	v_mov_b32_e32 v7, v11
	v_addc_co_u32_e32 v5, vcc, v14, v5, vcc
	v_lshlrev_b64 v[6:7], 1, v[6:7]
	v_add_u32_e32 v12, 2, v10
	v_add_co_u32_e32 v6, vcc, s0, v6
	v_add_u32_e32 v10, 4, v10
	v_addc_co_u32_e32 v7, vcc, v14, v7, vcc
	v_lshlrev_b64 v[8:9], 1, v[10:11]
	v_add_co_u32_e32 v8, vcc, s0, v8
	global_load_ushort v1, v[2:3], off
	v_addc_co_u32_e32 v9, vcc, v14, v9, vcc
	global_load_ushort v16, v[6:7], off
	global_load_ushort v17, v[8:9], off
	;; [unrolled: 1-line block ×3, first 2 shown]
	v_mov_b32_e32 v13, v11
	v_lshlrev_b64 v[10:11], 1, v[12:13]
	v_add_co_u32_e32 v10, vcc, s0, v10
	v_addc_co_u32_e32 v11, vcc, v14, v11, vcc
	global_load_ushort v18, v[10:11], off
	s_mov_b32 s0, 0x7f800000
	s_waitcnt vmcnt(4)
	v_lshlrev_b32_e32 v12, 16, v1
	s_waitcnt vmcnt(1)
	v_lshlrev_b32_e32 v13, 16, v15
	v_mov_b32_e32 v14, v13
	v_pk_add_f32 v[14:15], v[14:15], v[12:13] op_sel_hi:[0,1]
	v_and_b32_e32 v15, 0x7f800000, v14
	v_cmp_ne_u32_e32 vcc, s0, v15
                                        ; implicit-def: $vgpr15
	s_and_saveexec_b64 s[0:1], vcc
	s_xor_b64 s[0:1], exec, s[0:1]
; %bb.1:
	v_bfe_u32 v15, v14, 16, 1
	s_movk_i32 s2, 0x7fff
	v_add3_u32 v15, v14, v15, s2
; %bb.2:
	s_andn2_saveexec_b64 s[0:1], s[0:1]
; %bb.3:
	v_mov_b32_e32 v15, 0
	v_or_b32_e32 v19, 0x10000, v14
	v_cmp_eq_u32_sdwa vcc, v14, v15 src0_sel:WORD_0 src1_sel:DWORD
	v_cndmask_b32_e32 v15, v19, v14, vcc
; %bb.4:
	s_or_b64 exec, exec, s[0:1]
	v_and_b32_e32 v19, 0xffff0000, v15
	s_waitcnt vmcnt(0)
	v_lshlrev_b32_e32 v15, 16, v18
	v_add_f32_e32 v18, v19, v15
	s_mov_b32 s0, 0x7f800000
	v_and_b32_e32 v19, 0x7f800000, v18
	v_cmp_ne_u32_e32 vcc, s0, v19
                                        ; implicit-def: $vgpr19
	s_and_saveexec_b64 s[0:1], vcc
	s_xor_b64 s[0:1], exec, s[0:1]
; %bb.5:
	v_bfe_u32 v19, v18, 16, 1
	s_movk_i32 s2, 0x7fff
	v_add3_u32 v19, v18, v19, s2
                                        ; implicit-def: $vgpr18
; %bb.6:
	s_andn2_saveexec_b64 s[0:1], s[0:1]
; %bb.7:
	v_mov_b32_e32 v19, 0
	v_or_b32_e32 v20, 0x10000, v18
	v_cmp_eq_u32_sdwa vcc, v18, v19 src0_sel:WORD_0 src1_sel:DWORD
	v_cndmask_b32_e32 v19, v20, v18, vcc
; %bb.8:
	s_or_b64 exec, exec, s[0:1]
	v_and_b32_e32 v18, 0xffff0000, v19
	v_lshlrev_b32_e32 v16, 16, v16
	v_add_f32_e32 v18, v18, v16
	s_mov_b32 s0, 0x7f800000
	v_and_b32_e32 v19, 0x7f800000, v18
	v_cmp_ne_u32_e32 vcc, s0, v19
                                        ; implicit-def: $vgpr19
	s_and_saveexec_b64 s[0:1], vcc
	s_xor_b64 s[0:1], exec, s[0:1]
; %bb.9:
	v_bfe_u32 v19, v18, 16, 1
	s_movk_i32 s2, 0x7fff
	v_add3_u32 v19, v18, v19, s2
                                        ; implicit-def: $vgpr18
; %bb.10:
	s_andn2_saveexec_b64 s[0:1], s[0:1]
; %bb.11:
	v_mov_b32_e32 v19, 0
	v_or_b32_e32 v20, 0x10000, v18
	v_cmp_eq_u32_sdwa vcc, v18, v19 src0_sel:WORD_0 src1_sel:DWORD
	v_cndmask_b32_e32 v19, v20, v18, vcc
; %bb.12:
	s_or_b64 exec, exec, s[0:1]
	v_and_b32_e32 v18, 0xffff0000, v19
	v_lshlrev_b32_e32 v17, 16, v17
	v_add_f32_e32 v18, v18, v17
	s_mov_b32 s0, 0x7f800000
	v_and_b32_e32 v19, 0x7f800000, v18
	v_cmp_ne_u32_e32 vcc, s0, v19
                                        ; implicit-def: $vgpr19
	s_and_saveexec_b64 s[0:1], vcc
	s_xor_b64 s[0:1], exec, s[0:1]
; %bb.13:
	v_bfe_u32 v19, v18, 16, 1
	s_movk_i32 s2, 0x7fff
	v_add3_u32 v19, v18, v19, s2
                                        ; implicit-def: $vgpr18
; %bb.14:
	s_andn2_saveexec_b64 s[0:1], s[0:1]
; %bb.15:
	v_mov_b32_e32 v19, 0
	v_or_b32_e32 v20, 0x10000, v18
	v_cmp_eq_u32_sdwa vcc, v18, v19 src0_sel:WORD_0 src1_sel:DWORD
	v_cndmask_b32_e32 v19, v20, v18, vcc
; %bb.16:
	s_or_b64 exec, exec, s[0:1]
	v_lshrrev_b32_e32 v20, 16, v19
	v_and_b32_e32 v21, 0xffff0000, v19
	s_mov_b32 s0, 0x7f800000
	v_mov_b32_dpp v18, v20 row_shr:1 row_mask:0xf bank_mask:0xf
	v_lshlrev_b32_e32 v18, 16, v18
	v_add_f32_e32 v18, v21, v18
	v_and_b32_e32 v19, 0x7f800000, v18
	v_cmp_ne_u32_e32 vcc, s0, v19
                                        ; implicit-def: $vgpr22
	s_and_saveexec_b64 s[0:1], vcc
	s_xor_b64 s[0:1], exec, s[0:1]
; %bb.17:
	v_bfe_u32 v19, v18, 16, 1
	s_movk_i32 s2, 0x7fff
	v_add3_u32 v22, v18, v19, s2
                                        ; implicit-def: $vgpr18
; %bb.18:
	s_andn2_saveexec_b64 s[0:1], s[0:1]
; %bb.19:
	v_mov_b32_e32 v19, 0
	v_or_b32_e32 v22, 0x10000, v18
	v_cmp_eq_u32_sdwa vcc, v18, v19 src0_sel:WORD_0 src1_sel:DWORD
	v_cndmask_b32_e32 v22, v22, v18, vcc
; %bb.20:
	s_or_b64 exec, exec, s[0:1]
	v_mbcnt_lo_u32_b32 v18, -1, 0
	v_mbcnt_hi_u32_b32 v18, -1, v18
	v_and_b32_e32 v19, 15, v18
	v_lshrrev_b32_e32 v23, 16, v22
	v_cmp_eq_u32_e32 vcc, 0, v19
	v_and_b32_e32 v22, 0xffff0000, v22
	v_cndmask_b32_e32 v20, v23, v20, vcc
	v_cndmask_b32_e32 v21, v22, v21, vcc
	s_mov_b32 s0, 0x7f800000
	v_mov_b32_dpp v22, v20 row_shr:2 row_mask:0xf bank_mask:0xf
	v_lshlrev_b32_e32 v22, 16, v22
	v_add_f32_e32 v22, v21, v22
	v_and_b32_e32 v23, 0x7f800000, v22
	v_cmp_ne_u32_e32 vcc, s0, v23
                                        ; implicit-def: $vgpr23
	s_and_saveexec_b64 s[0:1], vcc
	s_xor_b64 s[0:1], exec, s[0:1]
; %bb.21:
	v_bfe_u32 v23, v22, 16, 1
	s_movk_i32 s2, 0x7fff
	v_add3_u32 v23, v22, v23, s2
                                        ; implicit-def: $vgpr22
; %bb.22:
	s_andn2_saveexec_b64 s[0:1], s[0:1]
; %bb.23:
	v_mov_b32_e32 v23, 0
	v_or_b32_e32 v24, 0x10000, v22
	v_cmp_eq_u32_sdwa vcc, v22, v23 src0_sel:WORD_0 src1_sel:DWORD
	v_cndmask_b32_e32 v23, v24, v22, vcc
; %bb.24:
	s_or_b64 exec, exec, s[0:1]
	v_lshrrev_b32_e32 v22, 16, v23
	v_cmp_lt_u32_e32 vcc, 1, v19
	v_cndmask_b32_e32 v20, v20, v22, vcc
	v_and_b32_e32 v23, 0xffff0000, v23
	v_cndmask_b32_e32 v21, v21, v23, vcc
	v_mov_b32_dpp v22, v20 row_shr:4 row_mask:0xf bank_mask:0xf
	v_lshlrev_b32_e32 v22, 16, v22
	v_add_f32_e32 v22, v21, v22
	s_mov_b32 s0, 0x7f800000
	v_and_b32_e32 v23, 0x7f800000, v22
	v_cmp_ne_u32_e32 vcc, s0, v23
                                        ; implicit-def: $vgpr23
	s_and_saveexec_b64 s[0:1], vcc
	s_xor_b64 s[0:1], exec, s[0:1]
; %bb.25:
	v_bfe_u32 v23, v22, 16, 1
	s_movk_i32 s2, 0x7fff
	v_add3_u32 v23, v22, v23, s2
                                        ; implicit-def: $vgpr22
; %bb.26:
	s_andn2_saveexec_b64 s[0:1], s[0:1]
; %bb.27:
	v_mov_b32_e32 v23, 0
	v_or_b32_e32 v24, 0x10000, v22
	v_cmp_eq_u32_sdwa vcc, v22, v23 src0_sel:WORD_0 src1_sel:DWORD
	v_cndmask_b32_e32 v23, v24, v22, vcc
; %bb.28:
	s_or_b64 exec, exec, s[0:1]
	v_lshrrev_b32_e32 v22, 16, v23
	v_cmp_lt_u32_e32 vcc, 3, v19
	v_cndmask_b32_e32 v20, v20, v22, vcc
	v_and_b32_e32 v23, 0xffff0000, v23
	v_cndmask_b32_e32 v21, v21, v23, vcc
	v_mov_b32_dpp v22, v20 row_shr:8 row_mask:0xf bank_mask:0xf
	v_lshlrev_b32_e32 v22, 16, v22
	v_add_f32_e32 v21, v21, v22
	s_mov_b32 s0, 0x7f800000
	v_and_b32_e32 v22, 0x7f800000, v21
	v_cmp_ne_u32_e32 vcc, s0, v22
                                        ; implicit-def: $vgpr22
	s_and_saveexec_b64 s[0:1], vcc
	s_xor_b64 s[0:1], exec, s[0:1]
; %bb.29:
	v_bfe_u32 v22, v21, 16, 1
	s_movk_i32 s2, 0x7fff
	v_add3_u32 v22, v21, v22, s2
                                        ; implicit-def: $vgpr21
; %bb.30:
	s_andn2_saveexec_b64 s[0:1], s[0:1]
; %bb.31:
	v_mov_b32_e32 v22, 0
	v_or_b32_e32 v23, 0x10000, v21
	v_cmp_eq_u32_sdwa vcc, v21, v22 src0_sel:WORD_0 src1_sel:DWORD
	v_cndmask_b32_e32 v22, v23, v21, vcc
; %bb.32:
	s_or_b64 exec, exec, s[0:1]
	v_lshrrev_b32_e32 v21, 16, v22
	v_cmp_lt_u32_e32 vcc, 7, v19
	v_cndmask_b32_e32 v19, v20, v21, vcc
	v_cmp_eq_u32_e32 vcc, 15, v0
	s_and_saveexec_b64 s[0:1], vcc
	s_cbranch_execz .LBB178_34
; %bb.33:
	v_mov_b32_e32 v20, 0
	ds_write_b16 v20, v19
.LBB178_34:
	s_or_b64 exec, exec, s[0:1]
	v_add_u32_e32 v20, -1, v18
	v_and_b32_e32 v21, 0x70, v18
	v_cmp_lt_i32_e32 vcc, v20, v21
	v_cndmask_b32_e32 v18, v20, v18, vcc
	v_lshlrev_b32_e32 v18, 2, v18
	ds_bpermute_b32 v18, v18, v19
	v_cmp_ne_u32_e32 vcc, 0, v0
	s_waitcnt lgkmcnt(0)
	; wave barrier
	s_waitcnt lgkmcnt(0)
	s_and_saveexec_b64 s[0:1], vcc
	s_cbranch_execz .LBB178_40
; %bb.35:
	v_lshlrev_b32_e32 v0, 16, v18
	v_add_f32_e32 v0, v12, v0
	s_mov_b32 s2, 0x7f800000
	v_and_b32_e32 v1, 0x7f800000, v0
	v_cmp_ne_u32_e32 vcc, s2, v1
                                        ; implicit-def: $vgpr12
	s_and_saveexec_b64 s[2:3], vcc
	s_xor_b64 s[2:3], exec, s[2:3]
; %bb.36:
	v_bfe_u32 v1, v0, 16, 1
	s_movk_i32 s4, 0x7fff
	v_add3_u32 v12, v0, v1, s4
                                        ; implicit-def: $vgpr0
; %bb.37:
	s_andn2_saveexec_b64 s[2:3], s[2:3]
; %bb.38:
	v_mov_b32_e32 v1, 0
	v_or_b32_e32 v12, 0x10000, v0
	v_cmp_eq_u32_sdwa vcc, v0, v1 src0_sel:WORD_0 src1_sel:DWORD
	v_cndmask_b32_e32 v12, v12, v0, vcc
; %bb.39:
	s_or_b64 exec, exec, s[2:3]
	v_and_b32_e32 v0, 0xffff0000, v12
	v_lshrrev_b32_e32 v1, 16, v12
	v_add_f32_e32 v14, v13, v0
.LBB178_40:
	s_or_b64 exec, exec, s[0:1]
	s_mov_b32 s0, 0x7f800000
	v_and_b32_e32 v0, 0x7f800000, v14
	v_cmp_ne_u32_e32 vcc, s0, v0
                                        ; implicit-def: $vgpr0
	s_and_saveexec_b64 s[0:1], vcc
	s_xor_b64 s[0:1], exec, s[0:1]
; %bb.41:
	v_bfe_u32 v0, v14, 16, 1
	s_movk_i32 s2, 0x7fff
	v_add3_u32 v0, v14, v0, s2
                                        ; implicit-def: $vgpr14
; %bb.42:
	s_andn2_saveexec_b64 s[0:1], s[0:1]
; %bb.43:
	v_mov_b32_e32 v0, 0
	v_or_b32_e32 v12, 0x10000, v14
	v_cmp_eq_u32_sdwa vcc, v14, v0 src0_sel:WORD_0 src1_sel:DWORD
	v_cndmask_b32_e32 v0, v12, v14, vcc
; %bb.44:
	s_or_b64 exec, exec, s[0:1]
	v_and_b32_e32 v12, 0xffff0000, v0
	v_add_f32_e32 v13, v12, v15
	s_mov_b32 s0, 0x7f800000
	v_and_b32_e32 v12, 0x7f800000, v13
	v_cmp_ne_u32_e32 vcc, s0, v12
                                        ; implicit-def: $vgpr12
	s_and_saveexec_b64 s[0:1], vcc
	s_xor_b64 s[0:1], exec, s[0:1]
; %bb.45:
	v_bfe_u32 v12, v13, 16, 1
	s_movk_i32 s2, 0x7fff
	v_add3_u32 v12, v13, v12, s2
                                        ; implicit-def: $vgpr13
; %bb.46:
	s_andn2_saveexec_b64 s[0:1], s[0:1]
; %bb.47:
	v_mov_b32_e32 v12, 0
	v_or_b32_e32 v14, 0x10000, v13
	v_cmp_eq_u32_sdwa vcc, v13, v12 src0_sel:WORD_0 src1_sel:DWORD
	v_cndmask_b32_e32 v12, v14, v13, vcc
; %bb.48:
	s_or_b64 exec, exec, s[0:1]
	v_and_b32_e32 v13, 0xffff0000, v12
	v_add_f32_e32 v14, v13, v16
	s_mov_b32 s0, 0x7f800000
	v_and_b32_e32 v13, 0x7f800000, v14
	v_cmp_ne_u32_e32 vcc, s0, v13
                                        ; implicit-def: $vgpr13
	s_and_saveexec_b64 s[0:1], vcc
	s_xor_b64 s[0:1], exec, s[0:1]
; %bb.49:
	v_bfe_u32 v13, v14, 16, 1
	s_movk_i32 s2, 0x7fff
	v_add3_u32 v13, v14, v13, s2
                                        ; implicit-def: $vgpr14
; %bb.50:
	s_andn2_saveexec_b64 s[0:1], s[0:1]
; %bb.51:
	v_mov_b32_e32 v13, 0
	v_or_b32_e32 v15, 0x10000, v14
	v_cmp_eq_u32_sdwa vcc, v14, v13 src0_sel:WORD_0 src1_sel:DWORD
	v_cndmask_b32_e32 v13, v15, v14, vcc
; %bb.52:
	s_or_b64 exec, exec, s[0:1]
	v_and_b32_e32 v14, 0xffff0000, v13
	v_add_f32_e32 v14, v14, v17
	s_mov_b32 s0, 0x7f800000
	v_and_b32_e32 v15, 0x7f800000, v14
	v_cmp_ne_u32_e32 vcc, s0, v15
                                        ; implicit-def: $vgpr15
	s_and_saveexec_b64 s[0:1], vcc
	s_xor_b64 s[0:1], exec, s[0:1]
; %bb.53:
	v_bfe_u32 v15, v14, 16, 1
	s_movk_i32 s2, 0x7fff
	v_add3_u32 v15, v14, v15, s2
                                        ; implicit-def: $vgpr14
; %bb.54:
	s_andn2_saveexec_b64 s[0:1], s[0:1]
; %bb.55:
	v_mov_b32_e32 v15, 0
	v_or_b32_e32 v16, 0x10000, v14
	v_cmp_eq_u32_sdwa vcc, v14, v15 src0_sel:WORD_0 src1_sel:DWORD
	v_cndmask_b32_e32 v15, v16, v14, vcc
; %bb.56:
	s_or_b64 exec, exec, s[0:1]
	global_store_short v[2:3], v1, off
	global_store_short_d16_hi v[4:5], v0, off
	global_store_short_d16_hi v[10:11], v12, off
	;; [unrolled: 1-line block ×4, first 2 shown]
	s_endpgm
	.section	.rodata,"a",@progbits
	.p2align	6, 0x0
	.amdhsa_kernel _Z27inclusive_scan_array_kernelILj16ELj5ELN6hipcub18BlockScanAlgorithmE0E12hip_bfloat16EvPT2_
		.amdhsa_group_segment_fixed_size 2
		.amdhsa_private_segment_fixed_size 0
		.amdhsa_kernarg_size 8
		.amdhsa_user_sgpr_count 6
		.amdhsa_user_sgpr_private_segment_buffer 1
		.amdhsa_user_sgpr_dispatch_ptr 0
		.amdhsa_user_sgpr_queue_ptr 0
		.amdhsa_user_sgpr_kernarg_segment_ptr 1
		.amdhsa_user_sgpr_dispatch_id 0
		.amdhsa_user_sgpr_flat_scratch_init 0
		.amdhsa_user_sgpr_kernarg_preload_length 0
		.amdhsa_user_sgpr_kernarg_preload_offset 0
		.amdhsa_user_sgpr_private_segment_size 0
		.amdhsa_uses_dynamic_stack 0
		.amdhsa_system_sgpr_private_segment_wavefront_offset 0
		.amdhsa_system_sgpr_workgroup_id_x 1
		.amdhsa_system_sgpr_workgroup_id_y 0
		.amdhsa_system_sgpr_workgroup_id_z 0
		.amdhsa_system_sgpr_workgroup_info 0
		.amdhsa_system_vgpr_workitem_id 0
		.amdhsa_next_free_vgpr 25
		.amdhsa_next_free_sgpr 7
		.amdhsa_accum_offset 28
		.amdhsa_reserve_vcc 1
		.amdhsa_reserve_flat_scratch 0
		.amdhsa_float_round_mode_32 0
		.amdhsa_float_round_mode_16_64 0
		.amdhsa_float_denorm_mode_32 3
		.amdhsa_float_denorm_mode_16_64 3
		.amdhsa_dx10_clamp 1
		.amdhsa_ieee_mode 1
		.amdhsa_fp16_overflow 0
		.amdhsa_tg_split 0
		.amdhsa_exception_fp_ieee_invalid_op 0
		.amdhsa_exception_fp_denorm_src 0
		.amdhsa_exception_fp_ieee_div_zero 0
		.amdhsa_exception_fp_ieee_overflow 0
		.amdhsa_exception_fp_ieee_underflow 0
		.amdhsa_exception_fp_ieee_inexact 0
		.amdhsa_exception_int_div_zero 0
	.end_amdhsa_kernel
	.section	.text._Z27inclusive_scan_array_kernelILj16ELj5ELN6hipcub18BlockScanAlgorithmE0E12hip_bfloat16EvPT2_,"axG",@progbits,_Z27inclusive_scan_array_kernelILj16ELj5ELN6hipcub18BlockScanAlgorithmE0E12hip_bfloat16EvPT2_,comdat
.Lfunc_end178:
	.size	_Z27inclusive_scan_array_kernelILj16ELj5ELN6hipcub18BlockScanAlgorithmE0E12hip_bfloat16EvPT2_, .Lfunc_end178-_Z27inclusive_scan_array_kernelILj16ELj5ELN6hipcub18BlockScanAlgorithmE0E12hip_bfloat16EvPT2_
                                        ; -- End function
	.section	.AMDGPU.csdata,"",@progbits
; Kernel info:
; codeLenInByte = 1672
; NumSgprs: 11
; NumVgprs: 25
; NumAgprs: 0
; TotalNumVgprs: 25
; ScratchSize: 0
; MemoryBound: 0
; FloatMode: 240
; IeeeMode: 1
; LDSByteSize: 2 bytes/workgroup (compile time only)
; SGPRBlocks: 1
; VGPRBlocks: 3
; NumSGPRsForWavesPerEU: 11
; NumVGPRsForWavesPerEU: 25
; AccumOffset: 28
; Occupancy: 8
; WaveLimiterHint : 0
; COMPUTE_PGM_RSRC2:SCRATCH_EN: 0
; COMPUTE_PGM_RSRC2:USER_SGPR: 6
; COMPUTE_PGM_RSRC2:TRAP_HANDLER: 0
; COMPUTE_PGM_RSRC2:TGID_X_EN: 1
; COMPUTE_PGM_RSRC2:TGID_Y_EN: 0
; COMPUTE_PGM_RSRC2:TGID_Z_EN: 0
; COMPUTE_PGM_RSRC2:TIDIG_COMP_CNT: 0
; COMPUTE_PGM_RSRC3_GFX90A:ACCUM_OFFSET: 6
; COMPUTE_PGM_RSRC3_GFX90A:TG_SPLIT: 0
	.section	.text._Z27inclusive_scan_array_kernelILj65ELj5ELN6hipcub18BlockScanAlgorithmE0E6__halfEvPT2_,"axG",@progbits,_Z27inclusive_scan_array_kernelILj65ELj5ELN6hipcub18BlockScanAlgorithmE0E6__halfEvPT2_,comdat
	.protected	_Z27inclusive_scan_array_kernelILj65ELj5ELN6hipcub18BlockScanAlgorithmE0E6__halfEvPT2_ ; -- Begin function _Z27inclusive_scan_array_kernelILj65ELj5ELN6hipcub18BlockScanAlgorithmE0E6__halfEvPT2_
	.globl	_Z27inclusive_scan_array_kernelILj65ELj5ELN6hipcub18BlockScanAlgorithmE0E6__halfEvPT2_
	.p2align	8
	.type	_Z27inclusive_scan_array_kernelILj65ELj5ELN6hipcub18BlockScanAlgorithmE0E6__halfEvPT2_,@function
_Z27inclusive_scan_array_kernelILj65ELj5ELN6hipcub18BlockScanAlgorithmE0E6__halfEvPT2_: ; @_Z27inclusive_scan_array_kernelILj65ELj5ELN6hipcub18BlockScanAlgorithmE0E6__halfEvPT2_
; %bb.0:
	s_load_dwordx2 s[0:1], s[4:5], 0x0
	s_mulk_i32 s6, 0x41
	v_add_u32_e32 v1, s6, v0
	v_lshl_add_u32 v10, v1, 2, v1
	v_mov_b32_e32 v11, 0
	v_lshlrev_b64 v[2:3], 1, v[10:11]
	s_waitcnt lgkmcnt(0)
	v_mov_b32_e32 v1, s1
	v_add_co_u32_e32 v2, vcc, s0, v2
	v_add_u32_e32 v4, 1, v10
	v_mov_b32_e32 v5, v11
	v_addc_co_u32_e32 v3, vcc, v1, v3, vcc
	v_lshlrev_b64 v[4:5], 1, v[4:5]
	v_add_co_u32_e32 v4, vcc, s0, v4
	v_add_u32_e32 v6, 2, v10
	v_mov_b32_e32 v7, v11
	v_addc_co_u32_e32 v5, vcc, v1, v5, vcc
	v_lshlrev_b64 v[6:7], 1, v[6:7]
	v_add_co_u32_e32 v6, vcc, s0, v6
	v_add_u32_e32 v8, 3, v10
	v_mov_b32_e32 v9, v11
	v_addc_co_u32_e32 v7, vcc, v1, v7, vcc
	v_lshlrev_b64 v[8:9], 1, v[8:9]
	v_add_co_u32_e32 v8, vcc, s0, v8
	v_add_u32_e32 v10, 4, v10
	v_addc_co_u32_e32 v9, vcc, v1, v9, vcc
	v_lshlrev_b64 v[10:11], 1, v[10:11]
	v_add_co_u32_e32 v10, vcc, s0, v10
	v_addc_co_u32_e32 v11, vcc, v1, v11, vcc
	global_load_ushort v1, v[2:3], off
	global_load_ushort v12, v[4:5], off
	;; [unrolled: 1-line block ×5, first 2 shown]
	v_mbcnt_lo_u32_b32 v16, -1, 0
	v_mbcnt_hi_u32_b32 v16, -1, v16
	v_cmp_gt_u32_e64 s[0:1], 64, v0
	v_and_b32_e32 v18, 15, v16
	v_cndmask_b32_e64 v19, 64, 63, s[0:1]
	v_cmp_eq_u32_e64 s[0:1], 0, v18
	v_and_b32_e32 v20, 16, v16
	v_lshrrev_b32_e32 v17, 6, v0
	v_cmp_lt_u32_e32 vcc, 63, v0
	s_waitcnt vmcnt(3)
	v_add_f16_e32 v21, v1, v12
	s_waitcnt vmcnt(2)
	v_add_f16_e32 v21, v21, v13
	;; [unrolled: 2-line block ×4, first 2 shown]
	s_nop 1
	v_mov_b32_dpp v22, v21 row_shr:1 row_mask:0xf bank_mask:0xf
	v_add_f16_e32 v22, v21, v22
	v_cndmask_b32_e64 v21, v22, v21, s[0:1]
	v_and_b32_e32 v22, 0xffff, v21
	v_cmp_lt_u32_e64 s[0:1], 1, v18
	s_nop 0
	v_mov_b32_dpp v22, v22 row_shr:2 row_mask:0xf bank_mask:0xf
	v_add_f16_e32 v22, v21, v22
	v_cndmask_b32_e64 v21, v21, v22, s[0:1]
	v_and_b32_e32 v22, 0xffff, v21
	v_cmp_lt_u32_e64 s[0:1], 3, v18
	;; [unrolled: 6-line block ×3, first 2 shown]
	s_nop 0
	v_mov_b32_dpp v22, v22 row_shr:8 row_mask:0xf bank_mask:0xf
	v_add_f16_e32 v22, v21, v22
	v_cndmask_b32_e64 v18, v21, v22, s[0:1]
	v_and_b32_e32 v21, 0xffff, v18
	v_cmp_eq_u32_e64 s[0:1], 0, v20
	s_nop 0
	v_mov_b32_dpp v21, v21 row_bcast:15 row_mask:0xf bank_mask:0xf
	v_add_f16_e32 v21, v18, v21
	v_cndmask_b32_e64 v18, v21, v18, s[0:1]
	v_and_b32_e32 v20, 0xffff, v18
	v_cmp_lt_u32_e64 s[0:1], 31, v16
	s_nop 0
	v_mov_b32_dpp v20, v20 row_bcast:31 row_mask:0xf bank_mask:0xf
	v_add_f16_e32 v20, v18, v20
	v_cndmask_b32_e64 v18, v18, v20, s[0:1]
	v_cmp_eq_u32_e64 s[0:1], v19, v0
	s_and_saveexec_b64 s[2:3], s[0:1]
	s_cbranch_execz .LBB179_2
; %bb.1:
	v_lshlrev_b32_e32 v19, 1, v17
	ds_write_b16 v19, v18
.LBB179_2:
	s_or_b64 exec, exec, s[2:3]
	v_cmp_gt_u32_e64 s[0:1], 2, v0
	s_waitcnt lgkmcnt(0)
	s_barrier
	s_and_saveexec_b64 s[2:3], s[0:1]
	s_cbranch_execz .LBB179_4
; %bb.3:
	v_lshlrev_b32_e32 v19, 1, v0
	ds_read_u16 v20, v19
	v_and_b32_e32 v21, 1, v16
	v_cmp_eq_u32_e64 s[0:1], 0, v21
	s_waitcnt lgkmcnt(0)
	v_and_b32_e32 v22, 0xffff, v20
	s_nop 1
	v_mov_b32_dpp v22, v22 row_shr:1 row_mask:0xf bank_mask:0xf
	v_add_f16_e32 v22, v20, v22
	v_cndmask_b32_e64 v20, v22, v20, s[0:1]
	ds_write_b16 v19, v20
.LBB179_4:
	s_or_b64 exec, exec, s[2:3]
	s_waitcnt lgkmcnt(0)
	s_barrier
	s_waitcnt lgkmcnt(0)
                                        ; implicit-def: $vgpr19
	s_and_saveexec_b64 s[0:1], vcc
	s_cbranch_execz .LBB179_6
; %bb.5:
	v_lshl_add_u32 v17, v17, 1, -2
	ds_read_u16 v19, v17
	s_waitcnt lgkmcnt(0)
	v_add_f16_e32 v18, v18, v19
.LBB179_6:
	s_or_b64 exec, exec, s[0:1]
	v_and_b32_e32 v17, 0xffff, v18
	v_add_u32_e32 v18, -1, v16
	v_and_b32_e32 v20, 64, v16
	v_cmp_lt_i32_e32 vcc, v18, v20
	v_cndmask_b32_e32 v18, v18, v16, vcc
	v_lshlrev_b32_e32 v18, 2, v18
	ds_bpermute_b32 v17, v18, v17
	v_cmp_eq_u32_e32 vcc, 0, v16
	s_waitcnt lgkmcnt(0)
	v_cndmask_b32_e32 v16, v17, v19, vcc
	v_add_f16_e32 v16, v1, v16
	v_cmp_eq_u32_e32 vcc, 0, v0
	v_cndmask_b32_e32 v0, v16, v1, vcc
	v_add_f16_e32 v1, v12, v0
	v_add_f16_e32 v12, v13, v1
	;; [unrolled: 1-line block ×4, first 2 shown]
	global_store_short v[2:3], v0, off
	global_store_short v[4:5], v1, off
	;; [unrolled: 1-line block ×5, first 2 shown]
	s_endpgm
	.section	.rodata,"a",@progbits
	.p2align	6, 0x0
	.amdhsa_kernel _Z27inclusive_scan_array_kernelILj65ELj5ELN6hipcub18BlockScanAlgorithmE0E6__halfEvPT2_
		.amdhsa_group_segment_fixed_size 4
		.amdhsa_private_segment_fixed_size 0
		.amdhsa_kernarg_size 8
		.amdhsa_user_sgpr_count 6
		.amdhsa_user_sgpr_private_segment_buffer 1
		.amdhsa_user_sgpr_dispatch_ptr 0
		.amdhsa_user_sgpr_queue_ptr 0
		.amdhsa_user_sgpr_kernarg_segment_ptr 1
		.amdhsa_user_sgpr_dispatch_id 0
		.amdhsa_user_sgpr_flat_scratch_init 0
		.amdhsa_user_sgpr_kernarg_preload_length 0
		.amdhsa_user_sgpr_kernarg_preload_offset 0
		.amdhsa_user_sgpr_private_segment_size 0
		.amdhsa_uses_dynamic_stack 0
		.amdhsa_system_sgpr_private_segment_wavefront_offset 0
		.amdhsa_system_sgpr_workgroup_id_x 1
		.amdhsa_system_sgpr_workgroup_id_y 0
		.amdhsa_system_sgpr_workgroup_id_z 0
		.amdhsa_system_sgpr_workgroup_info 0
		.amdhsa_system_vgpr_workitem_id 0
		.amdhsa_next_free_vgpr 23
		.amdhsa_next_free_sgpr 7
		.amdhsa_accum_offset 24
		.amdhsa_reserve_vcc 1
		.amdhsa_reserve_flat_scratch 0
		.amdhsa_float_round_mode_32 0
		.amdhsa_float_round_mode_16_64 0
		.amdhsa_float_denorm_mode_32 3
		.amdhsa_float_denorm_mode_16_64 3
		.amdhsa_dx10_clamp 1
		.amdhsa_ieee_mode 1
		.amdhsa_fp16_overflow 0
		.amdhsa_tg_split 0
		.amdhsa_exception_fp_ieee_invalid_op 0
		.amdhsa_exception_fp_denorm_src 0
		.amdhsa_exception_fp_ieee_div_zero 0
		.amdhsa_exception_fp_ieee_overflow 0
		.amdhsa_exception_fp_ieee_underflow 0
		.amdhsa_exception_fp_ieee_inexact 0
		.amdhsa_exception_int_div_zero 0
	.end_amdhsa_kernel
	.section	.text._Z27inclusive_scan_array_kernelILj65ELj5ELN6hipcub18BlockScanAlgorithmE0E6__halfEvPT2_,"axG",@progbits,_Z27inclusive_scan_array_kernelILj65ELj5ELN6hipcub18BlockScanAlgorithmE0E6__halfEvPT2_,comdat
.Lfunc_end179:
	.size	_Z27inclusive_scan_array_kernelILj65ELj5ELN6hipcub18BlockScanAlgorithmE0E6__halfEvPT2_, .Lfunc_end179-_Z27inclusive_scan_array_kernelILj65ELj5ELN6hipcub18BlockScanAlgorithmE0E6__halfEvPT2_
                                        ; -- End function
	.section	.AMDGPU.csdata,"",@progbits
; Kernel info:
; codeLenInByte = 792
; NumSgprs: 11
; NumVgprs: 23
; NumAgprs: 0
; TotalNumVgprs: 23
; ScratchSize: 0
; MemoryBound: 0
; FloatMode: 240
; IeeeMode: 1
; LDSByteSize: 4 bytes/workgroup (compile time only)
; SGPRBlocks: 1
; VGPRBlocks: 2
; NumSGPRsForWavesPerEU: 11
; NumVGPRsForWavesPerEU: 23
; AccumOffset: 24
; Occupancy: 8
; WaveLimiterHint : 0
; COMPUTE_PGM_RSRC2:SCRATCH_EN: 0
; COMPUTE_PGM_RSRC2:USER_SGPR: 6
; COMPUTE_PGM_RSRC2:TRAP_HANDLER: 0
; COMPUTE_PGM_RSRC2:TGID_X_EN: 1
; COMPUTE_PGM_RSRC2:TGID_Y_EN: 0
; COMPUTE_PGM_RSRC2:TGID_Z_EN: 0
; COMPUTE_PGM_RSRC2:TIDIG_COMP_CNT: 0
; COMPUTE_PGM_RSRC3_GFX90A:ACCUM_OFFSET: 5
; COMPUTE_PGM_RSRC3_GFX90A:TG_SPLIT: 0
	.section	.text._Z27inclusive_scan_array_kernelILj255ELj15ELN6hipcub18BlockScanAlgorithmE0EfEvPT2_,"axG",@progbits,_Z27inclusive_scan_array_kernelILj255ELj15ELN6hipcub18BlockScanAlgorithmE0EfEvPT2_,comdat
	.protected	_Z27inclusive_scan_array_kernelILj255ELj15ELN6hipcub18BlockScanAlgorithmE0EfEvPT2_ ; -- Begin function _Z27inclusive_scan_array_kernelILj255ELj15ELN6hipcub18BlockScanAlgorithmE0EfEvPT2_
	.globl	_Z27inclusive_scan_array_kernelILj255ELj15ELN6hipcub18BlockScanAlgorithmE0EfEvPT2_
	.p2align	8
	.type	_Z27inclusive_scan_array_kernelILj255ELj15ELN6hipcub18BlockScanAlgorithmE0EfEvPT2_,@function
_Z27inclusive_scan_array_kernelILj255ELj15ELN6hipcub18BlockScanAlgorithmE0EfEvPT2_: ; @_Z27inclusive_scan_array_kernelILj255ELj15ELN6hipcub18BlockScanAlgorithmE0EfEvPT2_
; %bb.0:
	s_load_dwordx2 s[0:1], s[4:5], 0x0
	s_mulk_i32 s6, 0xff
	v_add_u32_e32 v1, s6, v0
	v_mul_lo_u32 v30, v1, 15
	v_mov_b32_e32 v31, 0
	v_lshlrev_b64 v[2:3], 2, v[30:31]
	s_waitcnt lgkmcnt(0)
	v_mov_b32_e32 v39, s1
	v_add_co_u32_e32 v2, vcc, s0, v2
	v_add_u32_e32 v4, 1, v30
	v_mov_b32_e32 v5, v31
	v_addc_co_u32_e32 v3, vcc, v39, v3, vcc
	v_lshlrev_b64 v[4:5], 2, v[4:5]
	v_add_co_u32_e32 v4, vcc, s0, v4
	v_add_u32_e32 v6, 2, v30
	v_mov_b32_e32 v7, v31
	v_addc_co_u32_e32 v5, vcc, v39, v5, vcc
	v_lshlrev_b64 v[6:7], 2, v[6:7]
	;; [unrolled: 5-line block ×11, first 2 shown]
	global_load_dword v1, v[2:3], off
	global_load_dword v32, v[4:5], off
	;; [unrolled: 1-line block ×8, first 2 shown]
	v_add_co_u32_e32 v24, vcc, s0, v24
	v_add_u32_e32 v26, 12, v30
	v_mov_b32_e32 v27, v31
	v_addc_co_u32_e32 v25, vcc, v39, v25, vcc
	v_lshlrev_b64 v[26:27], 2, v[26:27]
	v_add_co_u32_e32 v26, vcc, s0, v26
	v_add_u32_e32 v28, 13, v30
	v_mov_b32_e32 v29, v31
	v_addc_co_u32_e32 v27, vcc, v39, v27, vcc
	v_lshlrev_b64 v[28:29], 2, v[28:29]
	v_add_co_u32_e32 v28, vcc, s0, v28
	v_add_u32_e32 v30, 14, v30
	v_addc_co_u32_e32 v29, vcc, v39, v29, vcc
	v_lshlrev_b64 v[30:31], 2, v[30:31]
	v_add_co_u32_e32 v30, vcc, s0, v30
	v_addc_co_u32_e32 v31, vcc, v39, v31, vcc
	global_load_dword v39, v[18:19], off
	global_load_dword v40, v[20:21], off
	;; [unrolled: 1-line block ×7, first 2 shown]
	s_waitcnt vmcnt(13)
	v_add_f32_e32 v46, v1, v32
	s_waitcnt vmcnt(12)
	v_add_f32_e32 v46, v33, v46
	;; [unrolled: 2-line block ×14, first 2 shown]
	v_mbcnt_lo_u32_b32 v46, -1, 0
	v_mbcnt_hi_u32_b32 v46, -1, v46
	v_and_b32_e32 v48, 15, v46
	v_mov_b32_dpp v49, v47 row_shr:1 row_mask:0xf bank_mask:0xf
	v_add_f32_e32 v49, v47, v49
	v_cmp_eq_u32_e32 vcc, 0, v48
	v_cndmask_b32_e32 v47, v49, v47, vcc
	v_cmp_lt_u32_e32 vcc, 1, v48
	s_nop 0
	v_mov_b32_dpp v49, v47 row_shr:2 row_mask:0xf bank_mask:0xf
	v_add_f32_e32 v49, v47, v49
	v_cndmask_b32_e32 v47, v47, v49, vcc
	v_cmp_lt_u32_e32 vcc, 3, v48
	s_nop 0
	v_mov_b32_dpp v49, v47 row_shr:4 row_mask:0xf bank_mask:0xf
	v_add_f32_e32 v49, v47, v49
	;; [unrolled: 5-line block ×3, first 2 shown]
	v_cndmask_b32_e32 v47, v47, v49, vcc
	v_and_b32_e32 v49, 16, v46
	v_cmp_eq_u32_e32 vcc, 0, v49
	v_mov_b32_dpp v48, v47 row_bcast:15 row_mask:0xf bank_mask:0xf
	v_add_f32_e32 v48, v47, v48
	v_cndmask_b32_e32 v47, v48, v47, vcc
	v_and_b32_e32 v49, 0xc0, v0
	v_min_u32_e32 v49, 0xbf, v49
	v_mov_b32_dpp v48, v47 row_bcast:31 row_mask:0xf bank_mask:0xf
	v_add_f32_e32 v48, v47, v48
	v_cmp_lt_u32_e32 vcc, 31, v46
	v_add_u32_e32 v49, 63, v49
	v_cndmask_b32_e32 v47, v47, v48, vcc
	v_lshrrev_b32_e32 v48, 6, v0
	v_cmp_eq_u32_e32 vcc, v49, v0
	s_and_saveexec_b64 s[0:1], vcc
	s_cbranch_execz .LBB180_2
; %bb.1:
	v_lshlrev_b32_e32 v49, 2, v48
	ds_write_b32 v49, v47
.LBB180_2:
	s_or_b64 exec, exec, s[0:1]
	v_cmp_gt_u32_e32 vcc, 4, v0
	s_waitcnt lgkmcnt(0)
	s_barrier
	s_and_saveexec_b64 s[0:1], vcc
	s_cbranch_execz .LBB180_4
; %bb.3:
	v_lshlrev_b32_e32 v49, 2, v0
	ds_read_b32 v50, v49
	v_and_b32_e32 v51, 3, v46
	v_cmp_eq_u32_e32 vcc, 0, v51
	s_waitcnt lgkmcnt(0)
	v_mov_b32_dpp v52, v50 row_shr:1 row_mask:0xf bank_mask:0xf
	v_add_f32_e32 v52, v50, v52
	v_cndmask_b32_e32 v50, v52, v50, vcc
	v_cmp_lt_u32_e32 vcc, 1, v51
	s_nop 0
	v_mov_b32_dpp v52, v50 row_shr:2 row_mask:0xf bank_mask:0xf
	v_add_f32_e32 v52, v50, v52
	v_cndmask_b32_e32 v50, v50, v52, vcc
	ds_write_b32 v49, v50
.LBB180_4:
	s_or_b64 exec, exec, s[0:1]
	v_cmp_lt_u32_e32 vcc, 63, v0
	s_waitcnt lgkmcnt(0)
	s_barrier
	s_waitcnt lgkmcnt(0)
                                        ; implicit-def: $vgpr49
	s_and_saveexec_b64 s[0:1], vcc
	s_cbranch_execz .LBB180_6
; %bb.5:
	v_lshl_add_u32 v48, v48, 2, -4
	ds_read_b32 v49, v48
	s_waitcnt lgkmcnt(0)
	v_add_f32_e32 v47, v47, v49
.LBB180_6:
	s_or_b64 exec, exec, s[0:1]
	v_add_u32_e32 v48, -1, v46
	v_and_b32_e32 v50, 64, v46
	v_cmp_lt_i32_e32 vcc, v48, v50
	v_cndmask_b32_e32 v48, v48, v46, vcc
	v_lshlrev_b32_e32 v48, 2, v48
	ds_bpermute_b32 v47, v48, v47
	v_cmp_eq_u32_e32 vcc, 0, v46
	s_waitcnt lgkmcnt(0)
	v_cndmask_b32_e32 v46, v47, v49, vcc
	v_add_f32_e32 v46, v1, v46
	v_cmp_eq_u32_e32 vcc, 0, v0
	v_cndmask_b32_e32 v0, v46, v1, vcc
	v_add_f32_e32 v1, v32, v0
	v_add_f32_e32 v32, v33, v1
	;; [unrolled: 1-line block ×14, first 2 shown]
	global_store_dword v[2:3], v0, off
	global_store_dword v[4:5], v1, off
	;; [unrolled: 1-line block ×15, first 2 shown]
	s_endpgm
	.section	.rodata,"a",@progbits
	.p2align	6, 0x0
	.amdhsa_kernel _Z27inclusive_scan_array_kernelILj255ELj15ELN6hipcub18BlockScanAlgorithmE0EfEvPT2_
		.amdhsa_group_segment_fixed_size 16
		.amdhsa_private_segment_fixed_size 0
		.amdhsa_kernarg_size 8
		.amdhsa_user_sgpr_count 6
		.amdhsa_user_sgpr_private_segment_buffer 1
		.amdhsa_user_sgpr_dispatch_ptr 0
		.amdhsa_user_sgpr_queue_ptr 0
		.amdhsa_user_sgpr_kernarg_segment_ptr 1
		.amdhsa_user_sgpr_dispatch_id 0
		.amdhsa_user_sgpr_flat_scratch_init 0
		.amdhsa_user_sgpr_kernarg_preload_length 0
		.amdhsa_user_sgpr_kernarg_preload_offset 0
		.amdhsa_user_sgpr_private_segment_size 0
		.amdhsa_uses_dynamic_stack 0
		.amdhsa_system_sgpr_private_segment_wavefront_offset 0
		.amdhsa_system_sgpr_workgroup_id_x 1
		.amdhsa_system_sgpr_workgroup_id_y 0
		.amdhsa_system_sgpr_workgroup_id_z 0
		.amdhsa_system_sgpr_workgroup_info 0
		.amdhsa_system_vgpr_workitem_id 0
		.amdhsa_next_free_vgpr 53
		.amdhsa_next_free_sgpr 7
		.amdhsa_accum_offset 56
		.amdhsa_reserve_vcc 1
		.amdhsa_reserve_flat_scratch 0
		.amdhsa_float_round_mode_32 0
		.amdhsa_float_round_mode_16_64 0
		.amdhsa_float_denorm_mode_32 3
		.amdhsa_float_denorm_mode_16_64 3
		.amdhsa_dx10_clamp 1
		.amdhsa_ieee_mode 1
		.amdhsa_fp16_overflow 0
		.amdhsa_tg_split 0
		.amdhsa_exception_fp_ieee_invalid_op 0
		.amdhsa_exception_fp_denorm_src 0
		.amdhsa_exception_fp_ieee_div_zero 0
		.amdhsa_exception_fp_ieee_overflow 0
		.amdhsa_exception_fp_ieee_underflow 0
		.amdhsa_exception_fp_ieee_inexact 0
		.amdhsa_exception_int_div_zero 0
	.end_amdhsa_kernel
	.section	.text._Z27inclusive_scan_array_kernelILj255ELj15ELN6hipcub18BlockScanAlgorithmE0EfEvPT2_,"axG",@progbits,_Z27inclusive_scan_array_kernelILj255ELj15ELN6hipcub18BlockScanAlgorithmE0EfEvPT2_,comdat
.Lfunc_end180:
	.size	_Z27inclusive_scan_array_kernelILj255ELj15ELN6hipcub18BlockScanAlgorithmE0EfEvPT2_, .Lfunc_end180-_Z27inclusive_scan_array_kernelILj255ELj15ELN6hipcub18BlockScanAlgorithmE0EfEvPT2_
                                        ; -- End function
	.section	.AMDGPU.csdata,"",@progbits
; Kernel info:
; codeLenInByte = 1204
; NumSgprs: 11
; NumVgprs: 53
; NumAgprs: 0
; TotalNumVgprs: 53
; ScratchSize: 0
; MemoryBound: 0
; FloatMode: 240
; IeeeMode: 1
; LDSByteSize: 16 bytes/workgroup (compile time only)
; SGPRBlocks: 1
; VGPRBlocks: 6
; NumSGPRsForWavesPerEU: 11
; NumVGPRsForWavesPerEU: 53
; AccumOffset: 56
; Occupancy: 8
; WaveLimiterHint : 0
; COMPUTE_PGM_RSRC2:SCRATCH_EN: 0
; COMPUTE_PGM_RSRC2:USER_SGPR: 6
; COMPUTE_PGM_RSRC2:TRAP_HANDLER: 0
; COMPUTE_PGM_RSRC2:TGID_X_EN: 1
; COMPUTE_PGM_RSRC2:TGID_Y_EN: 0
; COMPUTE_PGM_RSRC2:TGID_Z_EN: 0
; COMPUTE_PGM_RSRC2:TIDIG_COMP_CNT: 0
; COMPUTE_PGM_RSRC3_GFX90A:ACCUM_OFFSET: 13
; COMPUTE_PGM_RSRC3_GFX90A:TG_SPLIT: 0
	.section	.text._Z27inclusive_scan_array_kernelILj162ELj7ELN6hipcub18BlockScanAlgorithmE0EfEvPT2_,"axG",@progbits,_Z27inclusive_scan_array_kernelILj162ELj7ELN6hipcub18BlockScanAlgorithmE0EfEvPT2_,comdat
	.protected	_Z27inclusive_scan_array_kernelILj162ELj7ELN6hipcub18BlockScanAlgorithmE0EfEvPT2_ ; -- Begin function _Z27inclusive_scan_array_kernelILj162ELj7ELN6hipcub18BlockScanAlgorithmE0EfEvPT2_
	.globl	_Z27inclusive_scan_array_kernelILj162ELj7ELN6hipcub18BlockScanAlgorithmE0EfEvPT2_
	.p2align	8
	.type	_Z27inclusive_scan_array_kernelILj162ELj7ELN6hipcub18BlockScanAlgorithmE0EfEvPT2_,@function
_Z27inclusive_scan_array_kernelILj162ELj7ELN6hipcub18BlockScanAlgorithmE0EfEvPT2_: ; @_Z27inclusive_scan_array_kernelILj162ELj7ELN6hipcub18BlockScanAlgorithmE0EfEvPT2_
; %bb.0:
	s_load_dwordx2 s[0:1], s[4:5], 0x0
	s_mulk_i32 s6, 0xa2
	v_add_u32_e32 v1, s6, v0
	v_mul_lo_u32 v14, v1, 7
	v_mov_b32_e32 v15, 0
	v_lshlrev_b64 v[2:3], 2, v[14:15]
	s_waitcnt lgkmcnt(0)
	v_mov_b32_e32 v1, s1
	v_add_co_u32_e32 v2, vcc, s0, v2
	v_add_u32_e32 v4, 1, v14
	v_mov_b32_e32 v5, v15
	v_addc_co_u32_e32 v3, vcc, v1, v3, vcc
	v_lshlrev_b64 v[4:5], 2, v[4:5]
	v_add_co_u32_e32 v4, vcc, s0, v4
	v_add_u32_e32 v6, 2, v14
	v_mov_b32_e32 v7, v15
	v_addc_co_u32_e32 v5, vcc, v1, v5, vcc
	v_lshlrev_b64 v[6:7], 2, v[6:7]
	;; [unrolled: 5-line block ×5, first 2 shown]
	v_add_co_u32_e32 v12, vcc, s0, v12
	v_add_u32_e32 v14, 6, v14
	v_addc_co_u32_e32 v13, vcc, v1, v13, vcc
	v_lshlrev_b64 v[14:15], 2, v[14:15]
	v_add_co_u32_e32 v14, vcc, s0, v14
	v_addc_co_u32_e32 v15, vcc, v1, v15, vcc
	global_load_dword v1, v[2:3], off
	global_load_dword v16, v[4:5], off
	;; [unrolled: 1-line block ×7, first 2 shown]
	v_and_b32_e32 v24, 0xc0, v0
	v_min_u32_e32 v24, 0x62, v24
	v_add_u32_e32 v27, 63, v24
	v_mbcnt_lo_u32_b32 v22, -1, 0
	v_mbcnt_hi_u32_b32 v22, -1, v22
	v_and_b32_e32 v25, 15, v22
	v_cmp_eq_u32_e32 vcc, 0, v25
	v_and_b32_e32 v26, 16, v22
	v_lshrrev_b32_e32 v23, 6, v0
	s_waitcnt vmcnt(5)
	v_add_f32_e32 v24, v1, v16
	s_waitcnt vmcnt(4)
	v_add_f32_e32 v24, v17, v24
	;; [unrolled: 2-line block ×6, first 2 shown]
	s_nop 1
	v_mov_b32_dpp v28, v24 row_shr:1 row_mask:0xf bank_mask:0xf
	v_add_f32_e32 v28, v24, v28
	v_cndmask_b32_e32 v24, v28, v24, vcc
	v_cmp_lt_u32_e32 vcc, 1, v25
	s_nop 0
	v_mov_b32_dpp v28, v24 row_shr:2 row_mask:0xf bank_mask:0xf
	v_add_f32_e32 v28, v24, v28
	v_cndmask_b32_e32 v24, v24, v28, vcc
	v_cmp_lt_u32_e32 vcc, 3, v25
	;; [unrolled: 5-line block ×3, first 2 shown]
	s_nop 0
	v_mov_b32_dpp v28, v24 row_shr:8 row_mask:0xf bank_mask:0xf
	v_add_f32_e32 v28, v24, v28
	v_cndmask_b32_e32 v24, v24, v28, vcc
	v_cmp_eq_u32_e32 vcc, 0, v26
	s_nop 0
	v_mov_b32_dpp v25, v24 row_bcast:15 row_mask:0xf bank_mask:0xf
	v_add_f32_e32 v25, v24, v25
	v_cndmask_b32_e32 v24, v25, v24, vcc
	v_cmp_lt_u32_e32 vcc, 31, v22
	s_nop 0
	v_mov_b32_dpp v25, v24 row_bcast:31 row_mask:0xf bank_mask:0xf
	v_add_f32_e32 v25, v24, v25
	v_cndmask_b32_e32 v24, v24, v25, vcc
	v_cmp_eq_u32_e32 vcc, v27, v0
	s_and_saveexec_b64 s[0:1], vcc
	s_cbranch_execz .LBB181_2
; %bb.1:
	v_lshlrev_b32_e32 v25, 2, v23
	ds_write_b32 v25, v24
.LBB181_2:
	s_or_b64 exec, exec, s[0:1]
	v_cmp_gt_u32_e32 vcc, 3, v0
	s_waitcnt lgkmcnt(0)
	s_barrier
	s_and_saveexec_b64 s[0:1], vcc
	s_cbranch_execz .LBB181_4
; %bb.3:
	v_lshlrev_b32_e32 v25, 2, v0
	ds_read_b32 v26, v25
	v_and_b32_e32 v27, 3, v22
	v_cmp_eq_u32_e32 vcc, 0, v27
	s_waitcnt lgkmcnt(0)
	v_mov_b32_dpp v28, v26 row_shr:1 row_mask:0xf bank_mask:0xf
	v_add_f32_e32 v28, v26, v28
	v_cndmask_b32_e32 v26, v28, v26, vcc
	v_cmp_lt_u32_e32 vcc, 1, v27
	s_nop 0
	v_mov_b32_dpp v28, v26 row_shr:2 row_mask:0xf bank_mask:0xf
	v_add_f32_e32 v28, v26, v28
	v_cndmask_b32_e32 v26, v26, v28, vcc
	ds_write_b32 v25, v26
.LBB181_4:
	s_or_b64 exec, exec, s[0:1]
	v_cmp_lt_u32_e32 vcc, 63, v0
	s_waitcnt lgkmcnt(0)
	s_barrier
	s_waitcnt lgkmcnt(0)
                                        ; implicit-def: $vgpr25
	s_and_saveexec_b64 s[0:1], vcc
	s_cbranch_execz .LBB181_6
; %bb.5:
	v_lshl_add_u32 v23, v23, 2, -4
	ds_read_b32 v25, v23
	s_waitcnt lgkmcnt(0)
	v_add_f32_e32 v24, v24, v25
.LBB181_6:
	s_or_b64 exec, exec, s[0:1]
	v_add_u32_e32 v23, -1, v22
	v_and_b32_e32 v26, 64, v22
	v_cmp_lt_i32_e32 vcc, v23, v26
	v_cndmask_b32_e32 v23, v23, v22, vcc
	v_lshlrev_b32_e32 v23, 2, v23
	ds_bpermute_b32 v23, v23, v24
	v_cmp_eq_u32_e32 vcc, 0, v22
	s_waitcnt lgkmcnt(0)
	v_cndmask_b32_e32 v22, v23, v25, vcc
	v_add_f32_e32 v22, v1, v22
	v_cmp_eq_u32_e32 vcc, 0, v0
	v_cndmask_b32_e32 v0, v22, v1, vcc
	v_add_f32_e32 v1, v16, v0
	v_add_f32_e32 v16, v17, v1
	;; [unrolled: 1-line block ×6, first 2 shown]
	global_store_dword v[2:3], v0, off
	global_store_dword v[4:5], v1, off
	;; [unrolled: 1-line block ×7, first 2 shown]
	s_endpgm
	.section	.rodata,"a",@progbits
	.p2align	6, 0x0
	.amdhsa_kernel _Z27inclusive_scan_array_kernelILj162ELj7ELN6hipcub18BlockScanAlgorithmE0EfEvPT2_
		.amdhsa_group_segment_fixed_size 12
		.amdhsa_private_segment_fixed_size 0
		.amdhsa_kernarg_size 8
		.amdhsa_user_sgpr_count 6
		.amdhsa_user_sgpr_private_segment_buffer 1
		.amdhsa_user_sgpr_dispatch_ptr 0
		.amdhsa_user_sgpr_queue_ptr 0
		.amdhsa_user_sgpr_kernarg_segment_ptr 1
		.amdhsa_user_sgpr_dispatch_id 0
		.amdhsa_user_sgpr_flat_scratch_init 0
		.amdhsa_user_sgpr_kernarg_preload_length 0
		.amdhsa_user_sgpr_kernarg_preload_offset 0
		.amdhsa_user_sgpr_private_segment_size 0
		.amdhsa_uses_dynamic_stack 0
		.amdhsa_system_sgpr_private_segment_wavefront_offset 0
		.amdhsa_system_sgpr_workgroup_id_x 1
		.amdhsa_system_sgpr_workgroup_id_y 0
		.amdhsa_system_sgpr_workgroup_id_z 0
		.amdhsa_system_sgpr_workgroup_info 0
		.amdhsa_system_vgpr_workitem_id 0
		.amdhsa_next_free_vgpr 29
		.amdhsa_next_free_sgpr 7
		.amdhsa_accum_offset 32
		.amdhsa_reserve_vcc 1
		.amdhsa_reserve_flat_scratch 0
		.amdhsa_float_round_mode_32 0
		.amdhsa_float_round_mode_16_64 0
		.amdhsa_float_denorm_mode_32 3
		.amdhsa_float_denorm_mode_16_64 3
		.amdhsa_dx10_clamp 1
		.amdhsa_ieee_mode 1
		.amdhsa_fp16_overflow 0
		.amdhsa_tg_split 0
		.amdhsa_exception_fp_ieee_invalid_op 0
		.amdhsa_exception_fp_denorm_src 0
		.amdhsa_exception_fp_ieee_div_zero 0
		.amdhsa_exception_fp_ieee_overflow 0
		.amdhsa_exception_fp_ieee_underflow 0
		.amdhsa_exception_fp_ieee_inexact 0
		.amdhsa_exception_int_div_zero 0
	.end_amdhsa_kernel
	.section	.text._Z27inclusive_scan_array_kernelILj162ELj7ELN6hipcub18BlockScanAlgorithmE0EfEvPT2_,"axG",@progbits,_Z27inclusive_scan_array_kernelILj162ELj7ELN6hipcub18BlockScanAlgorithmE0EfEvPT2_,comdat
.Lfunc_end181:
	.size	_Z27inclusive_scan_array_kernelILj162ELj7ELN6hipcub18BlockScanAlgorithmE0EfEvPT2_, .Lfunc_end181-_Z27inclusive_scan_array_kernelILj162ELj7ELN6hipcub18BlockScanAlgorithmE0EfEvPT2_
                                        ; -- End function
	.section	.AMDGPU.csdata,"",@progbits
; Kernel info:
; codeLenInByte = 800
; NumSgprs: 11
; NumVgprs: 29
; NumAgprs: 0
; TotalNumVgprs: 29
; ScratchSize: 0
; MemoryBound: 0
; FloatMode: 240
; IeeeMode: 1
; LDSByteSize: 12 bytes/workgroup (compile time only)
; SGPRBlocks: 1
; VGPRBlocks: 3
; NumSGPRsForWavesPerEU: 11
; NumVGPRsForWavesPerEU: 29
; AccumOffset: 32
; Occupancy: 8
; WaveLimiterHint : 0
; COMPUTE_PGM_RSRC2:SCRATCH_EN: 0
; COMPUTE_PGM_RSRC2:USER_SGPR: 6
; COMPUTE_PGM_RSRC2:TRAP_HANDLER: 0
; COMPUTE_PGM_RSRC2:TGID_X_EN: 1
; COMPUTE_PGM_RSRC2:TGID_Y_EN: 0
; COMPUTE_PGM_RSRC2:TGID_Z_EN: 0
; COMPUTE_PGM_RSRC2:TIDIG_COMP_CNT: 0
; COMPUTE_PGM_RSRC3_GFX90A:ACCUM_OFFSET: 7
; COMPUTE_PGM_RSRC3_GFX90A:TG_SPLIT: 0
	.section	.text._Z27inclusive_scan_array_kernelILj65ELj5ELN6hipcub18BlockScanAlgorithmE0EfEvPT2_,"axG",@progbits,_Z27inclusive_scan_array_kernelILj65ELj5ELN6hipcub18BlockScanAlgorithmE0EfEvPT2_,comdat
	.protected	_Z27inclusive_scan_array_kernelILj65ELj5ELN6hipcub18BlockScanAlgorithmE0EfEvPT2_ ; -- Begin function _Z27inclusive_scan_array_kernelILj65ELj5ELN6hipcub18BlockScanAlgorithmE0EfEvPT2_
	.globl	_Z27inclusive_scan_array_kernelILj65ELj5ELN6hipcub18BlockScanAlgorithmE0EfEvPT2_
	.p2align	8
	.type	_Z27inclusive_scan_array_kernelILj65ELj5ELN6hipcub18BlockScanAlgorithmE0EfEvPT2_,@function
_Z27inclusive_scan_array_kernelILj65ELj5ELN6hipcub18BlockScanAlgorithmE0EfEvPT2_: ; @_Z27inclusive_scan_array_kernelILj65ELj5ELN6hipcub18BlockScanAlgorithmE0EfEvPT2_
; %bb.0:
	s_load_dwordx2 s[0:1], s[4:5], 0x0
	s_mulk_i32 s6, 0x41
	v_add_u32_e32 v1, s6, v0
	v_lshl_add_u32 v10, v1, 2, v1
	v_mov_b32_e32 v11, 0
	v_lshlrev_b64 v[2:3], 2, v[10:11]
	s_waitcnt lgkmcnt(0)
	v_mov_b32_e32 v1, s1
	v_add_co_u32_e32 v2, vcc, s0, v2
	v_add_u32_e32 v4, 1, v10
	v_mov_b32_e32 v5, v11
	v_addc_co_u32_e32 v3, vcc, v1, v3, vcc
	v_lshlrev_b64 v[4:5], 2, v[4:5]
	v_add_co_u32_e32 v4, vcc, s0, v4
	v_add_u32_e32 v6, 2, v10
	v_mov_b32_e32 v7, v11
	v_addc_co_u32_e32 v5, vcc, v1, v5, vcc
	v_lshlrev_b64 v[6:7], 2, v[6:7]
	;; [unrolled: 5-line block ×3, first 2 shown]
	v_add_co_u32_e32 v8, vcc, s0, v8
	v_add_u32_e32 v10, 4, v10
	v_addc_co_u32_e32 v9, vcc, v1, v9, vcc
	v_lshlrev_b64 v[10:11], 2, v[10:11]
	v_add_co_u32_e32 v10, vcc, s0, v10
	v_addc_co_u32_e32 v11, vcc, v1, v11, vcc
	global_load_dword v1, v[2:3], off
	global_load_dword v12, v[4:5], off
	;; [unrolled: 1-line block ×5, first 2 shown]
	v_mbcnt_lo_u32_b32 v16, -1, 0
	v_mbcnt_hi_u32_b32 v16, -1, v16
	v_cmp_gt_u32_e64 s[0:1], 64, v0
	v_and_b32_e32 v18, 15, v16
	v_cndmask_b32_e64 v19, 64, 63, s[0:1]
	v_cmp_eq_u32_e64 s[0:1], 0, v18
	v_and_b32_e32 v20, 16, v16
	v_lshrrev_b32_e32 v17, 6, v0
	v_cmp_lt_u32_e32 vcc, 63, v0
	s_waitcnt vmcnt(3)
	v_add_f32_e32 v21, v1, v12
	s_waitcnt vmcnt(2)
	v_add_f32_e32 v21, v13, v21
	;; [unrolled: 2-line block ×4, first 2 shown]
	s_nop 1
	v_mov_b32_dpp v22, v21 row_shr:1 row_mask:0xf bank_mask:0xf
	v_add_f32_e32 v22, v21, v22
	v_cndmask_b32_e64 v21, v22, v21, s[0:1]
	v_cmp_lt_u32_e64 s[0:1], 1, v18
	s_nop 0
	v_mov_b32_dpp v22, v21 row_shr:2 row_mask:0xf bank_mask:0xf
	v_add_f32_e32 v22, v21, v22
	v_cndmask_b32_e64 v21, v21, v22, s[0:1]
	v_cmp_lt_u32_e64 s[0:1], 3, v18
	;; [unrolled: 5-line block ×3, first 2 shown]
	s_nop 0
	v_mov_b32_dpp v22, v21 row_shr:8 row_mask:0xf bank_mask:0xf
	v_add_f32_e32 v22, v21, v22
	v_cndmask_b32_e64 v18, v21, v22, s[0:1]
	v_cmp_eq_u32_e64 s[0:1], 0, v20
	s_nop 0
	v_mov_b32_dpp v21, v18 row_bcast:15 row_mask:0xf bank_mask:0xf
	v_add_f32_e32 v21, v18, v21
	v_cndmask_b32_e64 v18, v21, v18, s[0:1]
	v_cmp_lt_u32_e64 s[0:1], 31, v16
	s_nop 0
	v_mov_b32_dpp v20, v18 row_bcast:31 row_mask:0xf bank_mask:0xf
	v_add_f32_e32 v20, v18, v20
	v_cndmask_b32_e64 v18, v18, v20, s[0:1]
	v_cmp_eq_u32_e64 s[0:1], v19, v0
	s_and_saveexec_b64 s[2:3], s[0:1]
	s_cbranch_execz .LBB182_2
; %bb.1:
	v_lshlrev_b32_e32 v19, 2, v17
	ds_write_b32 v19, v18
.LBB182_2:
	s_or_b64 exec, exec, s[2:3]
	v_cmp_gt_u32_e64 s[0:1], 2, v0
	s_waitcnt lgkmcnt(0)
	s_barrier
	s_and_saveexec_b64 s[2:3], s[0:1]
	s_cbranch_execz .LBB182_4
; %bb.3:
	v_lshlrev_b32_e32 v19, 2, v0
	ds_read_b32 v20, v19
	v_and_b32_e32 v21, 1, v16
	v_cmp_eq_u32_e64 s[0:1], 0, v21
	s_waitcnt lgkmcnt(0)
	v_mov_b32_dpp v22, v20 row_shr:1 row_mask:0xf bank_mask:0xf
	v_add_f32_e32 v22, v20, v22
	v_cndmask_b32_e64 v20, v22, v20, s[0:1]
	ds_write_b32 v19, v20
.LBB182_4:
	s_or_b64 exec, exec, s[2:3]
	s_waitcnt lgkmcnt(0)
	s_barrier
	s_waitcnt lgkmcnt(0)
                                        ; implicit-def: $vgpr19
	s_and_saveexec_b64 s[0:1], vcc
	s_cbranch_execz .LBB182_6
; %bb.5:
	v_lshl_add_u32 v17, v17, 2, -4
	ds_read_b32 v19, v17
	s_waitcnt lgkmcnt(0)
	v_add_f32_e32 v18, v18, v19
.LBB182_6:
	s_or_b64 exec, exec, s[0:1]
	v_add_u32_e32 v17, -1, v16
	v_and_b32_e32 v20, 64, v16
	v_cmp_lt_i32_e32 vcc, v17, v20
	v_cndmask_b32_e32 v17, v17, v16, vcc
	v_lshlrev_b32_e32 v17, 2, v17
	ds_bpermute_b32 v17, v17, v18
	v_cmp_eq_u32_e32 vcc, 0, v16
	s_waitcnt lgkmcnt(0)
	v_cndmask_b32_e32 v16, v17, v19, vcc
	v_add_f32_e32 v16, v1, v16
	v_cmp_eq_u32_e32 vcc, 0, v0
	v_cndmask_b32_e32 v0, v16, v1, vcc
	v_add_f32_e32 v1, v12, v0
	v_add_f32_e32 v12, v13, v1
	;; [unrolled: 1-line block ×4, first 2 shown]
	global_store_dword v[2:3], v0, off
	global_store_dword v[4:5], v1, off
	;; [unrolled: 1-line block ×5, first 2 shown]
	s_endpgm
	.section	.rodata,"a",@progbits
	.p2align	6, 0x0
	.amdhsa_kernel _Z27inclusive_scan_array_kernelILj65ELj5ELN6hipcub18BlockScanAlgorithmE0EfEvPT2_
		.amdhsa_group_segment_fixed_size 8
		.amdhsa_private_segment_fixed_size 0
		.amdhsa_kernarg_size 8
		.amdhsa_user_sgpr_count 6
		.amdhsa_user_sgpr_private_segment_buffer 1
		.amdhsa_user_sgpr_dispatch_ptr 0
		.amdhsa_user_sgpr_queue_ptr 0
		.amdhsa_user_sgpr_kernarg_segment_ptr 1
		.amdhsa_user_sgpr_dispatch_id 0
		.amdhsa_user_sgpr_flat_scratch_init 0
		.amdhsa_user_sgpr_kernarg_preload_length 0
		.amdhsa_user_sgpr_kernarg_preload_offset 0
		.amdhsa_user_sgpr_private_segment_size 0
		.amdhsa_uses_dynamic_stack 0
		.amdhsa_system_sgpr_private_segment_wavefront_offset 0
		.amdhsa_system_sgpr_workgroup_id_x 1
		.amdhsa_system_sgpr_workgroup_id_y 0
		.amdhsa_system_sgpr_workgroup_id_z 0
		.amdhsa_system_sgpr_workgroup_info 0
		.amdhsa_system_vgpr_workitem_id 0
		.amdhsa_next_free_vgpr 23
		.amdhsa_next_free_sgpr 7
		.amdhsa_accum_offset 24
		.amdhsa_reserve_vcc 1
		.amdhsa_reserve_flat_scratch 0
		.amdhsa_float_round_mode_32 0
		.amdhsa_float_round_mode_16_64 0
		.amdhsa_float_denorm_mode_32 3
		.amdhsa_float_denorm_mode_16_64 3
		.amdhsa_dx10_clamp 1
		.amdhsa_ieee_mode 1
		.amdhsa_fp16_overflow 0
		.amdhsa_tg_split 0
		.amdhsa_exception_fp_ieee_invalid_op 0
		.amdhsa_exception_fp_denorm_src 0
		.amdhsa_exception_fp_ieee_div_zero 0
		.amdhsa_exception_fp_ieee_overflow 0
		.amdhsa_exception_fp_ieee_underflow 0
		.amdhsa_exception_fp_ieee_inexact 0
		.amdhsa_exception_int_div_zero 0
	.end_amdhsa_kernel
	.section	.text._Z27inclusive_scan_array_kernelILj65ELj5ELN6hipcub18BlockScanAlgorithmE0EfEvPT2_,"axG",@progbits,_Z27inclusive_scan_array_kernelILj65ELj5ELN6hipcub18BlockScanAlgorithmE0EfEvPT2_,comdat
.Lfunc_end182:
	.size	_Z27inclusive_scan_array_kernelILj65ELj5ELN6hipcub18BlockScanAlgorithmE0EfEvPT2_, .Lfunc_end182-_Z27inclusive_scan_array_kernelILj65ELj5ELN6hipcub18BlockScanAlgorithmE0EfEvPT2_
                                        ; -- End function
	.section	.AMDGPU.csdata,"",@progbits
; Kernel info:
; codeLenInByte = 732
; NumSgprs: 11
; NumVgprs: 23
; NumAgprs: 0
; TotalNumVgprs: 23
; ScratchSize: 0
; MemoryBound: 0
; FloatMode: 240
; IeeeMode: 1
; LDSByteSize: 8 bytes/workgroup (compile time only)
; SGPRBlocks: 1
; VGPRBlocks: 2
; NumSGPRsForWavesPerEU: 11
; NumVGPRsForWavesPerEU: 23
; AccumOffset: 24
; Occupancy: 8
; WaveLimiterHint : 0
; COMPUTE_PGM_RSRC2:SCRATCH_EN: 0
; COMPUTE_PGM_RSRC2:USER_SGPR: 6
; COMPUTE_PGM_RSRC2:TRAP_HANDLER: 0
; COMPUTE_PGM_RSRC2:TGID_X_EN: 1
; COMPUTE_PGM_RSRC2:TGID_Y_EN: 0
; COMPUTE_PGM_RSRC2:TGID_Z_EN: 0
; COMPUTE_PGM_RSRC2:TIDIG_COMP_CNT: 0
; COMPUTE_PGM_RSRC3_GFX90A:ACCUM_OFFSET: 5
; COMPUTE_PGM_RSRC3_GFX90A:TG_SPLIT: 0
	.section	.text._Z27inclusive_scan_array_kernelILj37ELj2ELN6hipcub18BlockScanAlgorithmE0EfEvPT2_,"axG",@progbits,_Z27inclusive_scan_array_kernelILj37ELj2ELN6hipcub18BlockScanAlgorithmE0EfEvPT2_,comdat
	.protected	_Z27inclusive_scan_array_kernelILj37ELj2ELN6hipcub18BlockScanAlgorithmE0EfEvPT2_ ; -- Begin function _Z27inclusive_scan_array_kernelILj37ELj2ELN6hipcub18BlockScanAlgorithmE0EfEvPT2_
	.globl	_Z27inclusive_scan_array_kernelILj37ELj2ELN6hipcub18BlockScanAlgorithmE0EfEvPT2_
	.p2align	8
	.type	_Z27inclusive_scan_array_kernelILj37ELj2ELN6hipcub18BlockScanAlgorithmE0EfEvPT2_,@function
_Z27inclusive_scan_array_kernelILj37ELj2ELN6hipcub18BlockScanAlgorithmE0EfEvPT2_: ; @_Z27inclusive_scan_array_kernelILj37ELj2ELN6hipcub18BlockScanAlgorithmE0EfEvPT2_
; %bb.0:
	s_load_dwordx2 s[0:1], s[4:5], 0x0
	s_mul_i32 s6, s6, 37
	v_add_lshl_u32 v6, s6, v0, 1
	v_mov_b32_e32 v7, 0
	v_lshlrev_b64 v[2:3], 2, v[6:7]
	s_waitcnt lgkmcnt(0)
	v_mov_b32_e32 v1, s1
	v_add_co_u32_e32 v2, vcc, s0, v2
	v_addc_co_u32_e32 v3, vcc, v1, v3, vcc
	global_load_dwordx2 v[4:5], v[2:3], off
	v_mbcnt_lo_u32_b32 v1, -1, 0
	v_mbcnt_hi_u32_b32 v1, -1, v1
	v_and_b32_e32 v6, 15, v1
	v_cmp_eq_u32_e32 vcc, 0, v6
	v_and_b32_e32 v8, 16, v1
	s_waitcnt vmcnt(0)
	v_add_f32_e32 v9, v4, v5
	s_nop 1
	v_mov_b32_dpp v10, v9 row_shr:1 row_mask:0xf bank_mask:0xf
	v_add_f32_e32 v10, v9, v10
	v_cndmask_b32_e32 v9, v10, v9, vcc
	v_cmp_lt_u32_e32 vcc, 1, v6
	s_nop 0
	v_mov_b32_dpp v10, v9 row_shr:2 row_mask:0xf bank_mask:0xf
	v_add_f32_e32 v10, v9, v10
	v_cndmask_b32_e32 v9, v9, v10, vcc
	v_cmp_lt_u32_e32 vcc, 3, v6
	s_nop 0
	v_mov_b32_dpp v10, v9 row_shr:4 row_mask:0xf bank_mask:0xf
	v_add_f32_e32 v10, v9, v10
	v_cndmask_b32_e32 v9, v9, v10, vcc
	v_cmp_lt_u32_e32 vcc, 7, v6
	s_nop 0
	v_mov_b32_dpp v10, v9 row_shr:8 row_mask:0xf bank_mask:0xf
	v_add_f32_e32 v10, v9, v10
	v_cndmask_b32_e32 v6, v9, v10, vcc
	v_cmp_eq_u32_e32 vcc, 0, v8
	s_nop 0
	v_mov_b32_dpp v9, v6 row_bcast:15 row_mask:0xf bank_mask:0xf
	v_add_f32_e32 v9, v6, v9
	v_cndmask_b32_e32 v6, v9, v6, vcc
	v_cmp_lt_u32_e32 vcc, 31, v1
	s_nop 0
	v_mov_b32_dpp v8, v6 row_bcast:31 row_mask:0xf bank_mask:0xf
	v_add_f32_e32 v8, v6, v8
	v_cndmask_b32_e32 v6, v6, v8, vcc
	v_cmp_eq_u32_e32 vcc, 36, v0
	s_and_saveexec_b64 s[0:1], vcc
	s_cbranch_execz .LBB183_2
; %bb.1:
	ds_write_b32 v7, v6
.LBB183_2:
	s_or_b64 exec, exec, s[0:1]
	v_add_u32_e32 v7, -1, v1
	v_and_b32_e32 v8, 64, v1
	v_cmp_lt_i32_e32 vcc, v7, v8
	v_cndmask_b32_e32 v1, v7, v1, vcc
	v_lshlrev_b32_e32 v1, 2, v1
	ds_bpermute_b32 v1, v1, v6
	v_cmp_eq_u32_e32 vcc, 0, v0
	s_waitcnt lgkmcnt(0)
	; wave barrier
	s_waitcnt lgkmcnt(0)
	v_add_f32_e32 v1, v4, v1
	v_cndmask_b32_e32 v0, v1, v4, vcc
	v_add_f32_e32 v1, v5, v0
	global_store_dwordx2 v[2:3], v[0:1], off
	s_endpgm
	.section	.rodata,"a",@progbits
	.p2align	6, 0x0
	.amdhsa_kernel _Z27inclusive_scan_array_kernelILj37ELj2ELN6hipcub18BlockScanAlgorithmE0EfEvPT2_
		.amdhsa_group_segment_fixed_size 4
		.amdhsa_private_segment_fixed_size 0
		.amdhsa_kernarg_size 8
		.amdhsa_user_sgpr_count 6
		.amdhsa_user_sgpr_private_segment_buffer 1
		.amdhsa_user_sgpr_dispatch_ptr 0
		.amdhsa_user_sgpr_queue_ptr 0
		.amdhsa_user_sgpr_kernarg_segment_ptr 1
		.amdhsa_user_sgpr_dispatch_id 0
		.amdhsa_user_sgpr_flat_scratch_init 0
		.amdhsa_user_sgpr_kernarg_preload_length 0
		.amdhsa_user_sgpr_kernarg_preload_offset 0
		.amdhsa_user_sgpr_private_segment_size 0
		.amdhsa_uses_dynamic_stack 0
		.amdhsa_system_sgpr_private_segment_wavefront_offset 0
		.amdhsa_system_sgpr_workgroup_id_x 1
		.amdhsa_system_sgpr_workgroup_id_y 0
		.amdhsa_system_sgpr_workgroup_id_z 0
		.amdhsa_system_sgpr_workgroup_info 0
		.amdhsa_system_vgpr_workitem_id 0
		.amdhsa_next_free_vgpr 11
		.amdhsa_next_free_sgpr 7
		.amdhsa_accum_offset 12
		.amdhsa_reserve_vcc 1
		.amdhsa_reserve_flat_scratch 0
		.amdhsa_float_round_mode_32 0
		.amdhsa_float_round_mode_16_64 0
		.amdhsa_float_denorm_mode_32 3
		.amdhsa_float_denorm_mode_16_64 3
		.amdhsa_dx10_clamp 1
		.amdhsa_ieee_mode 1
		.amdhsa_fp16_overflow 0
		.amdhsa_tg_split 0
		.amdhsa_exception_fp_ieee_invalid_op 0
		.amdhsa_exception_fp_denorm_src 0
		.amdhsa_exception_fp_ieee_div_zero 0
		.amdhsa_exception_fp_ieee_overflow 0
		.amdhsa_exception_fp_ieee_underflow 0
		.amdhsa_exception_fp_ieee_inexact 0
		.amdhsa_exception_int_div_zero 0
	.end_amdhsa_kernel
	.section	.text._Z27inclusive_scan_array_kernelILj37ELj2ELN6hipcub18BlockScanAlgorithmE0EfEvPT2_,"axG",@progbits,_Z27inclusive_scan_array_kernelILj37ELj2ELN6hipcub18BlockScanAlgorithmE0EfEvPT2_,comdat
.Lfunc_end183:
	.size	_Z27inclusive_scan_array_kernelILj37ELj2ELN6hipcub18BlockScanAlgorithmE0EfEvPT2_, .Lfunc_end183-_Z27inclusive_scan_array_kernelILj37ELj2ELN6hipcub18BlockScanAlgorithmE0EfEvPT2_
                                        ; -- End function
	.section	.AMDGPU.csdata,"",@progbits
; Kernel info:
; codeLenInByte = 320
; NumSgprs: 11
; NumVgprs: 11
; NumAgprs: 0
; TotalNumVgprs: 11
; ScratchSize: 0
; MemoryBound: 0
; FloatMode: 240
; IeeeMode: 1
; LDSByteSize: 4 bytes/workgroup (compile time only)
; SGPRBlocks: 1
; VGPRBlocks: 1
; NumSGPRsForWavesPerEU: 11
; NumVGPRsForWavesPerEU: 11
; AccumOffset: 12
; Occupancy: 8
; WaveLimiterHint : 0
; COMPUTE_PGM_RSRC2:SCRATCH_EN: 0
; COMPUTE_PGM_RSRC2:USER_SGPR: 6
; COMPUTE_PGM_RSRC2:TRAP_HANDLER: 0
; COMPUTE_PGM_RSRC2:TGID_X_EN: 1
; COMPUTE_PGM_RSRC2:TGID_Y_EN: 0
; COMPUTE_PGM_RSRC2:TGID_Z_EN: 0
; COMPUTE_PGM_RSRC2:TIDIG_COMP_CNT: 0
; COMPUTE_PGM_RSRC3_GFX90A:ACCUM_OFFSET: 2
; COMPUTE_PGM_RSRC3_GFX90A:TG_SPLIT: 0
	.section	.text._Z27inclusive_scan_array_kernelILj512ELj4ELN6hipcub18BlockScanAlgorithmE0EiEvPT2_,"axG",@progbits,_Z27inclusive_scan_array_kernelILj512ELj4ELN6hipcub18BlockScanAlgorithmE0EiEvPT2_,comdat
	.protected	_Z27inclusive_scan_array_kernelILj512ELj4ELN6hipcub18BlockScanAlgorithmE0EiEvPT2_ ; -- Begin function _Z27inclusive_scan_array_kernelILj512ELj4ELN6hipcub18BlockScanAlgorithmE0EiEvPT2_
	.globl	_Z27inclusive_scan_array_kernelILj512ELj4ELN6hipcub18BlockScanAlgorithmE0EiEvPT2_
	.p2align	8
	.type	_Z27inclusive_scan_array_kernelILj512ELj4ELN6hipcub18BlockScanAlgorithmE0EiEvPT2_,@function
_Z27inclusive_scan_array_kernelILj512ELj4ELN6hipcub18BlockScanAlgorithmE0EiEvPT2_: ; @_Z27inclusive_scan_array_kernelILj512ELj4ELN6hipcub18BlockScanAlgorithmE0EiEvPT2_
; %bb.0:
	s_load_dwordx2 s[0:1], s[4:5], 0x0
	v_lshlrev_b32_e32 v8, 2, v0
	v_lshl_or_b32 v2, s6, 11, v8
	v_mov_b32_e32 v3, 0
	v_lshlrev_b64 v[2:3], 2, v[2:3]
	s_waitcnt lgkmcnt(0)
	v_mov_b32_e32 v1, s1
	v_add_co_u32_e32 v6, vcc, s0, v2
	v_addc_co_u32_e32 v7, vcc, v1, v3, vcc
	global_load_dwordx4 v[2:5], v[6:7], off
	v_mbcnt_lo_u32_b32 v1, -1, 0
	v_mbcnt_hi_u32_b32 v1, -1, v1
	v_and_b32_e32 v10, 15, v1
	v_cmp_ne_u32_e32 vcc, 0, v10
	v_bfe_i32 v12, v1, 4, 1
	v_or_b32_e32 v11, 63, v0
	v_lshrrev_b32_e32 v9, 6, v0
	s_waitcnt vmcnt(0)
	v_add_u32_e32 v13, v3, v2
	v_add3_u32 v13, v13, v4, v5
	s_nop 1
	v_mov_b32_dpp v14, v13 row_shr:1 row_mask:0xf bank_mask:0xf
	v_cndmask_b32_e32 v14, 0, v14, vcc
	v_add_u32_e32 v13, v14, v13
	v_cmp_lt_u32_e32 vcc, 1, v10
	s_nop 0
	v_mov_b32_dpp v14, v13 row_shr:2 row_mask:0xf bank_mask:0xf
	v_cndmask_b32_e32 v14, 0, v14, vcc
	v_add_u32_e32 v13, v13, v14
	v_cmp_lt_u32_e32 vcc, 3, v10
	;; [unrolled: 5-line block ×4, first 2 shown]
	s_nop 0
	v_mov_b32_dpp v13, v10 row_bcast:15 row_mask:0xf bank_mask:0xf
	v_and_b32_e32 v12, v12, v13
	v_add_u32_e32 v10, v10, v12
	s_nop 1
	v_mov_b32_dpp v12, v10 row_bcast:31 row_mask:0xf bank_mask:0xf
	v_cndmask_b32_e32 v12, 0, v12, vcc
	v_add_u32_e32 v10, v10, v12
	v_cmp_eq_u32_e32 vcc, v11, v0
	s_and_saveexec_b64 s[0:1], vcc
	s_cbranch_execz .LBB184_2
; %bb.1:
	v_lshlrev_b32_e32 v11, 2, v9
	ds_write_b32 v11, v10
.LBB184_2:
	s_or_b64 exec, exec, s[0:1]
	v_cmp_gt_u32_e32 vcc, 8, v0
	s_waitcnt lgkmcnt(0)
	s_barrier
	s_and_saveexec_b64 s[0:1], vcc
	s_cbranch_execz .LBB184_4
; %bb.3:
	ds_read_b32 v11, v8
	v_and_b32_e32 v12, 7, v1
	v_cmp_ne_u32_e32 vcc, 0, v12
	s_waitcnt lgkmcnt(0)
	v_mov_b32_dpp v13, v11 row_shr:1 row_mask:0xf bank_mask:0xf
	v_cndmask_b32_e32 v13, 0, v13, vcc
	v_add_u32_e32 v11, v13, v11
	v_cmp_lt_u32_e32 vcc, 1, v12
	s_nop 0
	v_mov_b32_dpp v13, v11 row_shr:2 row_mask:0xf bank_mask:0xf
	v_cndmask_b32_e32 v13, 0, v13, vcc
	v_add_u32_e32 v11, v11, v13
	v_cmp_lt_u32_e32 vcc, 3, v12
	s_nop 0
	v_mov_b32_dpp v13, v11 row_shr:4 row_mask:0xf bank_mask:0xf
	v_cndmask_b32_e32 v12, 0, v13, vcc
	v_add_u32_e32 v11, v11, v12
	ds_write_b32 v8, v11
.LBB184_4:
	s_or_b64 exec, exec, s[0:1]
	v_cmp_lt_u32_e32 vcc, 63, v0
	s_waitcnt lgkmcnt(0)
	s_barrier
	s_waitcnt lgkmcnt(0)
                                        ; implicit-def: $vgpr8
	s_and_saveexec_b64 s[0:1], vcc
	s_cbranch_execz .LBB184_6
; %bb.5:
	v_lshl_add_u32 v8, v9, 2, -4
	ds_read_b32 v8, v8
	s_waitcnt lgkmcnt(0)
	v_add_u32_e32 v10, v8, v10
.LBB184_6:
	s_or_b64 exec, exec, s[0:1]
	v_add_u32_e32 v9, -1, v1
	v_and_b32_e32 v11, 64, v1
	v_cmp_lt_i32_e32 vcc, v9, v11
	v_cndmask_b32_e32 v9, v9, v1, vcc
	v_lshlrev_b32_e32 v9, 2, v9
	ds_bpermute_b32 v9, v9, v10
	v_cmp_eq_u32_e32 vcc, 0, v1
	s_waitcnt lgkmcnt(0)
	v_cndmask_b32_e32 v1, v9, v8, vcc
	v_cmp_ne_u32_e32 vcc, 0, v0
	v_cndmask_b32_e32 v0, 0, v1, vcc
	v_add_u32_e32 v0, v0, v2
	v_add_u32_e32 v1, v0, v3
	;; [unrolled: 1-line block ×4, first 2 shown]
	global_store_dwordx4 v[6:7], v[0:3], off
	s_endpgm
	.section	.rodata,"a",@progbits
	.p2align	6, 0x0
	.amdhsa_kernel _Z27inclusive_scan_array_kernelILj512ELj4ELN6hipcub18BlockScanAlgorithmE0EiEvPT2_
		.amdhsa_group_segment_fixed_size 32
		.amdhsa_private_segment_fixed_size 0
		.amdhsa_kernarg_size 8
		.amdhsa_user_sgpr_count 6
		.amdhsa_user_sgpr_private_segment_buffer 1
		.amdhsa_user_sgpr_dispatch_ptr 0
		.amdhsa_user_sgpr_queue_ptr 0
		.amdhsa_user_sgpr_kernarg_segment_ptr 1
		.amdhsa_user_sgpr_dispatch_id 0
		.amdhsa_user_sgpr_flat_scratch_init 0
		.amdhsa_user_sgpr_kernarg_preload_length 0
		.amdhsa_user_sgpr_kernarg_preload_offset 0
		.amdhsa_user_sgpr_private_segment_size 0
		.amdhsa_uses_dynamic_stack 0
		.amdhsa_system_sgpr_private_segment_wavefront_offset 0
		.amdhsa_system_sgpr_workgroup_id_x 1
		.amdhsa_system_sgpr_workgroup_id_y 0
		.amdhsa_system_sgpr_workgroup_id_z 0
		.amdhsa_system_sgpr_workgroup_info 0
		.amdhsa_system_vgpr_workitem_id 0
		.amdhsa_next_free_vgpr 15
		.amdhsa_next_free_sgpr 7
		.amdhsa_accum_offset 16
		.amdhsa_reserve_vcc 1
		.amdhsa_reserve_flat_scratch 0
		.amdhsa_float_round_mode_32 0
		.amdhsa_float_round_mode_16_64 0
		.amdhsa_float_denorm_mode_32 3
		.amdhsa_float_denorm_mode_16_64 3
		.amdhsa_dx10_clamp 1
		.amdhsa_ieee_mode 1
		.amdhsa_fp16_overflow 0
		.amdhsa_tg_split 0
		.amdhsa_exception_fp_ieee_invalid_op 0
		.amdhsa_exception_fp_denorm_src 0
		.amdhsa_exception_fp_ieee_div_zero 0
		.amdhsa_exception_fp_ieee_overflow 0
		.amdhsa_exception_fp_ieee_underflow 0
		.amdhsa_exception_fp_ieee_inexact 0
		.amdhsa_exception_int_div_zero 0
	.end_amdhsa_kernel
	.section	.text._Z27inclusive_scan_array_kernelILj512ELj4ELN6hipcub18BlockScanAlgorithmE0EiEvPT2_,"axG",@progbits,_Z27inclusive_scan_array_kernelILj512ELj4ELN6hipcub18BlockScanAlgorithmE0EiEvPT2_,comdat
.Lfunc_end184:
	.size	_Z27inclusive_scan_array_kernelILj512ELj4ELN6hipcub18BlockScanAlgorithmE0EiEvPT2_, .Lfunc_end184-_Z27inclusive_scan_array_kernelILj512ELj4ELN6hipcub18BlockScanAlgorithmE0EiEvPT2_
                                        ; -- End function
	.section	.AMDGPU.csdata,"",@progbits
; Kernel info:
; codeLenInByte = 520
; NumSgprs: 11
; NumVgprs: 15
; NumAgprs: 0
; TotalNumVgprs: 15
; ScratchSize: 0
; MemoryBound: 0
; FloatMode: 240
; IeeeMode: 1
; LDSByteSize: 32 bytes/workgroup (compile time only)
; SGPRBlocks: 1
; VGPRBlocks: 1
; NumSGPRsForWavesPerEU: 11
; NumVGPRsForWavesPerEU: 15
; AccumOffset: 16
; Occupancy: 8
; WaveLimiterHint : 0
; COMPUTE_PGM_RSRC2:SCRATCH_EN: 0
; COMPUTE_PGM_RSRC2:USER_SGPR: 6
; COMPUTE_PGM_RSRC2:TRAP_HANDLER: 0
; COMPUTE_PGM_RSRC2:TGID_X_EN: 1
; COMPUTE_PGM_RSRC2:TGID_Y_EN: 0
; COMPUTE_PGM_RSRC2:TGID_Z_EN: 0
; COMPUTE_PGM_RSRC2:TIDIG_COMP_CNT: 0
; COMPUTE_PGM_RSRC3_GFX90A:ACCUM_OFFSET: 3
; COMPUTE_PGM_RSRC3_GFX90A:TG_SPLIT: 0
	.section	.text._Z27inclusive_scan_array_kernelILj256ELj3ELN6hipcub18BlockScanAlgorithmE0EjEvPT2_,"axG",@progbits,_Z27inclusive_scan_array_kernelILj256ELj3ELN6hipcub18BlockScanAlgorithmE0EjEvPT2_,comdat
	.protected	_Z27inclusive_scan_array_kernelILj256ELj3ELN6hipcub18BlockScanAlgorithmE0EjEvPT2_ ; -- Begin function _Z27inclusive_scan_array_kernelILj256ELj3ELN6hipcub18BlockScanAlgorithmE0EjEvPT2_
	.globl	_Z27inclusive_scan_array_kernelILj256ELj3ELN6hipcub18BlockScanAlgorithmE0EjEvPT2_
	.p2align	8
	.type	_Z27inclusive_scan_array_kernelILj256ELj3ELN6hipcub18BlockScanAlgorithmE0EjEvPT2_,@function
_Z27inclusive_scan_array_kernelILj256ELj3ELN6hipcub18BlockScanAlgorithmE0EjEvPT2_: ; @_Z27inclusive_scan_array_kernelILj256ELj3ELN6hipcub18BlockScanAlgorithmE0EjEvPT2_
; %bb.0:
	s_load_dwordx2 s[0:1], s[4:5], 0x0
	v_lshl_or_b32 v1, s6, 8, v0
	v_lshl_add_u32 v6, v1, 1, v1
	v_mov_b32_e32 v7, 0
	v_lshlrev_b64 v[2:3], 2, v[6:7]
	s_waitcnt lgkmcnt(0)
	v_mov_b32_e32 v1, s1
	v_add_co_u32_e32 v2, vcc, s0, v2
	v_add_u32_e32 v4, 1, v6
	v_mov_b32_e32 v5, v7
	v_addc_co_u32_e32 v3, vcc, v1, v3, vcc
	v_lshlrev_b64 v[4:5], 2, v[4:5]
	v_add_co_u32_e32 v4, vcc, s0, v4
	v_add_u32_e32 v6, 2, v6
	v_addc_co_u32_e32 v5, vcc, v1, v5, vcc
	v_lshlrev_b64 v[6:7], 2, v[6:7]
	v_add_co_u32_e32 v6, vcc, s0, v6
	v_addc_co_u32_e32 v7, vcc, v1, v7, vcc
	global_load_dword v1, v[2:3], off
	global_load_dword v8, v[4:5], off
	;; [unrolled: 1-line block ×3, first 2 shown]
	v_mbcnt_lo_u32_b32 v10, -1, 0
	v_mbcnt_hi_u32_b32 v10, -1, v10
	v_and_b32_e32 v12, 15, v10
	v_cmp_ne_u32_e32 vcc, 0, v12
	v_bfe_i32 v14, v10, 4, 1
	v_or_b32_e32 v13, 63, v0
	v_lshrrev_b32_e32 v11, 6, v0
	s_waitcnt vmcnt(0)
	v_add3_u32 v15, v8, v1, v9
	s_nop 1
	v_mov_b32_dpp v16, v15 row_shr:1 row_mask:0xf bank_mask:0xf
	v_cndmask_b32_e32 v16, 0, v16, vcc
	v_add_u32_e32 v15, v16, v15
	v_cmp_lt_u32_e32 vcc, 1, v12
	s_nop 0
	v_mov_b32_dpp v16, v15 row_shr:2 row_mask:0xf bank_mask:0xf
	v_cndmask_b32_e32 v16, 0, v16, vcc
	v_add_u32_e32 v15, v15, v16
	v_cmp_lt_u32_e32 vcc, 3, v12
	;; [unrolled: 5-line block ×4, first 2 shown]
	s_nop 0
	v_mov_b32_dpp v15, v12 row_bcast:15 row_mask:0xf bank_mask:0xf
	v_and_b32_e32 v14, v14, v15
	v_add_u32_e32 v12, v12, v14
	s_nop 1
	v_mov_b32_dpp v14, v12 row_bcast:31 row_mask:0xf bank_mask:0xf
	v_cndmask_b32_e32 v14, 0, v14, vcc
	v_add_u32_e32 v12, v12, v14
	v_cmp_eq_u32_e32 vcc, v13, v0
	s_and_saveexec_b64 s[0:1], vcc
	s_cbranch_execz .LBB185_2
; %bb.1:
	v_lshlrev_b32_e32 v13, 2, v11
	ds_write_b32 v13, v12
.LBB185_2:
	s_or_b64 exec, exec, s[0:1]
	v_cmp_gt_u32_e32 vcc, 4, v0
	s_waitcnt lgkmcnt(0)
	s_barrier
	s_and_saveexec_b64 s[0:1], vcc
	s_cbranch_execz .LBB185_4
; %bb.3:
	v_lshlrev_b32_e32 v13, 2, v0
	ds_read_b32 v14, v13
	v_and_b32_e32 v15, 3, v10
	v_cmp_ne_u32_e32 vcc, 0, v15
	s_waitcnt lgkmcnt(0)
	v_mov_b32_dpp v16, v14 row_shr:1 row_mask:0xf bank_mask:0xf
	v_cndmask_b32_e32 v16, 0, v16, vcc
	v_add_u32_e32 v14, v16, v14
	v_cmp_lt_u32_e32 vcc, 1, v15
	s_nop 0
	v_mov_b32_dpp v16, v14 row_shr:2 row_mask:0xf bank_mask:0xf
	v_cndmask_b32_e32 v15, 0, v16, vcc
	v_add_u32_e32 v14, v14, v15
	ds_write_b32 v13, v14
.LBB185_4:
	s_or_b64 exec, exec, s[0:1]
	v_cmp_lt_u32_e32 vcc, 63, v0
	s_waitcnt lgkmcnt(0)
	s_barrier
	s_waitcnt lgkmcnt(0)
                                        ; implicit-def: $vgpr13
	s_and_saveexec_b64 s[0:1], vcc
	s_cbranch_execz .LBB185_6
; %bb.5:
	v_lshl_add_u32 v11, v11, 2, -4
	ds_read_b32 v13, v11
	s_waitcnt lgkmcnt(0)
	v_add_u32_e32 v12, v13, v12
.LBB185_6:
	s_or_b64 exec, exec, s[0:1]
	v_add_u32_e32 v11, -1, v10
	v_and_b32_e32 v14, 64, v10
	v_cmp_lt_i32_e32 vcc, v11, v14
	v_cndmask_b32_e32 v11, v11, v10, vcc
	v_lshlrev_b32_e32 v11, 2, v11
	ds_bpermute_b32 v11, v11, v12
	v_cmp_eq_u32_e32 vcc, 0, v10
	s_waitcnt lgkmcnt(0)
	v_cndmask_b32_e32 v10, v11, v13, vcc
	v_cmp_ne_u32_e32 vcc, 0, v0
	v_cndmask_b32_e32 v0, 0, v10, vcc
	v_add_u32_e32 v0, v0, v1
	v_add_u32_e32 v1, v0, v8
	;; [unrolled: 1-line block ×3, first 2 shown]
	global_store_dword v[2:3], v0, off
	global_store_dword v[4:5], v1, off
	;; [unrolled: 1-line block ×3, first 2 shown]
	s_endpgm
	.section	.rodata,"a",@progbits
	.p2align	6, 0x0
	.amdhsa_kernel _Z27inclusive_scan_array_kernelILj256ELj3ELN6hipcub18BlockScanAlgorithmE0EjEvPT2_
		.amdhsa_group_segment_fixed_size 16
		.amdhsa_private_segment_fixed_size 0
		.amdhsa_kernarg_size 8
		.amdhsa_user_sgpr_count 6
		.amdhsa_user_sgpr_private_segment_buffer 1
		.amdhsa_user_sgpr_dispatch_ptr 0
		.amdhsa_user_sgpr_queue_ptr 0
		.amdhsa_user_sgpr_kernarg_segment_ptr 1
		.amdhsa_user_sgpr_dispatch_id 0
		.amdhsa_user_sgpr_flat_scratch_init 0
		.amdhsa_user_sgpr_kernarg_preload_length 0
		.amdhsa_user_sgpr_kernarg_preload_offset 0
		.amdhsa_user_sgpr_private_segment_size 0
		.amdhsa_uses_dynamic_stack 0
		.amdhsa_system_sgpr_private_segment_wavefront_offset 0
		.amdhsa_system_sgpr_workgroup_id_x 1
		.amdhsa_system_sgpr_workgroup_id_y 0
		.amdhsa_system_sgpr_workgroup_id_z 0
		.amdhsa_system_sgpr_workgroup_info 0
		.amdhsa_system_vgpr_workitem_id 0
		.amdhsa_next_free_vgpr 17
		.amdhsa_next_free_sgpr 7
		.amdhsa_accum_offset 20
		.amdhsa_reserve_vcc 1
		.amdhsa_reserve_flat_scratch 0
		.amdhsa_float_round_mode_32 0
		.amdhsa_float_round_mode_16_64 0
		.amdhsa_float_denorm_mode_32 3
		.amdhsa_float_denorm_mode_16_64 3
		.amdhsa_dx10_clamp 1
		.amdhsa_ieee_mode 1
		.amdhsa_fp16_overflow 0
		.amdhsa_tg_split 0
		.amdhsa_exception_fp_ieee_invalid_op 0
		.amdhsa_exception_fp_denorm_src 0
		.amdhsa_exception_fp_ieee_div_zero 0
		.amdhsa_exception_fp_ieee_overflow 0
		.amdhsa_exception_fp_ieee_underflow 0
		.amdhsa_exception_fp_ieee_inexact 0
		.amdhsa_exception_int_div_zero 0
	.end_amdhsa_kernel
	.section	.text._Z27inclusive_scan_array_kernelILj256ELj3ELN6hipcub18BlockScanAlgorithmE0EjEvPT2_,"axG",@progbits,_Z27inclusive_scan_array_kernelILj256ELj3ELN6hipcub18BlockScanAlgorithmE0EjEvPT2_,comdat
.Lfunc_end185:
	.size	_Z27inclusive_scan_array_kernelILj256ELj3ELN6hipcub18BlockScanAlgorithmE0EjEvPT2_, .Lfunc_end185-_Z27inclusive_scan_array_kernelILj256ELj3ELN6hipcub18BlockScanAlgorithmE0EjEvPT2_
                                        ; -- End function
	.section	.AMDGPU.csdata,"",@progbits
; Kernel info:
; codeLenInByte = 572
; NumSgprs: 11
; NumVgprs: 17
; NumAgprs: 0
; TotalNumVgprs: 17
; ScratchSize: 0
; MemoryBound: 0
; FloatMode: 240
; IeeeMode: 1
; LDSByteSize: 16 bytes/workgroup (compile time only)
; SGPRBlocks: 1
; VGPRBlocks: 2
; NumSGPRsForWavesPerEU: 11
; NumVGPRsForWavesPerEU: 17
; AccumOffset: 20
; Occupancy: 8
; WaveLimiterHint : 0
; COMPUTE_PGM_RSRC2:SCRATCH_EN: 0
; COMPUTE_PGM_RSRC2:USER_SGPR: 6
; COMPUTE_PGM_RSRC2:TRAP_HANDLER: 0
; COMPUTE_PGM_RSRC2:TGID_X_EN: 1
; COMPUTE_PGM_RSRC2:TGID_Y_EN: 0
; COMPUTE_PGM_RSRC2:TGID_Z_EN: 0
; COMPUTE_PGM_RSRC2:TIDIG_COMP_CNT: 0
; COMPUTE_PGM_RSRC3_GFX90A:ACCUM_OFFSET: 4
; COMPUTE_PGM_RSRC3_GFX90A:TG_SPLIT: 0
	.section	.text._Z27inclusive_scan_array_kernelILj32ELj2ELN6hipcub18BlockScanAlgorithmE0EfEvPT2_,"axG",@progbits,_Z27inclusive_scan_array_kernelILj32ELj2ELN6hipcub18BlockScanAlgorithmE0EfEvPT2_,comdat
	.protected	_Z27inclusive_scan_array_kernelILj32ELj2ELN6hipcub18BlockScanAlgorithmE0EfEvPT2_ ; -- Begin function _Z27inclusive_scan_array_kernelILj32ELj2ELN6hipcub18BlockScanAlgorithmE0EfEvPT2_
	.globl	_Z27inclusive_scan_array_kernelILj32ELj2ELN6hipcub18BlockScanAlgorithmE0EfEvPT2_
	.p2align	8
	.type	_Z27inclusive_scan_array_kernelILj32ELj2ELN6hipcub18BlockScanAlgorithmE0EfEvPT2_,@function
_Z27inclusive_scan_array_kernelILj32ELj2ELN6hipcub18BlockScanAlgorithmE0EfEvPT2_: ; @_Z27inclusive_scan_array_kernelILj32ELj2ELN6hipcub18BlockScanAlgorithmE0EfEvPT2_
; %bb.0:
	s_load_dwordx2 s[0:1], s[4:5], 0x0
	v_lshlrev_b32_e32 v1, 1, v0
	v_lshl_or_b32 v6, s6, 6, v1
	v_mov_b32_e32 v7, 0
	v_lshlrev_b64 v[2:3], 2, v[6:7]
	s_waitcnt lgkmcnt(0)
	v_mov_b32_e32 v1, s1
	v_add_co_u32_e32 v2, vcc, s0, v2
	v_addc_co_u32_e32 v3, vcc, v1, v3, vcc
	global_load_dwordx2 v[4:5], v[2:3], off
	v_mbcnt_lo_u32_b32 v1, -1, 0
	v_mbcnt_hi_u32_b32 v1, -1, v1
	v_and_b32_e32 v6, 15, v1
	v_cmp_eq_u32_e32 vcc, 0, v6
	v_and_b32_e32 v8, 16, v1
	s_waitcnt vmcnt(0)
	v_add_f32_e32 v9, v4, v5
	s_nop 1
	v_mov_b32_dpp v10, v9 row_shr:1 row_mask:0xf bank_mask:0xf
	v_add_f32_e32 v10, v9, v10
	v_cndmask_b32_e32 v9, v10, v9, vcc
	v_cmp_lt_u32_e32 vcc, 1, v6
	s_nop 0
	v_mov_b32_dpp v10, v9 row_shr:2 row_mask:0xf bank_mask:0xf
	v_add_f32_e32 v10, v9, v10
	v_cndmask_b32_e32 v9, v9, v10, vcc
	v_cmp_lt_u32_e32 vcc, 3, v6
	;; [unrolled: 5-line block ×3, first 2 shown]
	s_nop 0
	v_mov_b32_dpp v10, v9 row_shr:8 row_mask:0xf bank_mask:0xf
	v_add_f32_e32 v10, v9, v10
	v_cndmask_b32_e32 v6, v9, v10, vcc
	v_cmp_eq_u32_e32 vcc, 0, v8
	s_nop 0
	v_mov_b32_dpp v9, v6 row_bcast:15 row_mask:0xf bank_mask:0xf
	v_add_f32_e32 v9, v6, v9
	v_cndmask_b32_e32 v6, v9, v6, vcc
	v_cmp_eq_u32_e32 vcc, 31, v0
	s_and_saveexec_b64 s[0:1], vcc
	s_cbranch_execz .LBB186_2
; %bb.1:
	ds_write_b32 v7, v6
.LBB186_2:
	s_or_b64 exec, exec, s[0:1]
	v_add_u32_e32 v7, -1, v1
	v_and_b32_e32 v8, 0x60, v1
	v_cmp_lt_i32_e32 vcc, v7, v8
	v_cndmask_b32_e32 v1, v7, v1, vcc
	v_lshlrev_b32_e32 v1, 2, v1
	ds_bpermute_b32 v1, v1, v6
	v_cmp_eq_u32_e32 vcc, 0, v0
	s_waitcnt lgkmcnt(0)
	; wave barrier
	s_waitcnt lgkmcnt(0)
	v_add_f32_e32 v1, v4, v1
	v_cndmask_b32_e32 v0, v1, v4, vcc
	v_add_f32_e32 v1, v5, v0
	global_store_dwordx2 v[2:3], v[0:1], off
	s_endpgm
	.section	.rodata,"a",@progbits
	.p2align	6, 0x0
	.amdhsa_kernel _Z27inclusive_scan_array_kernelILj32ELj2ELN6hipcub18BlockScanAlgorithmE0EfEvPT2_
		.amdhsa_group_segment_fixed_size 4
		.amdhsa_private_segment_fixed_size 0
		.amdhsa_kernarg_size 8
		.amdhsa_user_sgpr_count 6
		.amdhsa_user_sgpr_private_segment_buffer 1
		.amdhsa_user_sgpr_dispatch_ptr 0
		.amdhsa_user_sgpr_queue_ptr 0
		.amdhsa_user_sgpr_kernarg_segment_ptr 1
		.amdhsa_user_sgpr_dispatch_id 0
		.amdhsa_user_sgpr_flat_scratch_init 0
		.amdhsa_user_sgpr_kernarg_preload_length 0
		.amdhsa_user_sgpr_kernarg_preload_offset 0
		.amdhsa_user_sgpr_private_segment_size 0
		.amdhsa_uses_dynamic_stack 0
		.amdhsa_system_sgpr_private_segment_wavefront_offset 0
		.amdhsa_system_sgpr_workgroup_id_x 1
		.amdhsa_system_sgpr_workgroup_id_y 0
		.amdhsa_system_sgpr_workgroup_id_z 0
		.amdhsa_system_sgpr_workgroup_info 0
		.amdhsa_system_vgpr_workitem_id 0
		.amdhsa_next_free_vgpr 11
		.amdhsa_next_free_sgpr 7
		.amdhsa_accum_offset 12
		.amdhsa_reserve_vcc 1
		.amdhsa_reserve_flat_scratch 0
		.amdhsa_float_round_mode_32 0
		.amdhsa_float_round_mode_16_64 0
		.amdhsa_float_denorm_mode_32 3
		.amdhsa_float_denorm_mode_16_64 3
		.amdhsa_dx10_clamp 1
		.amdhsa_ieee_mode 1
		.amdhsa_fp16_overflow 0
		.amdhsa_tg_split 0
		.amdhsa_exception_fp_ieee_invalid_op 0
		.amdhsa_exception_fp_denorm_src 0
		.amdhsa_exception_fp_ieee_div_zero 0
		.amdhsa_exception_fp_ieee_overflow 0
		.amdhsa_exception_fp_ieee_underflow 0
		.amdhsa_exception_fp_ieee_inexact 0
		.amdhsa_exception_int_div_zero 0
	.end_amdhsa_kernel
	.section	.text._Z27inclusive_scan_array_kernelILj32ELj2ELN6hipcub18BlockScanAlgorithmE0EfEvPT2_,"axG",@progbits,_Z27inclusive_scan_array_kernelILj32ELj2ELN6hipcub18BlockScanAlgorithmE0EfEvPT2_,comdat
.Lfunc_end186:
	.size	_Z27inclusive_scan_array_kernelILj32ELj2ELN6hipcub18BlockScanAlgorithmE0EfEvPT2_, .Lfunc_end186-_Z27inclusive_scan_array_kernelILj32ELj2ELN6hipcub18BlockScanAlgorithmE0EfEvPT2_
                                        ; -- End function
	.section	.AMDGPU.csdata,"",@progbits
; Kernel info:
; codeLenInByte = 300
; NumSgprs: 11
; NumVgprs: 11
; NumAgprs: 0
; TotalNumVgprs: 11
; ScratchSize: 0
; MemoryBound: 0
; FloatMode: 240
; IeeeMode: 1
; LDSByteSize: 4 bytes/workgroup (compile time only)
; SGPRBlocks: 1
; VGPRBlocks: 1
; NumSGPRsForWavesPerEU: 11
; NumVGPRsForWavesPerEU: 11
; AccumOffset: 12
; Occupancy: 8
; WaveLimiterHint : 0
; COMPUTE_PGM_RSRC2:SCRATCH_EN: 0
; COMPUTE_PGM_RSRC2:USER_SGPR: 6
; COMPUTE_PGM_RSRC2:TRAP_HANDLER: 0
; COMPUTE_PGM_RSRC2:TGID_X_EN: 1
; COMPUTE_PGM_RSRC2:TGID_Y_EN: 0
; COMPUTE_PGM_RSRC2:TGID_Z_EN: 0
; COMPUTE_PGM_RSRC2:TIDIG_COMP_CNT: 0
; COMPUTE_PGM_RSRC3_GFX90A:ACCUM_OFFSET: 2
; COMPUTE_PGM_RSRC3_GFX90A:TG_SPLIT: 0
	.section	.text._Z27inclusive_scan_array_kernelILj6ELj32ELN6hipcub18BlockScanAlgorithmE0EfEvPT2_,"axG",@progbits,_Z27inclusive_scan_array_kernelILj6ELj32ELN6hipcub18BlockScanAlgorithmE0EfEvPT2_,comdat
	.protected	_Z27inclusive_scan_array_kernelILj6ELj32ELN6hipcub18BlockScanAlgorithmE0EfEvPT2_ ; -- Begin function _Z27inclusive_scan_array_kernelILj6ELj32ELN6hipcub18BlockScanAlgorithmE0EfEvPT2_
	.globl	_Z27inclusive_scan_array_kernelILj6ELj32ELN6hipcub18BlockScanAlgorithmE0EfEvPT2_
	.p2align	8
	.type	_Z27inclusive_scan_array_kernelILj6ELj32ELN6hipcub18BlockScanAlgorithmE0EfEvPT2_,@function
_Z27inclusive_scan_array_kernelILj6ELj32ELN6hipcub18BlockScanAlgorithmE0EfEvPT2_: ; @_Z27inclusive_scan_array_kernelILj6ELj32ELN6hipcub18BlockScanAlgorithmE0EfEvPT2_
; %bb.0:
	s_load_dwordx2 s[0:1], s[4:5], 0x0
	s_mul_i32 s6, s6, 6
	v_add_lshl_u32 v36, s6, v0, 5
	v_mov_b32_e32 v37, 0
	v_lshlrev_b64 v[2:3], 2, v[36:37]
	s_waitcnt lgkmcnt(0)
	v_mov_b32_e32 v1, s1
	v_add_co_u32_e32 v34, vcc, s0, v2
	v_addc_co_u32_e32 v35, vcc, v1, v3, vcc
	global_load_dwordx4 v[30:33], v[34:35], off
	global_load_dwordx4 v[26:29], v[34:35], off offset:16
	global_load_dwordx4 v[22:25], v[34:35], off offset:32
	;; [unrolled: 1-line block ×7, first 2 shown]
	v_mbcnt_lo_u32_b32 v1, -1, 0
	v_mbcnt_hi_u32_b32 v1, -1, v1
	v_and_b32_e32 v36, 7, v1
	v_cmp_eq_u32_e32 vcc, 0, v36
	s_waitcnt vmcnt(7)
	v_add_f32_e32 v38, v30, v31
	v_add_f32_e32 v38, v38, v32
	v_add_f32_e32 v38, v38, v33
	s_waitcnt vmcnt(6)
	v_add_f32_e32 v38, v38, v26
	v_add_f32_e32 v38, v38, v27
	v_add_f32_e32 v38, v38, v28
	v_add_f32_e32 v38, v38, v29
	s_waitcnt vmcnt(5)
	v_add_f32_e32 v38, v38, v22
	;; [unrolled: 5-line block ×7, first 2 shown]
	v_add_f32_e32 v38, v38, v3
	v_add_f32_e32 v38, v38, v4
	;; [unrolled: 1-line block ×3, first 2 shown]
	s_nop 1
	v_mov_b32_dpp v39, v38 row_shr:1 row_mask:0xf bank_mask:0xf
	v_add_f32_e32 v39, v38, v39
	v_cndmask_b32_e32 v38, v39, v38, vcc
	v_cmp_lt_u32_e32 vcc, 1, v36
	s_nop 0
	v_mov_b32_dpp v39, v38 row_shr:2 row_mask:0xf bank_mask:0xf
	v_add_f32_e32 v39, v38, v39
	v_cndmask_b32_e32 v38, v38, v39, vcc
	v_cmp_lt_u32_e32 vcc, 3, v36
	s_nop 0
	v_mov_b32_dpp v39, v38 row_shr:4 row_mask:0xf bank_mask:0xf
	v_add_f32_e32 v39, v38, v39
	v_cndmask_b32_e32 v36, v38, v39, vcc
	v_cmp_eq_u32_e32 vcc, 5, v0
	s_and_saveexec_b64 s[0:1], vcc
	s_cbranch_execz .LBB187_2
; %bb.1:
	ds_write_b32 v37, v36
.LBB187_2:
	s_or_b64 exec, exec, s[0:1]
	v_add_u32_e32 v37, -1, v1
	v_and_b32_e32 v38, 0x78, v1
	v_cmp_lt_i32_e32 vcc, v37, v38
	v_cndmask_b32_e32 v1, v37, v1, vcc
	v_lshlrev_b32_e32 v1, 2, v1
	ds_bpermute_b32 v1, v1, v36
	v_cmp_eq_u32_e32 vcc, 0, v0
	s_waitcnt lgkmcnt(0)
	; wave barrier
	s_waitcnt lgkmcnt(0)
	v_add_f32_e32 v1, v30, v1
	v_cndmask_b32_e32 v30, v1, v30, vcc
	v_add_f32_e32 v31, v30, v31
	v_add_f32_e32 v32, v31, v32
	;; [unrolled: 1-line block ×31, first 2 shown]
	global_store_dwordx4 v[34:35], v[30:33], off
	global_store_dwordx4 v[34:35], v[26:29], off offset:16
	global_store_dwordx4 v[34:35], v[22:25], off offset:32
	;; [unrolled: 1-line block ×7, first 2 shown]
	s_endpgm
	.section	.rodata,"a",@progbits
	.p2align	6, 0x0
	.amdhsa_kernel _Z27inclusive_scan_array_kernelILj6ELj32ELN6hipcub18BlockScanAlgorithmE0EfEvPT2_
		.amdhsa_group_segment_fixed_size 4
		.amdhsa_private_segment_fixed_size 0
		.amdhsa_kernarg_size 8
		.amdhsa_user_sgpr_count 6
		.amdhsa_user_sgpr_private_segment_buffer 1
		.amdhsa_user_sgpr_dispatch_ptr 0
		.amdhsa_user_sgpr_queue_ptr 0
		.amdhsa_user_sgpr_kernarg_segment_ptr 1
		.amdhsa_user_sgpr_dispatch_id 0
		.amdhsa_user_sgpr_flat_scratch_init 0
		.amdhsa_user_sgpr_kernarg_preload_length 0
		.amdhsa_user_sgpr_kernarg_preload_offset 0
		.amdhsa_user_sgpr_private_segment_size 0
		.amdhsa_uses_dynamic_stack 0
		.amdhsa_system_sgpr_private_segment_wavefront_offset 0
		.amdhsa_system_sgpr_workgroup_id_x 1
		.amdhsa_system_sgpr_workgroup_id_y 0
		.amdhsa_system_sgpr_workgroup_id_z 0
		.amdhsa_system_sgpr_workgroup_info 0
		.amdhsa_system_vgpr_workitem_id 0
		.amdhsa_next_free_vgpr 40
		.amdhsa_next_free_sgpr 7
		.amdhsa_accum_offset 40
		.amdhsa_reserve_vcc 1
		.amdhsa_reserve_flat_scratch 0
		.amdhsa_float_round_mode_32 0
		.amdhsa_float_round_mode_16_64 0
		.amdhsa_float_denorm_mode_32 3
		.amdhsa_float_denorm_mode_16_64 3
		.amdhsa_dx10_clamp 1
		.amdhsa_ieee_mode 1
		.amdhsa_fp16_overflow 0
		.amdhsa_tg_split 0
		.amdhsa_exception_fp_ieee_invalid_op 0
		.amdhsa_exception_fp_denorm_src 0
		.amdhsa_exception_fp_ieee_div_zero 0
		.amdhsa_exception_fp_ieee_overflow 0
		.amdhsa_exception_fp_ieee_underflow 0
		.amdhsa_exception_fp_ieee_inexact 0
		.amdhsa_exception_int_div_zero 0
	.end_amdhsa_kernel
	.section	.text._Z27inclusive_scan_array_kernelILj6ELj32ELN6hipcub18BlockScanAlgorithmE0EfEvPT2_,"axG",@progbits,_Z27inclusive_scan_array_kernelILj6ELj32ELN6hipcub18BlockScanAlgorithmE0EfEvPT2_,comdat
.Lfunc_end187:
	.size	_Z27inclusive_scan_array_kernelILj6ELj32ELN6hipcub18BlockScanAlgorithmE0EfEvPT2_, .Lfunc_end187-_Z27inclusive_scan_array_kernelILj6ELj32ELN6hipcub18BlockScanAlgorithmE0EfEvPT2_
                                        ; -- End function
	.section	.AMDGPU.csdata,"",@progbits
; Kernel info:
; codeLenInByte = 628
; NumSgprs: 11
; NumVgprs: 40
; NumAgprs: 0
; TotalNumVgprs: 40
; ScratchSize: 0
; MemoryBound: 0
; FloatMode: 240
; IeeeMode: 1
; LDSByteSize: 4 bytes/workgroup (compile time only)
; SGPRBlocks: 1
; VGPRBlocks: 4
; NumSGPRsForWavesPerEU: 11
; NumVGPRsForWavesPerEU: 40
; AccumOffset: 40
; Occupancy: 8
; WaveLimiterHint : 0
; COMPUTE_PGM_RSRC2:SCRATCH_EN: 0
; COMPUTE_PGM_RSRC2:USER_SGPR: 6
; COMPUTE_PGM_RSRC2:TRAP_HANDLER: 0
; COMPUTE_PGM_RSRC2:TGID_X_EN: 1
; COMPUTE_PGM_RSRC2:TGID_Y_EN: 0
; COMPUTE_PGM_RSRC2:TGID_Z_EN: 0
; COMPUTE_PGM_RSRC2:TIDIG_COMP_CNT: 0
; COMPUTE_PGM_RSRC3_GFX90A:ACCUM_OFFSET: 9
; COMPUTE_PGM_RSRC3_GFX90A:TG_SPLIT: 0
	.section	.text._Z34inclusive_scan_reduce_array_kernelILj16ELj5ELN6hipcub18BlockScanAlgorithmE1E12hip_bfloat16EvPT2_S4_,"axG",@progbits,_Z34inclusive_scan_reduce_array_kernelILj16ELj5ELN6hipcub18BlockScanAlgorithmE1E12hip_bfloat16EvPT2_S4_,comdat
	.protected	_Z34inclusive_scan_reduce_array_kernelILj16ELj5ELN6hipcub18BlockScanAlgorithmE1E12hip_bfloat16EvPT2_S4_ ; -- Begin function _Z34inclusive_scan_reduce_array_kernelILj16ELj5ELN6hipcub18BlockScanAlgorithmE1E12hip_bfloat16EvPT2_S4_
	.globl	_Z34inclusive_scan_reduce_array_kernelILj16ELj5ELN6hipcub18BlockScanAlgorithmE1E12hip_bfloat16EvPT2_S4_
	.p2align	8
	.type	_Z34inclusive_scan_reduce_array_kernelILj16ELj5ELN6hipcub18BlockScanAlgorithmE1E12hip_bfloat16EvPT2_S4_,@function
_Z34inclusive_scan_reduce_array_kernelILj16ELj5ELN6hipcub18BlockScanAlgorithmE1E12hip_bfloat16EvPT2_S4_: ; @_Z34inclusive_scan_reduce_array_kernelILj16ELj5ELN6hipcub18BlockScanAlgorithmE1E12hip_bfloat16EvPT2_S4_
; %bb.0:
	s_load_dwordx4 s[0:3], s[4:5], 0x0
	v_lshl_or_b32 v1, s6, 4, v0
	v_lshl_add_u32 v8, v1, 2, v1
	v_mov_b32_e32 v9, 0
	v_lshlrev_b64 v[2:3], 1, v[8:9]
	s_waitcnt lgkmcnt(0)
	v_mov_b32_e32 v1, s1
	v_add_co_u32_e32 v2, vcc, s0, v2
	v_add_u32_e32 v4, 1, v8
	v_mov_b32_e32 v5, v9
	v_addc_co_u32_e32 v3, vcc, v1, v3, vcc
	v_lshlrev_b64 v[4:5], 1, v[4:5]
	v_mov_b32_e32 v6, s1
	v_add_co_u32_e32 v4, vcc, s0, v4
	v_addc_co_u32_e32 v5, vcc, v6, v5, vcc
	v_add_u32_e32 v6, 3, v8
	v_mov_b32_e32 v7, v9
	v_lshlrev_b64 v[6:7], 1, v[6:7]
	v_add_u32_e32 v10, 2, v8
	v_mov_b32_e32 v12, s1
	v_add_co_u32_e32 v6, vcc, s0, v6
	v_add_u32_e32 v8, 4, v8
	v_mov_b32_e32 v11, v9
	v_addc_co_u32_e32 v7, vcc, v12, v7, vcc
	v_lshlrev_b64 v[8:9], 1, v[8:9]
	v_add_co_u32_e32 v8, vcc, s0, v8
	global_load_ushort v1, v[2:3], off
	v_addc_co_u32_e32 v9, vcc, v12, v9, vcc
	global_load_ushort v16, v[6:7], off
	global_load_ushort v17, v[8:9], off
	;; [unrolled: 1-line block ×3, first 2 shown]
	v_lshlrev_b64 v[10:11], 1, v[10:11]
	v_mov_b32_e32 v13, s1
	v_add_co_u32_e32 v10, vcc, s0, v10
	v_addc_co_u32_e32 v11, vcc, v13, v11, vcc
	global_load_ushort v18, v[10:11], off
	s_mov_b32 s0, 0x7f800000
	s_waitcnt vmcnt(1)
	v_lshlrev_b32_e32 v13, 16, v12
	v_lshlrev_b32_e32 v12, 16, v1
	v_mov_b32_e32 v14, v13
	v_pk_add_f32 v[14:15], v[14:15], v[12:13] op_sel_hi:[0,1]
	v_and_b32_e32 v15, 0x7f800000, v14
	v_cmp_ne_u32_e32 vcc, s0, v15
                                        ; implicit-def: $vgpr15
	s_and_saveexec_b64 s[0:1], vcc
	s_xor_b64 s[0:1], exec, s[0:1]
; %bb.1:
	v_bfe_u32 v15, v14, 16, 1
	s_movk_i32 s4, 0x7fff
	v_add3_u32 v15, v14, v15, s4
; %bb.2:
	s_andn2_saveexec_b64 s[0:1], s[0:1]
; %bb.3:
	v_mov_b32_e32 v15, 0
	v_or_b32_e32 v19, 0x10000, v14
	v_cmp_eq_u32_sdwa vcc, v14, v15 src0_sel:WORD_0 src1_sel:DWORD
	v_cndmask_b32_e32 v15, v19, v14, vcc
; %bb.4:
	s_or_b64 exec, exec, s[0:1]
	v_and_b32_e32 v19, 0xffff0000, v15
	s_waitcnt vmcnt(0)
	v_lshlrev_b32_e32 v15, 16, v18
	v_add_f32_e32 v18, v19, v15
	s_mov_b32 s0, 0x7f800000
	v_and_b32_e32 v19, 0x7f800000, v18
	v_cmp_ne_u32_e32 vcc, s0, v19
                                        ; implicit-def: $vgpr19
	s_and_saveexec_b64 s[0:1], vcc
	s_xor_b64 s[0:1], exec, s[0:1]
; %bb.5:
	v_bfe_u32 v19, v18, 16, 1
	s_movk_i32 s4, 0x7fff
	v_add3_u32 v19, v18, v19, s4
                                        ; implicit-def: $vgpr18
; %bb.6:
	s_andn2_saveexec_b64 s[0:1], s[0:1]
; %bb.7:
	v_mov_b32_e32 v19, 0
	v_or_b32_e32 v20, 0x10000, v18
	v_cmp_eq_u32_sdwa vcc, v18, v19 src0_sel:WORD_0 src1_sel:DWORD
	v_cndmask_b32_e32 v19, v20, v18, vcc
; %bb.8:
	s_or_b64 exec, exec, s[0:1]
	v_and_b32_e32 v18, 0xffff0000, v19
	v_lshlrev_b32_e32 v16, 16, v16
	v_add_f32_e32 v18, v18, v16
	s_mov_b32 s0, 0x7f800000
	v_and_b32_e32 v19, 0x7f800000, v18
	v_cmp_ne_u32_e32 vcc, s0, v19
                                        ; implicit-def: $vgpr19
	s_and_saveexec_b64 s[0:1], vcc
	s_xor_b64 s[0:1], exec, s[0:1]
; %bb.9:
	v_bfe_u32 v19, v18, 16, 1
	s_movk_i32 s4, 0x7fff
	v_add3_u32 v19, v18, v19, s4
                                        ; implicit-def: $vgpr18
; %bb.10:
	s_andn2_saveexec_b64 s[0:1], s[0:1]
; %bb.11:
	v_mov_b32_e32 v19, 0
	v_or_b32_e32 v20, 0x10000, v18
	v_cmp_eq_u32_sdwa vcc, v18, v19 src0_sel:WORD_0 src1_sel:DWORD
	v_cndmask_b32_e32 v19, v20, v18, vcc
; %bb.12:
	s_or_b64 exec, exec, s[0:1]
	v_and_b32_e32 v18, 0xffff0000, v19
	v_lshlrev_b32_e32 v17, 16, v17
	v_add_f32_e32 v18, v18, v17
	s_mov_b32 s0, 0x7f800000
	v_and_b32_e32 v19, 0x7f800000, v18
	v_cmp_ne_u32_e32 vcc, s0, v19
                                        ; implicit-def: $vgpr19
	s_and_saveexec_b64 s[0:1], vcc
	s_xor_b64 s[0:1], exec, s[0:1]
; %bb.13:
	v_bfe_u32 v19, v18, 16, 1
	s_movk_i32 s4, 0x7fff
	v_add3_u32 v19, v18, v19, s4
                                        ; implicit-def: $vgpr18
; %bb.14:
	s_andn2_saveexec_b64 s[0:1], s[0:1]
; %bb.15:
	v_mov_b32_e32 v19, 0
	v_or_b32_e32 v20, 0x10000, v18
	v_cmp_eq_u32_sdwa vcc, v18, v19 src0_sel:WORD_0 src1_sel:DWORD
	v_cndmask_b32_e32 v19, v20, v18, vcc
; %bb.16:
	s_or_b64 exec, exec, s[0:1]
	v_lshrrev_b32_e32 v20, 16, v19
	v_and_b32_e32 v21, 0xffff0000, v19
	s_mov_b32 s0, 0x7f800000
	v_mov_b32_dpp v18, v20 row_shr:1 row_mask:0xf bank_mask:0xf
	v_lshlrev_b32_e32 v18, 16, v18
	v_add_f32_e32 v18, v21, v18
	v_and_b32_e32 v19, 0x7f800000, v18
	v_cmp_ne_u32_e32 vcc, s0, v19
                                        ; implicit-def: $vgpr22
	s_and_saveexec_b64 s[0:1], vcc
	s_xor_b64 s[0:1], exec, s[0:1]
; %bb.17:
	v_bfe_u32 v19, v18, 16, 1
	s_movk_i32 s4, 0x7fff
	v_add3_u32 v22, v18, v19, s4
                                        ; implicit-def: $vgpr18
; %bb.18:
	s_andn2_saveexec_b64 s[0:1], s[0:1]
; %bb.19:
	v_mov_b32_e32 v19, 0
	v_or_b32_e32 v22, 0x10000, v18
	v_cmp_eq_u32_sdwa vcc, v18, v19 src0_sel:WORD_0 src1_sel:DWORD
	v_cndmask_b32_e32 v22, v22, v18, vcc
; %bb.20:
	s_or_b64 exec, exec, s[0:1]
	v_mbcnt_lo_u32_b32 v18, -1, 0
	v_mbcnt_hi_u32_b32 v18, -1, v18
	v_and_b32_e32 v19, 15, v18
	v_lshrrev_b32_e32 v23, 16, v22
	v_cmp_eq_u32_e32 vcc, 0, v19
	v_and_b32_e32 v22, 0xffff0000, v22
	v_cndmask_b32_e32 v20, v23, v20, vcc
	v_cndmask_b32_e32 v21, v22, v21, vcc
	s_mov_b32 s0, 0x7f800000
	v_mov_b32_dpp v22, v20 row_shr:2 row_mask:0xf bank_mask:0xf
	v_lshlrev_b32_e32 v22, 16, v22
	v_add_f32_e32 v22, v21, v22
	v_and_b32_e32 v23, 0x7f800000, v22
	v_cmp_ne_u32_e32 vcc, s0, v23
                                        ; implicit-def: $vgpr23
	s_and_saveexec_b64 s[0:1], vcc
	s_xor_b64 s[0:1], exec, s[0:1]
; %bb.21:
	v_bfe_u32 v23, v22, 16, 1
	s_movk_i32 s4, 0x7fff
	v_add3_u32 v23, v22, v23, s4
                                        ; implicit-def: $vgpr22
; %bb.22:
	s_andn2_saveexec_b64 s[0:1], s[0:1]
; %bb.23:
	v_mov_b32_e32 v23, 0
	v_or_b32_e32 v24, 0x10000, v22
	v_cmp_eq_u32_sdwa vcc, v22, v23 src0_sel:WORD_0 src1_sel:DWORD
	v_cndmask_b32_e32 v23, v24, v22, vcc
; %bb.24:
	s_or_b64 exec, exec, s[0:1]
	v_lshrrev_b32_e32 v22, 16, v23
	v_cmp_lt_u32_e32 vcc, 1, v19
	v_cndmask_b32_e32 v20, v20, v22, vcc
	v_and_b32_e32 v23, 0xffff0000, v23
	v_cndmask_b32_e32 v21, v21, v23, vcc
	v_mov_b32_dpp v22, v20 row_shr:4 row_mask:0xf bank_mask:0xf
	v_lshlrev_b32_e32 v22, 16, v22
	v_add_f32_e32 v22, v21, v22
	s_mov_b32 s0, 0x7f800000
	v_and_b32_e32 v23, 0x7f800000, v22
	v_cmp_ne_u32_e32 vcc, s0, v23
                                        ; implicit-def: $vgpr23
	s_and_saveexec_b64 s[0:1], vcc
	s_xor_b64 s[0:1], exec, s[0:1]
; %bb.25:
	v_bfe_u32 v23, v22, 16, 1
	s_movk_i32 s4, 0x7fff
	v_add3_u32 v23, v22, v23, s4
                                        ; implicit-def: $vgpr22
; %bb.26:
	s_andn2_saveexec_b64 s[0:1], s[0:1]
; %bb.27:
	v_mov_b32_e32 v23, 0
	v_or_b32_e32 v24, 0x10000, v22
	v_cmp_eq_u32_sdwa vcc, v22, v23 src0_sel:WORD_0 src1_sel:DWORD
	v_cndmask_b32_e32 v23, v24, v22, vcc
; %bb.28:
	s_or_b64 exec, exec, s[0:1]
	v_lshrrev_b32_e32 v22, 16, v23
	v_cmp_lt_u32_e32 vcc, 3, v19
	v_cndmask_b32_e32 v20, v20, v22, vcc
	v_and_b32_e32 v23, 0xffff0000, v23
	v_cndmask_b32_e32 v21, v21, v23, vcc
	v_mov_b32_dpp v22, v20 row_shr:8 row_mask:0xf bank_mask:0xf
	v_lshlrev_b32_e32 v22, 16, v22
	v_add_f32_e32 v21, v21, v22
	s_mov_b32 s0, 0x7f800000
	v_and_b32_e32 v22, 0x7f800000, v21
	v_cmp_ne_u32_e32 vcc, s0, v22
                                        ; implicit-def: $vgpr22
	s_and_saveexec_b64 s[0:1], vcc
	s_xor_b64 s[0:1], exec, s[0:1]
; %bb.29:
	v_bfe_u32 v22, v21, 16, 1
	s_movk_i32 s4, 0x7fff
	v_add3_u32 v22, v21, v22, s4
                                        ; implicit-def: $vgpr21
; %bb.30:
	s_andn2_saveexec_b64 s[0:1], s[0:1]
; %bb.31:
	v_mov_b32_e32 v22, 0
	v_or_b32_e32 v23, 0x10000, v21
	v_cmp_eq_u32_sdwa vcc, v21, v22 src0_sel:WORD_0 src1_sel:DWORD
	v_cndmask_b32_e32 v22, v23, v21, vcc
; %bb.32:
	s_or_b64 exec, exec, s[0:1]
	v_lshrrev_b32_e32 v21, 16, v22
	v_cmp_lt_u32_e32 vcc, 7, v19
	v_cndmask_b32_e32 v19, v20, v21, vcc
	v_cmp_eq_u32_e32 vcc, 15, v0
	s_and_saveexec_b64 s[0:1], vcc
	s_cbranch_execz .LBB188_34
; %bb.33:
	v_mov_b32_e32 v20, 0
	ds_write_b16 v20, v19
.LBB188_34:
	s_or_b64 exec, exec, s[0:1]
	v_add_u32_e32 v20, -1, v18
	v_and_b32_e32 v21, 0x70, v18
	v_cmp_lt_i32_e32 vcc, v20, v21
	v_cndmask_b32_e32 v18, v20, v18, vcc
	v_lshlrev_b32_e32 v18, 2, v18
	ds_bpermute_b32 v18, v18, v19
	v_cmp_eq_u32_e32 vcc, 0, v0
	v_cmp_ne_u32_e64 s[0:1], 0, v0
	s_waitcnt lgkmcnt(0)
	; wave barrier
	s_waitcnt lgkmcnt(0)
	s_and_saveexec_b64 s[4:5], s[0:1]
	s_cbranch_execz .LBB188_40
; %bb.35:
	v_lshlrev_b32_e32 v0, 16, v18
	v_add_f32_e32 v0, v12, v0
	s_mov_b32 s0, 0x7f800000
	v_and_b32_e32 v1, 0x7f800000, v0
	v_cmp_ne_u32_e64 s[0:1], s0, v1
                                        ; implicit-def: $vgpr12
	s_and_saveexec_b64 s[8:9], s[0:1]
	s_xor_b64 s[0:1], exec, s[8:9]
; %bb.36:
	v_bfe_u32 v1, v0, 16, 1
	s_movk_i32 s7, 0x7fff
	v_add3_u32 v12, v0, v1, s7
                                        ; implicit-def: $vgpr0
; %bb.37:
	s_andn2_saveexec_b64 s[8:9], s[0:1]
; %bb.38:
	v_mov_b32_e32 v1, 0
	v_or_b32_e32 v12, 0x10000, v0
	v_cmp_eq_u32_sdwa s[0:1], v0, v1 src0_sel:WORD_0 src1_sel:DWORD
	v_cndmask_b32_e64 v12, v12, v0, s[0:1]
; %bb.39:
	s_or_b64 exec, exec, s[8:9]
	v_and_b32_e32 v0, 0xffff0000, v12
	v_lshrrev_b32_e32 v1, 16, v12
	v_add_f32_e32 v14, v13, v0
.LBB188_40:
	s_or_b64 exec, exec, s[4:5]
	s_mov_b32 s0, 0x7f800000
	v_and_b32_e32 v0, 0x7f800000, v14
	v_cmp_ne_u32_e64 s[0:1], s0, v0
                                        ; implicit-def: $vgpr0
	s_and_saveexec_b64 s[4:5], s[0:1]
	s_xor_b64 s[0:1], exec, s[4:5]
; %bb.41:
	v_bfe_u32 v0, v14, 16, 1
	s_movk_i32 s4, 0x7fff
	v_add3_u32 v0, v14, v0, s4
                                        ; implicit-def: $vgpr14
; %bb.42:
	s_andn2_saveexec_b64 s[4:5], s[0:1]
; %bb.43:
	v_mov_b32_e32 v0, 0
	v_or_b32_e32 v12, 0x10000, v14
	v_cmp_eq_u32_sdwa s[0:1], v14, v0 src0_sel:WORD_0 src1_sel:DWORD
	v_cndmask_b32_e64 v0, v12, v14, s[0:1]
; %bb.44:
	s_or_b64 exec, exec, s[4:5]
	v_and_b32_e32 v12, 0xffff0000, v0
	v_add_f32_e32 v13, v12, v15
	s_mov_b32 s0, 0x7f800000
	v_and_b32_e32 v12, 0x7f800000, v13
	v_cmp_ne_u32_e64 s[0:1], s0, v12
                                        ; implicit-def: $vgpr12
	s_and_saveexec_b64 s[4:5], s[0:1]
	s_xor_b64 s[0:1], exec, s[4:5]
; %bb.45:
	v_bfe_u32 v12, v13, 16, 1
	s_movk_i32 s4, 0x7fff
	v_add3_u32 v12, v13, v12, s4
                                        ; implicit-def: $vgpr13
; %bb.46:
	s_andn2_saveexec_b64 s[4:5], s[0:1]
; %bb.47:
	v_mov_b32_e32 v12, 0
	v_or_b32_e32 v14, 0x10000, v13
	v_cmp_eq_u32_sdwa s[0:1], v13, v12 src0_sel:WORD_0 src1_sel:DWORD
	v_cndmask_b32_e64 v12, v14, v13, s[0:1]
; %bb.48:
	s_or_b64 exec, exec, s[4:5]
	v_and_b32_e32 v13, 0xffff0000, v12
	v_add_f32_e32 v14, v13, v16
	s_mov_b32 s0, 0x7f800000
	v_and_b32_e32 v13, 0x7f800000, v14
	v_cmp_ne_u32_e64 s[0:1], s0, v13
                                        ; implicit-def: $vgpr13
	s_and_saveexec_b64 s[4:5], s[0:1]
	s_xor_b64 s[0:1], exec, s[4:5]
; %bb.49:
	v_bfe_u32 v13, v14, 16, 1
	s_movk_i32 s4, 0x7fff
	v_add3_u32 v13, v14, v13, s4
                                        ; implicit-def: $vgpr14
; %bb.50:
	s_andn2_saveexec_b64 s[4:5], s[0:1]
; %bb.51:
	v_mov_b32_e32 v13, 0
	v_or_b32_e32 v15, 0x10000, v14
	v_cmp_eq_u32_sdwa s[0:1], v14, v13 src0_sel:WORD_0 src1_sel:DWORD
	v_cndmask_b32_e64 v13, v15, v14, s[0:1]
; %bb.52:
	s_or_b64 exec, exec, s[4:5]
	v_and_b32_e32 v14, 0xffff0000, v13
	v_add_f32_e32 v14, v14, v17
	s_mov_b32 s0, 0x7f800000
	v_and_b32_e32 v15, 0x7f800000, v14
	v_cmp_ne_u32_e64 s[0:1], s0, v15
                                        ; implicit-def: $vgpr15
	s_and_saveexec_b64 s[4:5], s[0:1]
	s_xor_b64 s[0:1], exec, s[4:5]
; %bb.53:
	v_bfe_u32 v15, v14, 16, 1
	s_movk_i32 s4, 0x7fff
	v_add3_u32 v15, v14, v15, s4
                                        ; implicit-def: $vgpr14
; %bb.54:
	s_andn2_saveexec_b64 s[4:5], s[0:1]
; %bb.55:
	v_mov_b32_e32 v15, 0
	v_or_b32_e32 v16, 0x10000, v14
	v_cmp_eq_u32_sdwa s[0:1], v14, v15 src0_sel:WORD_0 src1_sel:DWORD
	v_cndmask_b32_e64 v15, v16, v14, s[0:1]
; %bb.56:
	s_or_b64 exec, exec, s[4:5]
	global_store_short v[2:3], v1, off
	global_store_short_d16_hi v[4:5], v0, off
	global_store_short_d16_hi v[10:11], v12, off
	;; [unrolled: 1-line block ×4, first 2 shown]
	s_and_saveexec_b64 s[0:1], vcc
	s_cbranch_execz .LBB188_58
; %bb.57:
	v_mov_b32_e32 v0, 0
	ds_read_u16 v1, v0
	s_mov_b32 s7, 0
	s_lshl_b64 s[0:1], s[6:7], 1
	s_add_u32 s0, s2, s0
	s_addc_u32 s1, s3, s1
	s_waitcnt lgkmcnt(0)
	global_store_short v0, v1, s[0:1]
.LBB188_58:
	s_endpgm
	.section	.rodata,"a",@progbits
	.p2align	6, 0x0
	.amdhsa_kernel _Z34inclusive_scan_reduce_array_kernelILj16ELj5ELN6hipcub18BlockScanAlgorithmE1E12hip_bfloat16EvPT2_S4_
		.amdhsa_group_segment_fixed_size 2
		.amdhsa_private_segment_fixed_size 0
		.amdhsa_kernarg_size 16
		.amdhsa_user_sgpr_count 6
		.amdhsa_user_sgpr_private_segment_buffer 1
		.amdhsa_user_sgpr_dispatch_ptr 0
		.amdhsa_user_sgpr_queue_ptr 0
		.amdhsa_user_sgpr_kernarg_segment_ptr 1
		.amdhsa_user_sgpr_dispatch_id 0
		.amdhsa_user_sgpr_flat_scratch_init 0
		.amdhsa_user_sgpr_kernarg_preload_length 0
		.amdhsa_user_sgpr_kernarg_preload_offset 0
		.amdhsa_user_sgpr_private_segment_size 0
		.amdhsa_uses_dynamic_stack 0
		.amdhsa_system_sgpr_private_segment_wavefront_offset 0
		.amdhsa_system_sgpr_workgroup_id_x 1
		.amdhsa_system_sgpr_workgroup_id_y 0
		.amdhsa_system_sgpr_workgroup_id_z 0
		.amdhsa_system_sgpr_workgroup_info 0
		.amdhsa_system_vgpr_workitem_id 0
		.amdhsa_next_free_vgpr 25
		.amdhsa_next_free_sgpr 10
		.amdhsa_accum_offset 28
		.amdhsa_reserve_vcc 1
		.amdhsa_reserve_flat_scratch 0
		.amdhsa_float_round_mode_32 0
		.amdhsa_float_round_mode_16_64 0
		.amdhsa_float_denorm_mode_32 3
		.amdhsa_float_denorm_mode_16_64 3
		.amdhsa_dx10_clamp 1
		.amdhsa_ieee_mode 1
		.amdhsa_fp16_overflow 0
		.amdhsa_tg_split 0
		.amdhsa_exception_fp_ieee_invalid_op 0
		.amdhsa_exception_fp_denorm_src 0
		.amdhsa_exception_fp_ieee_div_zero 0
		.amdhsa_exception_fp_ieee_overflow 0
		.amdhsa_exception_fp_ieee_underflow 0
		.amdhsa_exception_fp_ieee_inexact 0
		.amdhsa_exception_int_div_zero 0
	.end_amdhsa_kernel
	.section	.text._Z34inclusive_scan_reduce_array_kernelILj16ELj5ELN6hipcub18BlockScanAlgorithmE1E12hip_bfloat16EvPT2_S4_,"axG",@progbits,_Z34inclusive_scan_reduce_array_kernelILj16ELj5ELN6hipcub18BlockScanAlgorithmE1E12hip_bfloat16EvPT2_S4_,comdat
.Lfunc_end188:
	.size	_Z34inclusive_scan_reduce_array_kernelILj16ELj5ELN6hipcub18BlockScanAlgorithmE1E12hip_bfloat16EvPT2_S4_, .Lfunc_end188-_Z34inclusive_scan_reduce_array_kernelILj16ELj5ELN6hipcub18BlockScanAlgorithmE1E12hip_bfloat16EvPT2_S4_
                                        ; -- End function
	.section	.AMDGPU.csdata,"",@progbits
; Kernel info:
; codeLenInByte = 1776
; NumSgprs: 14
; NumVgprs: 25
; NumAgprs: 0
; TotalNumVgprs: 25
; ScratchSize: 0
; MemoryBound: 0
; FloatMode: 240
; IeeeMode: 1
; LDSByteSize: 2 bytes/workgroup (compile time only)
; SGPRBlocks: 1
; VGPRBlocks: 3
; NumSGPRsForWavesPerEU: 14
; NumVGPRsForWavesPerEU: 25
; AccumOffset: 28
; Occupancy: 8
; WaveLimiterHint : 0
; COMPUTE_PGM_RSRC2:SCRATCH_EN: 0
; COMPUTE_PGM_RSRC2:USER_SGPR: 6
; COMPUTE_PGM_RSRC2:TRAP_HANDLER: 0
; COMPUTE_PGM_RSRC2:TGID_X_EN: 1
; COMPUTE_PGM_RSRC2:TGID_Y_EN: 0
; COMPUTE_PGM_RSRC2:TGID_Z_EN: 0
; COMPUTE_PGM_RSRC2:TIDIG_COMP_CNT: 0
; COMPUTE_PGM_RSRC3_GFX90A:ACCUM_OFFSET: 6
; COMPUTE_PGM_RSRC3_GFX90A:TG_SPLIT: 0
	.section	.text._Z34inclusive_scan_reduce_array_kernelILj65ELj5ELN6hipcub18BlockScanAlgorithmE1E6__halfEvPT2_S4_,"axG",@progbits,_Z34inclusive_scan_reduce_array_kernelILj65ELj5ELN6hipcub18BlockScanAlgorithmE1E6__halfEvPT2_S4_,comdat
	.protected	_Z34inclusive_scan_reduce_array_kernelILj65ELj5ELN6hipcub18BlockScanAlgorithmE1E6__halfEvPT2_S4_ ; -- Begin function _Z34inclusive_scan_reduce_array_kernelILj65ELj5ELN6hipcub18BlockScanAlgorithmE1E6__halfEvPT2_S4_
	.globl	_Z34inclusive_scan_reduce_array_kernelILj65ELj5ELN6hipcub18BlockScanAlgorithmE1E6__halfEvPT2_S4_
	.p2align	8
	.type	_Z34inclusive_scan_reduce_array_kernelILj65ELj5ELN6hipcub18BlockScanAlgorithmE1E6__halfEvPT2_S4_,@function
_Z34inclusive_scan_reduce_array_kernelILj65ELj5ELN6hipcub18BlockScanAlgorithmE1E6__halfEvPT2_S4_: ; @_Z34inclusive_scan_reduce_array_kernelILj65ELj5ELN6hipcub18BlockScanAlgorithmE1E6__halfEvPT2_S4_
; %bb.0:
	s_load_dwordx4 s[0:3], s[4:5], 0x0
	s_mul_i32 s4, s6, 0x41
	v_add_u32_e32 v1, s4, v0
	v_lshl_add_u32 v10, v1, 2, v1
	v_mov_b32_e32 v11, 0
	v_lshlrev_b64 v[2:3], 1, v[10:11]
	s_waitcnt lgkmcnt(0)
	v_mov_b32_e32 v1, s1
	v_add_co_u32_e32 v2, vcc, s0, v2
	v_add_u32_e32 v4, 1, v10
	v_mov_b32_e32 v5, v11
	v_addc_co_u32_e32 v3, vcc, v1, v3, vcc
	v_lshlrev_b64 v[4:5], 1, v[4:5]
	v_add_co_u32_e32 v4, vcc, s0, v4
	v_add_u32_e32 v6, 2, v10
	v_mov_b32_e32 v7, v11
	v_addc_co_u32_e32 v5, vcc, v1, v5, vcc
	v_lshlrev_b64 v[6:7], 1, v[6:7]
	;; [unrolled: 5-line block ×3, first 2 shown]
	v_add_co_u32_e32 v8, vcc, s0, v8
	v_add_u32_e32 v10, 4, v10
	v_addc_co_u32_e32 v9, vcc, v1, v9, vcc
	v_lshlrev_b64 v[10:11], 1, v[10:11]
	v_add_co_u32_e32 v10, vcc, s0, v10
	v_addc_co_u32_e32 v11, vcc, v1, v11, vcc
	global_load_ushort v1, v[2:3], off
	global_load_ushort v12, v[4:5], off
	;; [unrolled: 1-line block ×5, first 2 shown]
	v_lshrrev_b32_e32 v16, 5, v0
	v_add_lshl_u32 v17, v16, v0, 1
	v_cmp_gt_u32_e32 vcc, 64, v0
	s_waitcnt vmcnt(3)
	v_add_f16_e32 v16, v1, v12
	s_waitcnt vmcnt(2)
	v_add_f16_e32 v16, v16, v13
	;; [unrolled: 2-line block ×4, first 2 shown]
	ds_write_b16 v17, v16
	s_waitcnt lgkmcnt(0)
	s_barrier
	s_and_saveexec_b64 s[0:1], vcc
	s_cbranch_execz .LBB189_2
; %bb.1:
	v_lshlrev_b32_e32 v17, 1, v0
	v_lshrrev_b32_e32 v18, 4, v0
	v_add_lshl_u32 v17, v18, v17, 1
	ds_read_u16 v18, v17
	ds_read_u16 v19, v17 offset:2
	v_mbcnt_lo_u32_b32 v20, -1, 0
	v_mbcnt_hi_u32_b32 v20, -1, v20
	v_and_b32_e32 v22, 15, v20
	v_cmp_eq_u32_e32 vcc, 0, v22
	s_waitcnt lgkmcnt(0)
	v_add_f16_e32 v21, v18, v19
	s_nop 1
	v_mov_b32_dpp v23, v21 row_shr:1 row_mask:0xf bank_mask:0xf
	v_add_f16_e32 v23, v21, v23
	v_cndmask_b32_e32 v21, v23, v21, vcc
	v_and_b32_e32 v23, 0xffff, v21
	v_cmp_lt_u32_e32 vcc, 1, v22
	s_nop 0
	v_mov_b32_dpp v23, v23 row_shr:2 row_mask:0xf bank_mask:0xf
	v_add_f16_e32 v23, v21, v23
	v_cndmask_b32_e32 v21, v21, v23, vcc
	v_and_b32_e32 v23, 0xffff, v21
	v_cmp_lt_u32_e32 vcc, 3, v22
	;; [unrolled: 6-line block ×3, first 2 shown]
	s_nop 0
	v_mov_b32_dpp v23, v23 row_shr:8 row_mask:0xf bank_mask:0xf
	v_add_f16_e32 v23, v21, v23
	v_cndmask_b32_e32 v21, v21, v23, vcc
	v_and_b32_e32 v22, 0xffff, v21
	v_and_b32_e32 v23, 16, v20
	v_cmp_eq_u32_e32 vcc, 0, v23
	v_mov_b32_dpp v22, v22 row_bcast:15 row_mask:0xf bank_mask:0xf
	v_add_f16_e32 v22, v21, v22
	v_cndmask_b32_e32 v21, v22, v21, vcc
	v_and_b32_e32 v22, 0xffff, v21
	v_cmp_lt_u32_e32 vcc, 31, v20
	v_and_b32_e32 v23, 64, v20
	v_mov_b32_dpp v22, v22 row_bcast:31 row_mask:0xf bank_mask:0xf
	v_add_f16_e32 v22, v21, v22
	v_cndmask_b32_e32 v21, v21, v22, vcc
	v_add_u32_e32 v22, -1, v20
	v_cmp_lt_i32_e32 vcc, v22, v23
	v_cndmask_b32_e32 v20, v22, v20, vcc
	v_and_b32_e32 v21, 0xffff, v21
	v_lshlrev_b32_e32 v20, 2, v20
	ds_bpermute_b32 v20, v20, v21
	v_cmp_eq_u32_e32 vcc, 0, v0
	s_waitcnt lgkmcnt(0)
	v_add_f16_e32 v18, v18, v20
	v_cndmask_b32_e32 v18, v18, v16, vcc
	ds_write_b16 v17, v18
	v_add_f16_e32 v18, v19, v18
	ds_write_b16 v17, v18 offset:2
.LBB189_2:
	s_or_b64 exec, exec, s[0:1]
	v_cmp_eq_u32_e32 vcc, 0, v0
	v_cmp_ne_u32_e64 s[0:1], 0, v0
	s_waitcnt lgkmcnt(0)
	s_barrier
	s_and_saveexec_b64 s[4:5], s[0:1]
	s_cbranch_execz .LBB189_4
; %bb.3:
	v_add_u32_e32 v0, -1, v0
	v_lshrrev_b32_e32 v16, 5, v0
	v_add_lshl_u32 v0, v16, v0, 1
	ds_read_u16 v16, v0
.LBB189_4:
	s_or_b64 exec, exec, s[4:5]
	s_waitcnt lgkmcnt(0)
	v_add_f16_e32 v0, v16, v1
	v_cndmask_b32_e32 v0, v0, v1, vcc
	v_add_f16_e32 v1, v0, v12
	v_add_f16_e32 v12, v1, v13
	;; [unrolled: 1-line block ×4, first 2 shown]
	global_store_short v[2:3], v0, off
	global_store_short v[4:5], v1, off
	;; [unrolled: 1-line block ×5, first 2 shown]
	s_and_saveexec_b64 s[0:1], vcc
	s_cbranch_execz .LBB189_6
; %bb.5:
	v_mov_b32_e32 v0, 0
	ds_read_u16 v1, v0 offset:132
	s_mov_b32 s7, 0
	s_lshl_b64 s[0:1], s[6:7], 1
	s_add_u32 s0, s2, s0
	s_addc_u32 s1, s3, s1
	s_waitcnt lgkmcnt(0)
	global_store_short v0, v1, s[0:1]
.LBB189_6:
	s_endpgm
	.section	.rodata,"a",@progbits
	.p2align	6, 0x0
	.amdhsa_kernel _Z34inclusive_scan_reduce_array_kernelILj65ELj5ELN6hipcub18BlockScanAlgorithmE1E6__halfEvPT2_S4_
		.amdhsa_group_segment_fixed_size 264
		.amdhsa_private_segment_fixed_size 0
		.amdhsa_kernarg_size 16
		.amdhsa_user_sgpr_count 6
		.amdhsa_user_sgpr_private_segment_buffer 1
		.amdhsa_user_sgpr_dispatch_ptr 0
		.amdhsa_user_sgpr_queue_ptr 0
		.amdhsa_user_sgpr_kernarg_segment_ptr 1
		.amdhsa_user_sgpr_dispatch_id 0
		.amdhsa_user_sgpr_flat_scratch_init 0
		.amdhsa_user_sgpr_kernarg_preload_length 0
		.amdhsa_user_sgpr_kernarg_preload_offset 0
		.amdhsa_user_sgpr_private_segment_size 0
		.amdhsa_uses_dynamic_stack 0
		.amdhsa_system_sgpr_private_segment_wavefront_offset 0
		.amdhsa_system_sgpr_workgroup_id_x 1
		.amdhsa_system_sgpr_workgroup_id_y 0
		.amdhsa_system_sgpr_workgroup_id_z 0
		.amdhsa_system_sgpr_workgroup_info 0
		.amdhsa_system_vgpr_workitem_id 0
		.amdhsa_next_free_vgpr 24
		.amdhsa_next_free_sgpr 8
		.amdhsa_accum_offset 24
		.amdhsa_reserve_vcc 1
		.amdhsa_reserve_flat_scratch 0
		.amdhsa_float_round_mode_32 0
		.amdhsa_float_round_mode_16_64 0
		.amdhsa_float_denorm_mode_32 3
		.amdhsa_float_denorm_mode_16_64 3
		.amdhsa_dx10_clamp 1
		.amdhsa_ieee_mode 1
		.amdhsa_fp16_overflow 0
		.amdhsa_tg_split 0
		.amdhsa_exception_fp_ieee_invalid_op 0
		.amdhsa_exception_fp_denorm_src 0
		.amdhsa_exception_fp_ieee_div_zero 0
		.amdhsa_exception_fp_ieee_overflow 0
		.amdhsa_exception_fp_ieee_underflow 0
		.amdhsa_exception_fp_ieee_inexact 0
		.amdhsa_exception_int_div_zero 0
	.end_amdhsa_kernel
	.section	.text._Z34inclusive_scan_reduce_array_kernelILj65ELj5ELN6hipcub18BlockScanAlgorithmE1E6__halfEvPT2_S4_,"axG",@progbits,_Z34inclusive_scan_reduce_array_kernelILj65ELj5ELN6hipcub18BlockScanAlgorithmE1E6__halfEvPT2_S4_,comdat
.Lfunc_end189:
	.size	_Z34inclusive_scan_reduce_array_kernelILj65ELj5ELN6hipcub18BlockScanAlgorithmE1E6__halfEvPT2_S4_, .Lfunc_end189-_Z34inclusive_scan_reduce_array_kernelILj65ELj5ELN6hipcub18BlockScanAlgorithmE1E6__halfEvPT2_S4_
                                        ; -- End function
	.section	.AMDGPU.csdata,"",@progbits
; Kernel info:
; codeLenInByte = 752
; NumSgprs: 12
; NumVgprs: 24
; NumAgprs: 0
; TotalNumVgprs: 24
; ScratchSize: 0
; MemoryBound: 0
; FloatMode: 240
; IeeeMode: 1
; LDSByteSize: 264 bytes/workgroup (compile time only)
; SGPRBlocks: 1
; VGPRBlocks: 2
; NumSGPRsForWavesPerEU: 12
; NumVGPRsForWavesPerEU: 24
; AccumOffset: 24
; Occupancy: 8
; WaveLimiterHint : 0
; COMPUTE_PGM_RSRC2:SCRATCH_EN: 0
; COMPUTE_PGM_RSRC2:USER_SGPR: 6
; COMPUTE_PGM_RSRC2:TRAP_HANDLER: 0
; COMPUTE_PGM_RSRC2:TGID_X_EN: 1
; COMPUTE_PGM_RSRC2:TGID_Y_EN: 0
; COMPUTE_PGM_RSRC2:TGID_Z_EN: 0
; COMPUTE_PGM_RSRC2:TIDIG_COMP_CNT: 0
; COMPUTE_PGM_RSRC3_GFX90A:ACCUM_OFFSET: 5
; COMPUTE_PGM_RSRC3_GFX90A:TG_SPLIT: 0
	.section	.text._Z34inclusive_scan_reduce_array_kernelILj255ELj15ELN6hipcub18BlockScanAlgorithmE1EfEvPT2_S3_,"axG",@progbits,_Z34inclusive_scan_reduce_array_kernelILj255ELj15ELN6hipcub18BlockScanAlgorithmE1EfEvPT2_S3_,comdat
	.protected	_Z34inclusive_scan_reduce_array_kernelILj255ELj15ELN6hipcub18BlockScanAlgorithmE1EfEvPT2_S3_ ; -- Begin function _Z34inclusive_scan_reduce_array_kernelILj255ELj15ELN6hipcub18BlockScanAlgorithmE1EfEvPT2_S3_
	.globl	_Z34inclusive_scan_reduce_array_kernelILj255ELj15ELN6hipcub18BlockScanAlgorithmE1EfEvPT2_S3_
	.p2align	8
	.type	_Z34inclusive_scan_reduce_array_kernelILj255ELj15ELN6hipcub18BlockScanAlgorithmE1EfEvPT2_S3_,@function
_Z34inclusive_scan_reduce_array_kernelILj255ELj15ELN6hipcub18BlockScanAlgorithmE1EfEvPT2_S3_: ; @_Z34inclusive_scan_reduce_array_kernelILj255ELj15ELN6hipcub18BlockScanAlgorithmE1EfEvPT2_S3_
; %bb.0:
	s_load_dwordx4 s[0:3], s[4:5], 0x0
	s_mul_i32 s4, s6, 0xff
	v_add_u32_e32 v1, s4, v0
	v_mul_lo_u32 v30, v1, 15
	v_mov_b32_e32 v31, 0
	v_lshlrev_b64 v[2:3], 2, v[30:31]
	s_waitcnt lgkmcnt(0)
	v_mov_b32_e32 v1, s1
	v_add_co_u32_e32 v2, vcc, s0, v2
	v_add_u32_e32 v4, 1, v30
	v_mov_b32_e32 v5, v31
	v_addc_co_u32_e32 v3, vcc, v1, v3, vcc
	v_lshlrev_b64 v[4:5], 2, v[4:5]
	v_add_co_u32_e32 v4, vcc, s0, v4
	v_add_u32_e32 v6, 2, v30
	v_mov_b32_e32 v7, v31
	v_addc_co_u32_e32 v5, vcc, v1, v5, vcc
	v_lshlrev_b64 v[6:7], 2, v[6:7]
	;; [unrolled: 5-line block ×8, first 2 shown]
	v_mov_b32_e32 v20, s1
	v_add_co_u32_e32 v18, vcc, s0, v18
	v_addc_co_u32_e32 v19, vcc, v20, v19, vcc
	v_add_u32_e32 v20, 9, v30
	v_mov_b32_e32 v21, v31
	v_lshlrev_b64 v[20:21], 2, v[20:21]
	v_mov_b32_e32 v22, s1
	v_add_co_u32_e32 v20, vcc, s0, v20
	v_addc_co_u32_e32 v21, vcc, v22, v21, vcc
	v_add_u32_e32 v22, 10, v30
	v_mov_b32_e32 v23, v31
	v_lshlrev_b64 v[22:23], 2, v[22:23]
	;; [unrolled: 6-line block ×3, first 2 shown]
	v_mov_b32_e32 v26, s1
	v_add_co_u32_e32 v24, vcc, s0, v24
	v_addc_co_u32_e32 v25, vcc, v26, v25, vcc
	v_add_u32_e32 v26, 12, v30
	v_mov_b32_e32 v27, v31
	global_load_dword v1, v[2:3], off
	global_load_dword v32, v[4:5], off
	;; [unrolled: 1-line block ×8, first 2 shown]
	v_lshlrev_b64 v[26:27], 2, v[26:27]
	v_mov_b32_e32 v28, s1
	v_add_co_u32_e32 v26, vcc, s0, v26
	v_addc_co_u32_e32 v27, vcc, v28, v27, vcc
	v_add_u32_e32 v28, 13, v30
	v_mov_b32_e32 v29, v31
	v_lshlrev_b64 v[28:29], 2, v[28:29]
	v_mov_b32_e32 v39, s1
	v_add_co_u32_e32 v28, vcc, s0, v28
	v_add_u32_e32 v30, 14, v30
	v_addc_co_u32_e32 v29, vcc, v39, v29, vcc
	v_lshlrev_b64 v[30:31], 2, v[30:31]
	v_add_co_u32_e32 v30, vcc, s0, v30
	v_addc_co_u32_e32 v31, vcc, v39, v31, vcc
	global_load_dword v39, v[18:19], off
	global_load_dword v40, v[20:21], off
	;; [unrolled: 1-line block ×7, first 2 shown]
	v_lshrrev_b32_e32 v47, 5, v0
	v_add_lshl_u32 v47, v47, v0, 2
	v_cmp_gt_u32_e32 vcc, 64, v0
	s_waitcnt vmcnt(13)
	v_add_f32_e32 v46, v1, v32
	s_waitcnt vmcnt(12)
	v_add_f32_e32 v46, v33, v46
	;; [unrolled: 2-line block ×14, first 2 shown]
	ds_write_b32 v47, v46
	s_waitcnt lgkmcnt(0)
	s_barrier
	s_and_saveexec_b64 s[0:1], vcc
	s_cbranch_execz .LBB190_2
; %bb.1:
	v_lshlrev_b32_e32 v47, 2, v0
	v_lshrrev_b32_e32 v48, 3, v0
	v_add_lshl_u32 v47, v48, v47, 2
	ds_read2_b32 v[48:49], v47 offset1:1
	ds_read2_b32 v[50:51], v47 offset0:2 offset1:3
	v_mbcnt_lo_u32_b32 v52, -1, 0
	v_mbcnt_hi_u32_b32 v52, -1, v52
	v_and_b32_e32 v54, 15, v52
	s_waitcnt lgkmcnt(1)
	v_add_f32_e32 v53, v48, v49
	s_waitcnt lgkmcnt(0)
	v_add_f32_e32 v53, v53, v50
	v_add_f32_e32 v53, v53, v51
	v_cmp_eq_u32_e32 vcc, 0, v54
	s_nop 0
	v_mov_b32_dpp v55, v53 row_shr:1 row_mask:0xf bank_mask:0xf
	v_add_f32_e32 v55, v53, v55
	v_cndmask_b32_e32 v53, v55, v53, vcc
	v_cmp_lt_u32_e32 vcc, 1, v54
	s_nop 0
	v_mov_b32_dpp v55, v53 row_shr:2 row_mask:0xf bank_mask:0xf
	v_add_f32_e32 v55, v53, v55
	v_cndmask_b32_e32 v53, v53, v55, vcc
	v_cmp_lt_u32_e32 vcc, 3, v54
	;; [unrolled: 5-line block ×3, first 2 shown]
	s_nop 0
	v_mov_b32_dpp v55, v53 row_shr:8 row_mask:0xf bank_mask:0xf
	v_add_f32_e32 v55, v53, v55
	v_cndmask_b32_e32 v53, v53, v55, vcc
	v_and_b32_e32 v55, 16, v52
	v_cmp_eq_u32_e32 vcc, 0, v55
	v_mov_b32_dpp v54, v53 row_bcast:15 row_mask:0xf bank_mask:0xf
	v_add_f32_e32 v54, v53, v54
	v_cndmask_b32_e32 v53, v54, v53, vcc
	v_cmp_lt_u32_e32 vcc, 31, v52
	v_and_b32_e32 v55, 64, v52
	v_mov_b32_dpp v54, v53 row_bcast:31 row_mask:0xf bank_mask:0xf
	v_add_f32_e32 v54, v53, v54
	v_cndmask_b32_e32 v53, v53, v54, vcc
	v_add_u32_e32 v54, -1, v52
	v_cmp_lt_i32_e32 vcc, v54, v55
	v_cndmask_b32_e32 v52, v54, v52, vcc
	v_lshlrev_b32_e32 v52, 2, v52
	ds_bpermute_b32 v52, v52, v53
	v_cmp_eq_u32_e32 vcc, 0, v0
	s_waitcnt lgkmcnt(0)
	v_add_f32_e32 v48, v48, v52
	v_cndmask_b32_e32 v48, v48, v46, vcc
	v_add_f32_e32 v49, v49, v48
	ds_write2_b32 v47, v48, v49 offset1:1
	v_add_f32_e32 v48, v50, v49
	v_add_f32_e32 v49, v51, v48
	ds_write2_b32 v47, v48, v49 offset0:2 offset1:3
.LBB190_2:
	s_or_b64 exec, exec, s[0:1]
	v_cmp_eq_u32_e32 vcc, 0, v0
	v_cmp_ne_u32_e64 s[0:1], 0, v0
	s_waitcnt lgkmcnt(0)
	s_barrier
	s_and_saveexec_b64 s[4:5], s[0:1]
	s_cbranch_execz .LBB190_4
; %bb.3:
	v_add_u32_e32 v0, -1, v0
	v_lshrrev_b32_e32 v46, 5, v0
	v_add_lshl_u32 v0, v46, v0, 2
	ds_read_b32 v46, v0
.LBB190_4:
	s_or_b64 exec, exec, s[4:5]
	s_waitcnt lgkmcnt(0)
	v_add_f32_e32 v0, v1, v46
	v_cndmask_b32_e32 v0, v0, v1, vcc
	v_add_f32_e32 v1, v32, v0
	v_add_f32_e32 v32, v33, v1
	;; [unrolled: 1-line block ×14, first 2 shown]
	global_store_dword v[2:3], v0, off
	global_store_dword v[4:5], v1, off
	;; [unrolled: 1-line block ×15, first 2 shown]
	s_and_saveexec_b64 s[0:1], vcc
	s_cbranch_execz .LBB190_6
; %bb.5:
	v_mov_b32_e32 v0, 0
	ds_read_b32 v1, v0 offset:1044
	s_mov_b32 s7, 0
	s_lshl_b64 s[0:1], s[6:7], 2
	s_add_u32 s0, s2, s0
	s_addc_u32 s1, s3, s1
	s_waitcnt lgkmcnt(0)
	global_store_dword v0, v1, s[0:1]
.LBB190_6:
	s_endpgm
	.section	.rodata,"a",@progbits
	.p2align	6, 0x0
	.amdhsa_kernel _Z34inclusive_scan_reduce_array_kernelILj255ELj15ELN6hipcub18BlockScanAlgorithmE1EfEvPT2_S3_
		.amdhsa_group_segment_fixed_size 1056
		.amdhsa_private_segment_fixed_size 0
		.amdhsa_kernarg_size 16
		.amdhsa_user_sgpr_count 6
		.amdhsa_user_sgpr_private_segment_buffer 1
		.amdhsa_user_sgpr_dispatch_ptr 0
		.amdhsa_user_sgpr_queue_ptr 0
		.amdhsa_user_sgpr_kernarg_segment_ptr 1
		.amdhsa_user_sgpr_dispatch_id 0
		.amdhsa_user_sgpr_flat_scratch_init 0
		.amdhsa_user_sgpr_kernarg_preload_length 0
		.amdhsa_user_sgpr_kernarg_preload_offset 0
		.amdhsa_user_sgpr_private_segment_size 0
		.amdhsa_uses_dynamic_stack 0
		.amdhsa_system_sgpr_private_segment_wavefront_offset 0
		.amdhsa_system_sgpr_workgroup_id_x 1
		.amdhsa_system_sgpr_workgroup_id_y 0
		.amdhsa_system_sgpr_workgroup_id_z 0
		.amdhsa_system_sgpr_workgroup_info 0
		.amdhsa_system_vgpr_workitem_id 0
		.amdhsa_next_free_vgpr 56
		.amdhsa_next_free_sgpr 8
		.amdhsa_accum_offset 56
		.amdhsa_reserve_vcc 1
		.amdhsa_reserve_flat_scratch 0
		.amdhsa_float_round_mode_32 0
		.amdhsa_float_round_mode_16_64 0
		.amdhsa_float_denorm_mode_32 3
		.amdhsa_float_denorm_mode_16_64 3
		.amdhsa_dx10_clamp 1
		.amdhsa_ieee_mode 1
		.amdhsa_fp16_overflow 0
		.amdhsa_tg_split 0
		.amdhsa_exception_fp_ieee_invalid_op 0
		.amdhsa_exception_fp_denorm_src 0
		.amdhsa_exception_fp_ieee_div_zero 0
		.amdhsa_exception_fp_ieee_overflow 0
		.amdhsa_exception_fp_ieee_underflow 0
		.amdhsa_exception_fp_ieee_inexact 0
		.amdhsa_exception_int_div_zero 0
	.end_amdhsa_kernel
	.section	.text._Z34inclusive_scan_reduce_array_kernelILj255ELj15ELN6hipcub18BlockScanAlgorithmE1EfEvPT2_S3_,"axG",@progbits,_Z34inclusive_scan_reduce_array_kernelILj255ELj15ELN6hipcub18BlockScanAlgorithmE1EfEvPT2_S3_,comdat
.Lfunc_end190:
	.size	_Z34inclusive_scan_reduce_array_kernelILj255ELj15ELN6hipcub18BlockScanAlgorithmE1EfEvPT2_S3_, .Lfunc_end190-_Z34inclusive_scan_reduce_array_kernelILj255ELj15ELN6hipcub18BlockScanAlgorithmE1EfEvPT2_S3_
                                        ; -- End function
	.section	.AMDGPU.csdata,"",@progbits
; Kernel info:
; codeLenInByte = 1268
; NumSgprs: 12
; NumVgprs: 56
; NumAgprs: 0
; TotalNumVgprs: 56
; ScratchSize: 0
; MemoryBound: 0
; FloatMode: 240
; IeeeMode: 1
; LDSByteSize: 1056 bytes/workgroup (compile time only)
; SGPRBlocks: 1
; VGPRBlocks: 6
; NumSGPRsForWavesPerEU: 12
; NumVGPRsForWavesPerEU: 56
; AccumOffset: 56
; Occupancy: 8
; WaveLimiterHint : 0
; COMPUTE_PGM_RSRC2:SCRATCH_EN: 0
; COMPUTE_PGM_RSRC2:USER_SGPR: 6
; COMPUTE_PGM_RSRC2:TRAP_HANDLER: 0
; COMPUTE_PGM_RSRC2:TGID_X_EN: 1
; COMPUTE_PGM_RSRC2:TGID_Y_EN: 0
; COMPUTE_PGM_RSRC2:TGID_Z_EN: 0
; COMPUTE_PGM_RSRC2:TIDIG_COMP_CNT: 0
; COMPUTE_PGM_RSRC3_GFX90A:ACCUM_OFFSET: 13
; COMPUTE_PGM_RSRC3_GFX90A:TG_SPLIT: 0
	.section	.text._Z34inclusive_scan_reduce_array_kernelILj162ELj7ELN6hipcub18BlockScanAlgorithmE1EfEvPT2_S3_,"axG",@progbits,_Z34inclusive_scan_reduce_array_kernelILj162ELj7ELN6hipcub18BlockScanAlgorithmE1EfEvPT2_S3_,comdat
	.protected	_Z34inclusive_scan_reduce_array_kernelILj162ELj7ELN6hipcub18BlockScanAlgorithmE1EfEvPT2_S3_ ; -- Begin function _Z34inclusive_scan_reduce_array_kernelILj162ELj7ELN6hipcub18BlockScanAlgorithmE1EfEvPT2_S3_
	.globl	_Z34inclusive_scan_reduce_array_kernelILj162ELj7ELN6hipcub18BlockScanAlgorithmE1EfEvPT2_S3_
	.p2align	8
	.type	_Z34inclusive_scan_reduce_array_kernelILj162ELj7ELN6hipcub18BlockScanAlgorithmE1EfEvPT2_S3_,@function
_Z34inclusive_scan_reduce_array_kernelILj162ELj7ELN6hipcub18BlockScanAlgorithmE1EfEvPT2_S3_: ; @_Z34inclusive_scan_reduce_array_kernelILj162ELj7ELN6hipcub18BlockScanAlgorithmE1EfEvPT2_S3_
; %bb.0:
	s_load_dwordx4 s[0:3], s[4:5], 0x0
	s_mul_i32 s4, s6, 0xa2
	v_add_u32_e32 v1, s4, v0
	v_mul_lo_u32 v14, v1, 7
	v_mov_b32_e32 v15, 0
	v_lshlrev_b64 v[2:3], 2, v[14:15]
	s_waitcnt lgkmcnt(0)
	v_mov_b32_e32 v1, s1
	v_add_co_u32_e32 v2, vcc, s0, v2
	v_add_u32_e32 v4, 1, v14
	v_mov_b32_e32 v5, v15
	v_addc_co_u32_e32 v3, vcc, v1, v3, vcc
	v_lshlrev_b64 v[4:5], 2, v[4:5]
	v_add_co_u32_e32 v4, vcc, s0, v4
	v_add_u32_e32 v6, 2, v14
	v_mov_b32_e32 v7, v15
	v_addc_co_u32_e32 v5, vcc, v1, v5, vcc
	v_lshlrev_b64 v[6:7], 2, v[6:7]
	;; [unrolled: 5-line block ×5, first 2 shown]
	v_add_co_u32_e32 v12, vcc, s0, v12
	v_add_u32_e32 v14, 6, v14
	v_addc_co_u32_e32 v13, vcc, v1, v13, vcc
	v_lshlrev_b64 v[14:15], 2, v[14:15]
	v_add_co_u32_e32 v14, vcc, s0, v14
	v_addc_co_u32_e32 v15, vcc, v1, v15, vcc
	global_load_dword v1, v[2:3], off
	global_load_dword v16, v[4:5], off
	;; [unrolled: 1-line block ×7, first 2 shown]
	v_lshlrev_b32_e32 v22, 2, v0
	v_cmp_gt_u32_e32 vcc, 64, v0
	s_waitcnt vmcnt(5)
	v_add_f32_e32 v23, v1, v16
	s_waitcnt vmcnt(4)
	v_add_f32_e32 v23, v17, v23
	;; [unrolled: 2-line block ×6, first 2 shown]
	ds_write_b32 v22, v23
	s_waitcnt lgkmcnt(0)
	s_barrier
	s_and_saveexec_b64 s[0:1], vcc
	s_cbranch_execz .LBB191_2
; %bb.1:
	v_mul_u32_u24_e32 v24, 3, v0
	v_lshlrev_b32_e32 v26, 2, v24
	ds_read2_b32 v[24:25], v26 offset1:1
	ds_read_b32 v27, v26 offset:8
	v_mbcnt_lo_u32_b32 v28, -1, 0
	v_mbcnt_hi_u32_b32 v28, -1, v28
	v_and_b32_e32 v29, 15, v28
	s_waitcnt lgkmcnt(1)
	v_add_f32_e32 v30, v24, v25
	s_waitcnt lgkmcnt(0)
	v_add_f32_e32 v30, v30, v27
	v_cmp_eq_u32_e32 vcc, 0, v29
	s_nop 0
	v_mov_b32_dpp v31, v30 row_shr:1 row_mask:0xf bank_mask:0xf
	v_add_f32_e32 v31, v30, v31
	v_cndmask_b32_e32 v30, v31, v30, vcc
	v_cmp_lt_u32_e32 vcc, 1, v29
	s_nop 0
	v_mov_b32_dpp v31, v30 row_shr:2 row_mask:0xf bank_mask:0xf
	v_add_f32_e32 v31, v30, v31
	v_cndmask_b32_e32 v30, v30, v31, vcc
	v_cmp_lt_u32_e32 vcc, 3, v29
	;; [unrolled: 5-line block ×3, first 2 shown]
	s_nop 0
	v_mov_b32_dpp v31, v30 row_shr:8 row_mask:0xf bank_mask:0xf
	v_add_f32_e32 v31, v30, v31
	v_cndmask_b32_e32 v29, v30, v31, vcc
	v_and_b32_e32 v31, 16, v28
	v_cmp_eq_u32_e32 vcc, 0, v31
	v_mov_b32_dpp v30, v29 row_bcast:15 row_mask:0xf bank_mask:0xf
	v_add_f32_e32 v30, v29, v30
	v_cndmask_b32_e32 v29, v30, v29, vcc
	v_cmp_lt_u32_e32 vcc, 31, v28
	v_and_b32_e32 v31, 64, v28
	v_mov_b32_dpp v30, v29 row_bcast:31 row_mask:0xf bank_mask:0xf
	v_add_f32_e32 v30, v29, v30
	v_cndmask_b32_e32 v29, v29, v30, vcc
	v_add_u32_e32 v30, -1, v28
	v_cmp_lt_i32_e32 vcc, v30, v31
	v_cndmask_b32_e32 v28, v30, v28, vcc
	v_lshlrev_b32_e32 v28, 2, v28
	ds_bpermute_b32 v28, v28, v29
	v_cmp_eq_u32_e32 vcc, 0, v0
	s_waitcnt lgkmcnt(0)
	v_add_f32_e32 v24, v24, v28
	v_cndmask_b32_e32 v24, v24, v23, vcc
	v_add_f32_e32 v25, v25, v24
	ds_write2_b32 v26, v24, v25 offset1:1
	v_add_f32_e32 v24, v27, v25
	ds_write_b32 v26, v24 offset:8
.LBB191_2:
	s_or_b64 exec, exec, s[0:1]
	v_cmp_eq_u32_e32 vcc, 0, v0
	v_cmp_ne_u32_e64 s[0:1], 0, v0
	s_waitcnt lgkmcnt(0)
	s_barrier
	s_and_saveexec_b64 s[4:5], s[0:1]
	s_cbranch_execz .LBB191_4
; %bb.3:
	v_add_u32_e32 v0, -4, v22
	ds_read_b32 v23, v0
.LBB191_4:
	s_or_b64 exec, exec, s[4:5]
	s_waitcnt lgkmcnt(0)
	v_add_f32_e32 v0, v1, v23
	v_cndmask_b32_e32 v0, v0, v1, vcc
	v_add_f32_e32 v1, v16, v0
	v_add_f32_e32 v16, v17, v1
	;; [unrolled: 1-line block ×6, first 2 shown]
	global_store_dword v[2:3], v0, off
	global_store_dword v[4:5], v1, off
	;; [unrolled: 1-line block ×7, first 2 shown]
	s_and_saveexec_b64 s[0:1], vcc
	s_cbranch_execz .LBB191_6
; %bb.5:
	v_mov_b32_e32 v0, 0
	ds_read_b32 v1, v0 offset:644
	s_mov_b32 s7, 0
	s_lshl_b64 s[0:1], s[6:7], 2
	s_add_u32 s0, s2, s0
	s_addc_u32 s1, s3, s1
	s_waitcnt lgkmcnt(0)
	global_store_dword v0, v1, s[0:1]
.LBB191_6:
	s_endpgm
	.section	.rodata,"a",@progbits
	.p2align	6, 0x0
	.amdhsa_kernel _Z34inclusive_scan_reduce_array_kernelILj162ELj7ELN6hipcub18BlockScanAlgorithmE1EfEvPT2_S3_
		.amdhsa_group_segment_fixed_size 768
		.amdhsa_private_segment_fixed_size 0
		.amdhsa_kernarg_size 16
		.amdhsa_user_sgpr_count 6
		.amdhsa_user_sgpr_private_segment_buffer 1
		.amdhsa_user_sgpr_dispatch_ptr 0
		.amdhsa_user_sgpr_queue_ptr 0
		.amdhsa_user_sgpr_kernarg_segment_ptr 1
		.amdhsa_user_sgpr_dispatch_id 0
		.amdhsa_user_sgpr_flat_scratch_init 0
		.amdhsa_user_sgpr_kernarg_preload_length 0
		.amdhsa_user_sgpr_kernarg_preload_offset 0
		.amdhsa_user_sgpr_private_segment_size 0
		.amdhsa_uses_dynamic_stack 0
		.amdhsa_system_sgpr_private_segment_wavefront_offset 0
		.amdhsa_system_sgpr_workgroup_id_x 1
		.amdhsa_system_sgpr_workgroup_id_y 0
		.amdhsa_system_sgpr_workgroup_id_z 0
		.amdhsa_system_sgpr_workgroup_info 0
		.amdhsa_system_vgpr_workitem_id 0
		.amdhsa_next_free_vgpr 32
		.amdhsa_next_free_sgpr 8
		.amdhsa_accum_offset 32
		.amdhsa_reserve_vcc 1
		.amdhsa_reserve_flat_scratch 0
		.amdhsa_float_round_mode_32 0
		.amdhsa_float_round_mode_16_64 0
		.amdhsa_float_denorm_mode_32 3
		.amdhsa_float_denorm_mode_16_64 3
		.amdhsa_dx10_clamp 1
		.amdhsa_ieee_mode 1
		.amdhsa_fp16_overflow 0
		.amdhsa_tg_split 0
		.amdhsa_exception_fp_ieee_invalid_op 0
		.amdhsa_exception_fp_denorm_src 0
		.amdhsa_exception_fp_ieee_div_zero 0
		.amdhsa_exception_fp_ieee_overflow 0
		.amdhsa_exception_fp_ieee_underflow 0
		.amdhsa_exception_fp_ieee_inexact 0
		.amdhsa_exception_int_div_zero 0
	.end_amdhsa_kernel
	.section	.text._Z34inclusive_scan_reduce_array_kernelILj162ELj7ELN6hipcub18BlockScanAlgorithmE1EfEvPT2_S3_,"axG",@progbits,_Z34inclusive_scan_reduce_array_kernelILj162ELj7ELN6hipcub18BlockScanAlgorithmE1EfEvPT2_S3_,comdat
.Lfunc_end191:
	.size	_Z34inclusive_scan_reduce_array_kernelILj162ELj7ELN6hipcub18BlockScanAlgorithmE1EfEvPT2_S3_, .Lfunc_end191-_Z34inclusive_scan_reduce_array_kernelILj162ELj7ELN6hipcub18BlockScanAlgorithmE1EfEvPT2_S3_
                                        ; -- End function
	.section	.AMDGPU.csdata,"",@progbits
; Kernel info:
; codeLenInByte = 792
; NumSgprs: 12
; NumVgprs: 32
; NumAgprs: 0
; TotalNumVgprs: 32
; ScratchSize: 0
; MemoryBound: 0
; FloatMode: 240
; IeeeMode: 1
; LDSByteSize: 768 bytes/workgroup (compile time only)
; SGPRBlocks: 1
; VGPRBlocks: 3
; NumSGPRsForWavesPerEU: 12
; NumVGPRsForWavesPerEU: 32
; AccumOffset: 32
; Occupancy: 8
; WaveLimiterHint : 0
; COMPUTE_PGM_RSRC2:SCRATCH_EN: 0
; COMPUTE_PGM_RSRC2:USER_SGPR: 6
; COMPUTE_PGM_RSRC2:TRAP_HANDLER: 0
; COMPUTE_PGM_RSRC2:TGID_X_EN: 1
; COMPUTE_PGM_RSRC2:TGID_Y_EN: 0
; COMPUTE_PGM_RSRC2:TGID_Z_EN: 0
; COMPUTE_PGM_RSRC2:TIDIG_COMP_CNT: 0
; COMPUTE_PGM_RSRC3_GFX90A:ACCUM_OFFSET: 7
; COMPUTE_PGM_RSRC3_GFX90A:TG_SPLIT: 0
	.section	.text._Z34inclusive_scan_reduce_array_kernelILj65ELj5ELN6hipcub18BlockScanAlgorithmE1EfEvPT2_S3_,"axG",@progbits,_Z34inclusive_scan_reduce_array_kernelILj65ELj5ELN6hipcub18BlockScanAlgorithmE1EfEvPT2_S3_,comdat
	.protected	_Z34inclusive_scan_reduce_array_kernelILj65ELj5ELN6hipcub18BlockScanAlgorithmE1EfEvPT2_S3_ ; -- Begin function _Z34inclusive_scan_reduce_array_kernelILj65ELj5ELN6hipcub18BlockScanAlgorithmE1EfEvPT2_S3_
	.globl	_Z34inclusive_scan_reduce_array_kernelILj65ELj5ELN6hipcub18BlockScanAlgorithmE1EfEvPT2_S3_
	.p2align	8
	.type	_Z34inclusive_scan_reduce_array_kernelILj65ELj5ELN6hipcub18BlockScanAlgorithmE1EfEvPT2_S3_,@function
_Z34inclusive_scan_reduce_array_kernelILj65ELj5ELN6hipcub18BlockScanAlgorithmE1EfEvPT2_S3_: ; @_Z34inclusive_scan_reduce_array_kernelILj65ELj5ELN6hipcub18BlockScanAlgorithmE1EfEvPT2_S3_
; %bb.0:
	s_load_dwordx4 s[0:3], s[4:5], 0x0
	s_mul_i32 s4, s6, 0x41
	v_add_u32_e32 v1, s4, v0
	v_lshl_add_u32 v10, v1, 2, v1
	v_mov_b32_e32 v11, 0
	v_lshlrev_b64 v[2:3], 2, v[10:11]
	s_waitcnt lgkmcnt(0)
	v_mov_b32_e32 v1, s1
	v_add_co_u32_e32 v2, vcc, s0, v2
	v_add_u32_e32 v4, 1, v10
	v_mov_b32_e32 v5, v11
	v_addc_co_u32_e32 v3, vcc, v1, v3, vcc
	v_lshlrev_b64 v[4:5], 2, v[4:5]
	v_add_co_u32_e32 v4, vcc, s0, v4
	v_add_u32_e32 v6, 2, v10
	v_mov_b32_e32 v7, v11
	v_addc_co_u32_e32 v5, vcc, v1, v5, vcc
	v_lshlrev_b64 v[6:7], 2, v[6:7]
	;; [unrolled: 5-line block ×3, first 2 shown]
	v_add_co_u32_e32 v8, vcc, s0, v8
	v_add_u32_e32 v10, 4, v10
	v_addc_co_u32_e32 v9, vcc, v1, v9, vcc
	v_lshlrev_b64 v[10:11], 2, v[10:11]
	v_add_co_u32_e32 v10, vcc, s0, v10
	v_addc_co_u32_e32 v11, vcc, v1, v11, vcc
	global_load_dword v1, v[2:3], off
	global_load_dword v12, v[4:5], off
	;; [unrolled: 1-line block ×5, first 2 shown]
	v_lshrrev_b32_e32 v16, 5, v0
	v_add_lshl_u32 v17, v16, v0, 2
	v_cmp_gt_u32_e32 vcc, 64, v0
	s_waitcnt vmcnt(3)
	v_add_f32_e32 v16, v1, v12
	s_waitcnt vmcnt(2)
	v_add_f32_e32 v16, v13, v16
	;; [unrolled: 2-line block ×4, first 2 shown]
	ds_write_b32 v17, v16
	s_waitcnt lgkmcnt(0)
	s_barrier
	s_and_saveexec_b64 s[0:1], vcc
	s_cbranch_execz .LBB192_2
; %bb.1:
	v_lshlrev_b32_e32 v17, 1, v0
	v_lshrrev_b32_e32 v18, 4, v0
	v_add_lshl_u32 v17, v18, v17, 2
	ds_read2_b32 v[18:19], v17 offset1:1
	v_mbcnt_lo_u32_b32 v20, -1, 0
	v_mbcnt_hi_u32_b32 v20, -1, v20
	v_and_b32_e32 v21, 15, v20
	v_cmp_eq_u32_e32 vcc, 0, v21
	s_waitcnt lgkmcnt(0)
	v_add_f32_e32 v22, v18, v19
	s_nop 1
	v_mov_b32_dpp v23, v22 row_shr:1 row_mask:0xf bank_mask:0xf
	v_add_f32_e32 v23, v22, v23
	v_cndmask_b32_e32 v22, v23, v22, vcc
	v_cmp_lt_u32_e32 vcc, 1, v21
	s_nop 0
	v_mov_b32_dpp v23, v22 row_shr:2 row_mask:0xf bank_mask:0xf
	v_add_f32_e32 v23, v22, v23
	v_cndmask_b32_e32 v22, v22, v23, vcc
	v_cmp_lt_u32_e32 vcc, 3, v21
	;; [unrolled: 5-line block ×3, first 2 shown]
	s_nop 0
	v_mov_b32_dpp v23, v22 row_shr:8 row_mask:0xf bank_mask:0xf
	v_add_f32_e32 v23, v22, v23
	v_cndmask_b32_e32 v21, v22, v23, vcc
	v_and_b32_e32 v23, 16, v20
	v_cmp_eq_u32_e32 vcc, 0, v23
	v_mov_b32_dpp v22, v21 row_bcast:15 row_mask:0xf bank_mask:0xf
	v_add_f32_e32 v22, v21, v22
	v_cndmask_b32_e32 v21, v22, v21, vcc
	v_cmp_lt_u32_e32 vcc, 31, v20
	v_and_b32_e32 v23, 64, v20
	v_mov_b32_dpp v22, v21 row_bcast:31 row_mask:0xf bank_mask:0xf
	v_add_f32_e32 v22, v21, v22
	v_cndmask_b32_e32 v21, v21, v22, vcc
	v_add_u32_e32 v22, -1, v20
	v_cmp_lt_i32_e32 vcc, v22, v23
	v_cndmask_b32_e32 v20, v22, v20, vcc
	v_lshlrev_b32_e32 v20, 2, v20
	ds_bpermute_b32 v20, v20, v21
	v_cmp_eq_u32_e32 vcc, 0, v0
	s_waitcnt lgkmcnt(0)
	v_add_f32_e32 v18, v18, v20
	v_cndmask_b32_e32 v18, v18, v16, vcc
	v_add_f32_e32 v19, v19, v18
	ds_write2_b32 v17, v18, v19 offset1:1
.LBB192_2:
	s_or_b64 exec, exec, s[0:1]
	v_cmp_eq_u32_e32 vcc, 0, v0
	v_cmp_ne_u32_e64 s[0:1], 0, v0
	s_waitcnt lgkmcnt(0)
	s_barrier
	s_and_saveexec_b64 s[4:5], s[0:1]
	s_cbranch_execz .LBB192_4
; %bb.3:
	v_add_u32_e32 v0, -1, v0
	v_lshrrev_b32_e32 v16, 5, v0
	v_add_lshl_u32 v0, v16, v0, 2
	ds_read_b32 v16, v0
.LBB192_4:
	s_or_b64 exec, exec, s[4:5]
	s_waitcnt lgkmcnt(0)
	v_add_f32_e32 v0, v1, v16
	v_cndmask_b32_e32 v0, v0, v1, vcc
	v_add_f32_e32 v1, v12, v0
	v_add_f32_e32 v12, v13, v1
	;; [unrolled: 1-line block ×4, first 2 shown]
	global_store_dword v[2:3], v0, off
	global_store_dword v[4:5], v1, off
	;; [unrolled: 1-line block ×5, first 2 shown]
	s_and_saveexec_b64 s[0:1], vcc
	s_cbranch_execz .LBB192_6
; %bb.5:
	v_mov_b32_e32 v0, 0
	ds_read_b32 v1, v0 offset:264
	s_mov_b32 s7, 0
	s_lshl_b64 s[0:1], s[6:7], 2
	s_add_u32 s0, s2, s0
	s_addc_u32 s1, s3, s1
	s_waitcnt lgkmcnt(0)
	global_store_dword v0, v1, s[0:1]
.LBB192_6:
	s_endpgm
	.section	.rodata,"a",@progbits
	.p2align	6, 0x0
	.amdhsa_kernel _Z34inclusive_scan_reduce_array_kernelILj65ELj5ELN6hipcub18BlockScanAlgorithmE1EfEvPT2_S3_
		.amdhsa_group_segment_fixed_size 528
		.amdhsa_private_segment_fixed_size 0
		.amdhsa_kernarg_size 16
		.amdhsa_user_sgpr_count 6
		.amdhsa_user_sgpr_private_segment_buffer 1
		.amdhsa_user_sgpr_dispatch_ptr 0
		.amdhsa_user_sgpr_queue_ptr 0
		.amdhsa_user_sgpr_kernarg_segment_ptr 1
		.amdhsa_user_sgpr_dispatch_id 0
		.amdhsa_user_sgpr_flat_scratch_init 0
		.amdhsa_user_sgpr_kernarg_preload_length 0
		.amdhsa_user_sgpr_kernarg_preload_offset 0
		.amdhsa_user_sgpr_private_segment_size 0
		.amdhsa_uses_dynamic_stack 0
		.amdhsa_system_sgpr_private_segment_wavefront_offset 0
		.amdhsa_system_sgpr_workgroup_id_x 1
		.amdhsa_system_sgpr_workgroup_id_y 0
		.amdhsa_system_sgpr_workgroup_id_z 0
		.amdhsa_system_sgpr_workgroup_info 0
		.amdhsa_system_vgpr_workitem_id 0
		.amdhsa_next_free_vgpr 24
		.amdhsa_next_free_sgpr 8
		.amdhsa_accum_offset 24
		.amdhsa_reserve_vcc 1
		.amdhsa_reserve_flat_scratch 0
		.amdhsa_float_round_mode_32 0
		.amdhsa_float_round_mode_16_64 0
		.amdhsa_float_denorm_mode_32 3
		.amdhsa_float_denorm_mode_16_64 3
		.amdhsa_dx10_clamp 1
		.amdhsa_ieee_mode 1
		.amdhsa_fp16_overflow 0
		.amdhsa_tg_split 0
		.amdhsa_exception_fp_ieee_invalid_op 0
		.amdhsa_exception_fp_denorm_src 0
		.amdhsa_exception_fp_ieee_div_zero 0
		.amdhsa_exception_fp_ieee_overflow 0
		.amdhsa_exception_fp_ieee_underflow 0
		.amdhsa_exception_fp_ieee_inexact 0
		.amdhsa_exception_int_div_zero 0
	.end_amdhsa_kernel
	.section	.text._Z34inclusive_scan_reduce_array_kernelILj65ELj5ELN6hipcub18BlockScanAlgorithmE1EfEvPT2_S3_,"axG",@progbits,_Z34inclusive_scan_reduce_array_kernelILj65ELj5ELN6hipcub18BlockScanAlgorithmE1EfEvPT2_S3_,comdat
.Lfunc_end192:
	.size	_Z34inclusive_scan_reduce_array_kernelILj65ELj5ELN6hipcub18BlockScanAlgorithmE1EfEvPT2_S3_, .Lfunc_end192-_Z34inclusive_scan_reduce_array_kernelILj65ELj5ELN6hipcub18BlockScanAlgorithmE1EfEvPT2_S3_
                                        ; -- End function
	.section	.AMDGPU.csdata,"",@progbits
; Kernel info:
; codeLenInByte = 688
; NumSgprs: 12
; NumVgprs: 24
; NumAgprs: 0
; TotalNumVgprs: 24
; ScratchSize: 0
; MemoryBound: 0
; FloatMode: 240
; IeeeMode: 1
; LDSByteSize: 528 bytes/workgroup (compile time only)
; SGPRBlocks: 1
; VGPRBlocks: 2
; NumSGPRsForWavesPerEU: 12
; NumVGPRsForWavesPerEU: 24
; AccumOffset: 24
; Occupancy: 8
; WaveLimiterHint : 0
; COMPUTE_PGM_RSRC2:SCRATCH_EN: 0
; COMPUTE_PGM_RSRC2:USER_SGPR: 6
; COMPUTE_PGM_RSRC2:TRAP_HANDLER: 0
; COMPUTE_PGM_RSRC2:TGID_X_EN: 1
; COMPUTE_PGM_RSRC2:TGID_Y_EN: 0
; COMPUTE_PGM_RSRC2:TGID_Z_EN: 0
; COMPUTE_PGM_RSRC2:TIDIG_COMP_CNT: 0
; COMPUTE_PGM_RSRC3_GFX90A:ACCUM_OFFSET: 5
; COMPUTE_PGM_RSRC3_GFX90A:TG_SPLIT: 0
	.section	.text._Z34inclusive_scan_reduce_array_kernelILj37ELj2ELN6hipcub18BlockScanAlgorithmE1EfEvPT2_S3_,"axG",@progbits,_Z34inclusive_scan_reduce_array_kernelILj37ELj2ELN6hipcub18BlockScanAlgorithmE1EfEvPT2_S3_,comdat
	.protected	_Z34inclusive_scan_reduce_array_kernelILj37ELj2ELN6hipcub18BlockScanAlgorithmE1EfEvPT2_S3_ ; -- Begin function _Z34inclusive_scan_reduce_array_kernelILj37ELj2ELN6hipcub18BlockScanAlgorithmE1EfEvPT2_S3_
	.globl	_Z34inclusive_scan_reduce_array_kernelILj37ELj2ELN6hipcub18BlockScanAlgorithmE1EfEvPT2_S3_
	.p2align	8
	.type	_Z34inclusive_scan_reduce_array_kernelILj37ELj2ELN6hipcub18BlockScanAlgorithmE1EfEvPT2_S3_,@function
_Z34inclusive_scan_reduce_array_kernelILj37ELj2ELN6hipcub18BlockScanAlgorithmE1EfEvPT2_S3_: ; @_Z34inclusive_scan_reduce_array_kernelILj37ELj2ELN6hipcub18BlockScanAlgorithmE1EfEvPT2_S3_
; %bb.0:
	s_load_dwordx4 s[0:3], s[4:5], 0x0
	s_mul_i32 s4, s6, 37
	v_add_lshl_u32 v6, s4, v0, 1
	v_mov_b32_e32 v7, 0
	v_lshlrev_b64 v[2:3], 2, v[6:7]
	s_waitcnt lgkmcnt(0)
	v_mov_b32_e32 v1, s1
	v_add_co_u32_e32 v2, vcc, s0, v2
	v_addc_co_u32_e32 v3, vcc, v1, v3, vcc
	global_load_dwordx2 v[4:5], v[2:3], off
	v_mbcnt_lo_u32_b32 v1, -1, 0
	v_mbcnt_hi_u32_b32 v1, -1, v1
	v_and_b32_e32 v6, 15, v1
	v_cmp_eq_u32_e32 vcc, 0, v6
	v_and_b32_e32 v8, 16, v1
	s_waitcnt vmcnt(0)
	v_add_f32_e32 v9, v4, v5
	s_nop 1
	v_mov_b32_dpp v10, v9 row_shr:1 row_mask:0xf bank_mask:0xf
	v_add_f32_e32 v10, v9, v10
	v_cndmask_b32_e32 v9, v10, v9, vcc
	v_cmp_lt_u32_e32 vcc, 1, v6
	s_nop 0
	v_mov_b32_dpp v10, v9 row_shr:2 row_mask:0xf bank_mask:0xf
	v_add_f32_e32 v10, v9, v10
	v_cndmask_b32_e32 v9, v9, v10, vcc
	v_cmp_lt_u32_e32 vcc, 3, v6
	;; [unrolled: 5-line block ×3, first 2 shown]
	s_nop 0
	v_mov_b32_dpp v10, v9 row_shr:8 row_mask:0xf bank_mask:0xf
	v_add_f32_e32 v10, v9, v10
	v_cndmask_b32_e32 v6, v9, v10, vcc
	v_cmp_eq_u32_e32 vcc, 0, v8
	s_nop 0
	v_mov_b32_dpp v9, v6 row_bcast:15 row_mask:0xf bank_mask:0xf
	v_add_f32_e32 v9, v6, v9
	v_cndmask_b32_e32 v6, v9, v6, vcc
	v_cmp_lt_u32_e32 vcc, 31, v1
	s_nop 0
	v_mov_b32_dpp v8, v6 row_bcast:31 row_mask:0xf bank_mask:0xf
	v_add_f32_e32 v8, v6, v8
	v_cndmask_b32_e32 v6, v6, v8, vcc
	v_cmp_eq_u32_e32 vcc, 36, v0
	s_and_saveexec_b64 s[0:1], vcc
	s_cbranch_execz .LBB193_2
; %bb.1:
	ds_write_b32 v7, v6
.LBB193_2:
	s_or_b64 exec, exec, s[0:1]
	v_add_u32_e32 v7, -1, v1
	v_and_b32_e32 v8, 64, v1
	v_cmp_lt_i32_e32 vcc, v7, v8
	v_cndmask_b32_e32 v1, v7, v1, vcc
	v_lshlrev_b32_e32 v1, 2, v1
	ds_bpermute_b32 v1, v1, v6
	v_cmp_eq_u32_e32 vcc, 0, v0
	s_waitcnt lgkmcnt(0)
	; wave barrier
	s_waitcnt lgkmcnt(0)
	v_add_f32_e32 v1, v4, v1
	v_cndmask_b32_e32 v0, v1, v4, vcc
	v_add_f32_e32 v1, v5, v0
	global_store_dwordx2 v[2:3], v[0:1], off
	s_and_saveexec_b64 s[0:1], vcc
	s_cbranch_execz .LBB193_4
; %bb.3:
	v_mov_b32_e32 v0, 0
	ds_read_b32 v1, v0
	s_mov_b32 s7, 0
	s_lshl_b64 s[0:1], s[6:7], 2
	s_add_u32 s0, s2, s0
	s_addc_u32 s1, s3, s1
	s_waitcnt lgkmcnt(0)
	global_store_dword v0, v1, s[0:1]
.LBB193_4:
	s_endpgm
	.section	.rodata,"a",@progbits
	.p2align	6, 0x0
	.amdhsa_kernel _Z34inclusive_scan_reduce_array_kernelILj37ELj2ELN6hipcub18BlockScanAlgorithmE1EfEvPT2_S3_
		.amdhsa_group_segment_fixed_size 4
		.amdhsa_private_segment_fixed_size 0
		.amdhsa_kernarg_size 16
		.amdhsa_user_sgpr_count 6
		.amdhsa_user_sgpr_private_segment_buffer 1
		.amdhsa_user_sgpr_dispatch_ptr 0
		.amdhsa_user_sgpr_queue_ptr 0
		.amdhsa_user_sgpr_kernarg_segment_ptr 1
		.amdhsa_user_sgpr_dispatch_id 0
		.amdhsa_user_sgpr_flat_scratch_init 0
		.amdhsa_user_sgpr_kernarg_preload_length 0
		.amdhsa_user_sgpr_kernarg_preload_offset 0
		.amdhsa_user_sgpr_private_segment_size 0
		.amdhsa_uses_dynamic_stack 0
		.amdhsa_system_sgpr_private_segment_wavefront_offset 0
		.amdhsa_system_sgpr_workgroup_id_x 1
		.amdhsa_system_sgpr_workgroup_id_y 0
		.amdhsa_system_sgpr_workgroup_id_z 0
		.amdhsa_system_sgpr_workgroup_info 0
		.amdhsa_system_vgpr_workitem_id 0
		.amdhsa_next_free_vgpr 11
		.amdhsa_next_free_sgpr 8
		.amdhsa_accum_offset 12
		.amdhsa_reserve_vcc 1
		.amdhsa_reserve_flat_scratch 0
		.amdhsa_float_round_mode_32 0
		.amdhsa_float_round_mode_16_64 0
		.amdhsa_float_denorm_mode_32 3
		.amdhsa_float_denorm_mode_16_64 3
		.amdhsa_dx10_clamp 1
		.amdhsa_ieee_mode 1
		.amdhsa_fp16_overflow 0
		.amdhsa_tg_split 0
		.amdhsa_exception_fp_ieee_invalid_op 0
		.amdhsa_exception_fp_denorm_src 0
		.amdhsa_exception_fp_ieee_div_zero 0
		.amdhsa_exception_fp_ieee_overflow 0
		.amdhsa_exception_fp_ieee_underflow 0
		.amdhsa_exception_fp_ieee_inexact 0
		.amdhsa_exception_int_div_zero 0
	.end_amdhsa_kernel
	.section	.text._Z34inclusive_scan_reduce_array_kernelILj37ELj2ELN6hipcub18BlockScanAlgorithmE1EfEvPT2_S3_,"axG",@progbits,_Z34inclusive_scan_reduce_array_kernelILj37ELj2ELN6hipcub18BlockScanAlgorithmE1EfEvPT2_S3_,comdat
.Lfunc_end193:
	.size	_Z34inclusive_scan_reduce_array_kernelILj37ELj2ELN6hipcub18BlockScanAlgorithmE1EfEvPT2_S3_, .Lfunc_end193-_Z34inclusive_scan_reduce_array_kernelILj37ELj2ELN6hipcub18BlockScanAlgorithmE1EfEvPT2_S3_
                                        ; -- End function
	.section	.AMDGPU.csdata,"",@progbits
; Kernel info:
; codeLenInByte = 368
; NumSgprs: 12
; NumVgprs: 11
; NumAgprs: 0
; TotalNumVgprs: 11
; ScratchSize: 0
; MemoryBound: 0
; FloatMode: 240
; IeeeMode: 1
; LDSByteSize: 4 bytes/workgroup (compile time only)
; SGPRBlocks: 1
; VGPRBlocks: 1
; NumSGPRsForWavesPerEU: 12
; NumVGPRsForWavesPerEU: 11
; AccumOffset: 12
; Occupancy: 8
; WaveLimiterHint : 0
; COMPUTE_PGM_RSRC2:SCRATCH_EN: 0
; COMPUTE_PGM_RSRC2:USER_SGPR: 6
; COMPUTE_PGM_RSRC2:TRAP_HANDLER: 0
; COMPUTE_PGM_RSRC2:TGID_X_EN: 1
; COMPUTE_PGM_RSRC2:TGID_Y_EN: 0
; COMPUTE_PGM_RSRC2:TGID_Z_EN: 0
; COMPUTE_PGM_RSRC2:TIDIG_COMP_CNT: 0
; COMPUTE_PGM_RSRC3_GFX90A:ACCUM_OFFSET: 2
; COMPUTE_PGM_RSRC3_GFX90A:TG_SPLIT: 0
	.section	.text._Z34inclusive_scan_reduce_array_kernelILj512ELj4ELN6hipcub18BlockScanAlgorithmE1EjEvPT2_S3_,"axG",@progbits,_Z34inclusive_scan_reduce_array_kernelILj512ELj4ELN6hipcub18BlockScanAlgorithmE1EjEvPT2_S3_,comdat
	.protected	_Z34inclusive_scan_reduce_array_kernelILj512ELj4ELN6hipcub18BlockScanAlgorithmE1EjEvPT2_S3_ ; -- Begin function _Z34inclusive_scan_reduce_array_kernelILj512ELj4ELN6hipcub18BlockScanAlgorithmE1EjEvPT2_S3_
	.globl	_Z34inclusive_scan_reduce_array_kernelILj512ELj4ELN6hipcub18BlockScanAlgorithmE1EjEvPT2_S3_
	.p2align	8
	.type	_Z34inclusive_scan_reduce_array_kernelILj512ELj4ELN6hipcub18BlockScanAlgorithmE1EjEvPT2_S3_,@function
_Z34inclusive_scan_reduce_array_kernelILj512ELj4ELN6hipcub18BlockScanAlgorithmE1EjEvPT2_S3_: ; @_Z34inclusive_scan_reduce_array_kernelILj512ELj4ELN6hipcub18BlockScanAlgorithmE1EjEvPT2_S3_
; %bb.0:
	s_load_dwordx4 s[0:3], s[4:5], 0x0
	v_lshlrev_b32_e32 v1, 2, v0
	v_lshl_or_b32 v8, s6, 11, v1
	v_mov_b32_e32 v9, 0
	v_lshlrev_b64 v[2:3], 2, v[8:9]
	s_waitcnt lgkmcnt(0)
	v_mov_b32_e32 v1, s1
	v_add_co_u32_e32 v6, vcc, s0, v2
	v_addc_co_u32_e32 v7, vcc, v1, v3, vcc
	global_load_dwordx4 v[2:5], v[6:7], off
	v_lshrrev_b32_e32 v1, 5, v0
	v_add_lshl_u32 v8, v1, v0, 2
	v_cmp_gt_u32_e32 vcc, 64, v0
	s_waitcnt vmcnt(0)
	v_add_u32_e32 v1, v3, v2
	v_add3_u32 v1, v1, v4, v5
	ds_write_b32 v8, v1
	s_waitcnt lgkmcnt(0)
	s_barrier
	s_and_saveexec_b64 s[0:1], vcc
	s_cbranch_execz .LBB194_2
; %bb.1:
	v_lshlrev_b32_e32 v8, 3, v0
	v_lshrrev_b32_e32 v10, 2, v0
	v_add_lshl_u32 v8, v10, v8, 2
	ds_read2_b32 v[10:11], v8 offset1:1
	ds_read2_b32 v[12:13], v8 offset0:2 offset1:3
	ds_read2_b32 v[14:15], v8 offset0:4 offset1:5
	;; [unrolled: 1-line block ×3, first 2 shown]
	v_mbcnt_lo_u32_b32 v19, -1, 0
	s_waitcnt lgkmcnt(3)
	v_add_u32_e32 v18, v11, v10
	s_waitcnt lgkmcnt(2)
	v_add3_u32 v18, v18, v12, v13
	s_waitcnt lgkmcnt(1)
	v_add3_u32 v18, v18, v14, v15
	v_mbcnt_hi_u32_b32 v19, -1, v19
	s_waitcnt lgkmcnt(0)
	v_add3_u32 v18, v18, v16, v17
	v_and_b32_e32 v20, 15, v19
	v_cmp_ne_u32_e32 vcc, 0, v20
	v_mov_b32_dpp v21, v18 row_shr:1 row_mask:0xf bank_mask:0xf
	v_cndmask_b32_e32 v21, 0, v21, vcc
	v_add_u32_e32 v18, v21, v18
	v_cmp_lt_u32_e32 vcc, 1, v20
	s_nop 0
	v_mov_b32_dpp v21, v18 row_shr:2 row_mask:0xf bank_mask:0xf
	v_cndmask_b32_e32 v21, 0, v21, vcc
	v_add_u32_e32 v18, v18, v21
	v_cmp_lt_u32_e32 vcc, 3, v20
	s_nop 0
	;; [unrolled: 5-line block ×3, first 2 shown]
	v_mov_b32_dpp v21, v18 row_shr:8 row_mask:0xf bank_mask:0xf
	v_cndmask_b32_e32 v20, 0, v21, vcc
	v_add_u32_e32 v18, v18, v20
	v_bfe_i32 v21, v19, 4, 1
	v_cmp_lt_u32_e32 vcc, 31, v19
	v_mov_b32_dpp v20, v18 row_bcast:15 row_mask:0xf bank_mask:0xf
	v_and_b32_e32 v20, v21, v20
	v_add_u32_e32 v18, v18, v20
	v_and_b32_e32 v21, 64, v19
	s_nop 0
	v_mov_b32_dpp v20, v18 row_bcast:31 row_mask:0xf bank_mask:0xf
	v_cndmask_b32_e32 v20, 0, v20, vcc
	v_add_u32_e32 v18, v18, v20
	v_add_u32_e32 v20, -1, v19
	v_cmp_lt_i32_e32 vcc, v20, v21
	v_cndmask_b32_e32 v19, v20, v19, vcc
	v_lshlrev_b32_e32 v19, 2, v19
	ds_bpermute_b32 v18, v19, v18
	v_cmp_eq_u32_e32 vcc, 0, v0
	s_waitcnt lgkmcnt(0)
	v_add_u32_e32 v10, v18, v10
	v_cndmask_b32_e32 v1, v10, v1, vcc
	v_add_u32_e32 v10, v1, v11
	ds_write2_b32 v8, v1, v10 offset1:1
	v_add_u32_e32 v1, v10, v12
	v_add_u32_e32 v10, v1, v13
	ds_write2_b32 v8, v1, v10 offset0:2 offset1:3
	v_add_u32_e32 v1, v10, v14
	v_add_u32_e32 v10, v1, v15
	ds_write2_b32 v8, v1, v10 offset0:4 offset1:5
	;; [unrolled: 3-line block ×3, first 2 shown]
.LBB194_2:
	s_or_b64 exec, exec, s[0:1]
	v_cmp_eq_u32_e32 vcc, 0, v0
	v_cmp_ne_u32_e64 s[0:1], 0, v0
	s_waitcnt lgkmcnt(0)
	s_barrier
	s_and_saveexec_b64 s[4:5], s[0:1]
	s_cbranch_execz .LBB194_4
; %bb.3:
	v_add_u32_e32 v0, -1, v0
	v_lshrrev_b32_e32 v1, 5, v0
	v_add_lshl_u32 v0, v1, v0, 2
	ds_read_b32 v9, v0
.LBB194_4:
	s_or_b64 exec, exec, s[4:5]
	s_waitcnt lgkmcnt(0)
	v_add_u32_e32 v0, v9, v2
	v_add_u32_e32 v1, v0, v3
	v_add_u32_e32 v2, v1, v4
	v_add_u32_e32 v3, v2, v5
	global_store_dwordx4 v[6:7], v[0:3], off
	s_and_saveexec_b64 s[0:1], vcc
	s_cbranch_execz .LBB194_6
; %bb.5:
	v_mov_b32_e32 v0, 0
	ds_read_b32 v1, v0 offset:2104
	s_mov_b32 s7, 0
	s_lshl_b64 s[0:1], s[6:7], 2
	s_add_u32 s0, s2, s0
	s_addc_u32 s1, s3, s1
	s_waitcnt lgkmcnt(0)
	global_store_dword v0, v1, s[0:1]
.LBB194_6:
	s_endpgm
	.section	.rodata,"a",@progbits
	.p2align	6, 0x0
	.amdhsa_kernel _Z34inclusive_scan_reduce_array_kernelILj512ELj4ELN6hipcub18BlockScanAlgorithmE1EjEvPT2_S3_
		.amdhsa_group_segment_fixed_size 2112
		.amdhsa_private_segment_fixed_size 0
		.amdhsa_kernarg_size 16
		.amdhsa_user_sgpr_count 6
		.amdhsa_user_sgpr_private_segment_buffer 1
		.amdhsa_user_sgpr_dispatch_ptr 0
		.amdhsa_user_sgpr_queue_ptr 0
		.amdhsa_user_sgpr_kernarg_segment_ptr 1
		.amdhsa_user_sgpr_dispatch_id 0
		.amdhsa_user_sgpr_flat_scratch_init 0
		.amdhsa_user_sgpr_kernarg_preload_length 0
		.amdhsa_user_sgpr_kernarg_preload_offset 0
		.amdhsa_user_sgpr_private_segment_size 0
		.amdhsa_uses_dynamic_stack 0
		.amdhsa_system_sgpr_private_segment_wavefront_offset 0
		.amdhsa_system_sgpr_workgroup_id_x 1
		.amdhsa_system_sgpr_workgroup_id_y 0
		.amdhsa_system_sgpr_workgroup_id_z 0
		.amdhsa_system_sgpr_workgroup_info 0
		.amdhsa_system_vgpr_workitem_id 0
		.amdhsa_next_free_vgpr 22
		.amdhsa_next_free_sgpr 8
		.amdhsa_accum_offset 24
		.amdhsa_reserve_vcc 1
		.amdhsa_reserve_flat_scratch 0
		.amdhsa_float_round_mode_32 0
		.amdhsa_float_round_mode_16_64 0
		.amdhsa_float_denorm_mode_32 3
		.amdhsa_float_denorm_mode_16_64 3
		.amdhsa_dx10_clamp 1
		.amdhsa_ieee_mode 1
		.amdhsa_fp16_overflow 0
		.amdhsa_tg_split 0
		.amdhsa_exception_fp_ieee_invalid_op 0
		.amdhsa_exception_fp_denorm_src 0
		.amdhsa_exception_fp_ieee_div_zero 0
		.amdhsa_exception_fp_ieee_overflow 0
		.amdhsa_exception_fp_ieee_underflow 0
		.amdhsa_exception_fp_ieee_inexact 0
		.amdhsa_exception_int_div_zero 0
	.end_amdhsa_kernel
	.section	.text._Z34inclusive_scan_reduce_array_kernelILj512ELj4ELN6hipcub18BlockScanAlgorithmE1EjEvPT2_S3_,"axG",@progbits,_Z34inclusive_scan_reduce_array_kernelILj512ELj4ELN6hipcub18BlockScanAlgorithmE1EjEvPT2_S3_,comdat
.Lfunc_end194:
	.size	_Z34inclusive_scan_reduce_array_kernelILj512ELj4ELN6hipcub18BlockScanAlgorithmE1EjEvPT2_S3_, .Lfunc_end194-_Z34inclusive_scan_reduce_array_kernelILj512ELj4ELN6hipcub18BlockScanAlgorithmE1EjEvPT2_S3_
                                        ; -- End function
	.section	.AMDGPU.csdata,"",@progbits
; Kernel info:
; codeLenInByte = 608
; NumSgprs: 12
; NumVgprs: 22
; NumAgprs: 0
; TotalNumVgprs: 22
; ScratchSize: 0
; MemoryBound: 0
; FloatMode: 240
; IeeeMode: 1
; LDSByteSize: 2112 bytes/workgroup (compile time only)
; SGPRBlocks: 1
; VGPRBlocks: 2
; NumSGPRsForWavesPerEU: 12
; NumVGPRsForWavesPerEU: 22
; AccumOffset: 24
; Occupancy: 8
; WaveLimiterHint : 0
; COMPUTE_PGM_RSRC2:SCRATCH_EN: 0
; COMPUTE_PGM_RSRC2:USER_SGPR: 6
; COMPUTE_PGM_RSRC2:TRAP_HANDLER: 0
; COMPUTE_PGM_RSRC2:TGID_X_EN: 1
; COMPUTE_PGM_RSRC2:TGID_Y_EN: 0
; COMPUTE_PGM_RSRC2:TGID_Z_EN: 0
; COMPUTE_PGM_RSRC2:TIDIG_COMP_CNT: 0
; COMPUTE_PGM_RSRC3_GFX90A:ACCUM_OFFSET: 5
; COMPUTE_PGM_RSRC3_GFX90A:TG_SPLIT: 0
	.section	.text._Z34inclusive_scan_reduce_array_kernelILj256ELj3ELN6hipcub18BlockScanAlgorithmE1EiEvPT2_S3_,"axG",@progbits,_Z34inclusive_scan_reduce_array_kernelILj256ELj3ELN6hipcub18BlockScanAlgorithmE1EiEvPT2_S3_,comdat
	.protected	_Z34inclusive_scan_reduce_array_kernelILj256ELj3ELN6hipcub18BlockScanAlgorithmE1EiEvPT2_S3_ ; -- Begin function _Z34inclusive_scan_reduce_array_kernelILj256ELj3ELN6hipcub18BlockScanAlgorithmE1EiEvPT2_S3_
	.globl	_Z34inclusive_scan_reduce_array_kernelILj256ELj3ELN6hipcub18BlockScanAlgorithmE1EiEvPT2_S3_
	.p2align	8
	.type	_Z34inclusive_scan_reduce_array_kernelILj256ELj3ELN6hipcub18BlockScanAlgorithmE1EiEvPT2_S3_,@function
_Z34inclusive_scan_reduce_array_kernelILj256ELj3ELN6hipcub18BlockScanAlgorithmE1EiEvPT2_S3_: ; @_Z34inclusive_scan_reduce_array_kernelILj256ELj3ELN6hipcub18BlockScanAlgorithmE1EiEvPT2_S3_
; %bb.0:
	s_load_dwordx4 s[0:3], s[4:5], 0x0
	v_lshl_or_b32 v1, s6, 8, v0
	v_lshl_add_u32 v4, v1, 1, v1
	v_mov_b32_e32 v5, 0
	v_lshlrev_b64 v[2:3], 2, v[4:5]
	s_waitcnt lgkmcnt(0)
	v_mov_b32_e32 v1, s1
	v_add_co_u32_e32 v2, vcc, s0, v2
	v_add_u32_e32 v6, 1, v4
	v_mov_b32_e32 v7, v5
	v_addc_co_u32_e32 v3, vcc, v1, v3, vcc
	v_lshlrev_b64 v[6:7], 2, v[6:7]
	v_add_co_u32_e32 v6, vcc, s0, v6
	v_add_u32_e32 v4, 2, v4
	v_addc_co_u32_e32 v7, vcc, v1, v7, vcc
	v_lshlrev_b64 v[8:9], 2, v[4:5]
	v_add_co_u32_e32 v8, vcc, s0, v8
	v_addc_co_u32_e32 v9, vcc, v1, v9, vcc
	global_load_dword v1, v[2:3], off
	global_load_dword v4, v[6:7], off
	;; [unrolled: 1-line block ×3, first 2 shown]
	v_lshrrev_b32_e32 v11, 5, v0
	v_add_lshl_u32 v12, v11, v0, 2
	v_cmp_gt_u32_e32 vcc, 64, v0
	s_waitcnt vmcnt(0)
	v_add3_u32 v11, v4, v1, v10
	ds_write_b32 v12, v11
	s_waitcnt lgkmcnt(0)
	s_barrier
	s_and_saveexec_b64 s[0:1], vcc
	s_cbranch_execz .LBB195_2
; %bb.1:
	v_lshlrev_b32_e32 v12, 2, v0
	v_lshrrev_b32_e32 v13, 3, v0
	v_add_lshl_u32 v16, v13, v12, 2
	ds_read2_b32 v[12:13], v16 offset1:1
	ds_read2_b32 v[14:15], v16 offset0:2 offset1:3
	v_mbcnt_lo_u32_b32 v17, -1, 0
	v_mbcnt_hi_u32_b32 v17, -1, v17
	v_and_b32_e32 v19, 15, v17
	s_waitcnt lgkmcnt(1)
	v_add_u32_e32 v18, v13, v12
	s_waitcnt lgkmcnt(0)
	v_add3_u32 v18, v18, v14, v15
	v_cmp_ne_u32_e32 vcc, 0, v19
	s_nop 0
	v_mov_b32_dpp v20, v18 row_shr:1 row_mask:0xf bank_mask:0xf
	v_cndmask_b32_e32 v20, 0, v20, vcc
	v_add_u32_e32 v18, v20, v18
	v_cmp_lt_u32_e32 vcc, 1, v19
	s_nop 0
	v_mov_b32_dpp v20, v18 row_shr:2 row_mask:0xf bank_mask:0xf
	v_cndmask_b32_e32 v20, 0, v20, vcc
	v_add_u32_e32 v18, v18, v20
	v_cmp_lt_u32_e32 vcc, 3, v19
	;; [unrolled: 5-line block ×3, first 2 shown]
	s_nop 0
	v_mov_b32_dpp v20, v18 row_shr:8 row_mask:0xf bank_mask:0xf
	v_cndmask_b32_e32 v19, 0, v20, vcc
	v_add_u32_e32 v18, v18, v19
	v_bfe_i32 v20, v17, 4, 1
	v_cmp_lt_u32_e32 vcc, 31, v17
	v_mov_b32_dpp v19, v18 row_bcast:15 row_mask:0xf bank_mask:0xf
	v_and_b32_e32 v19, v20, v19
	v_add_u32_e32 v18, v18, v19
	v_and_b32_e32 v20, 64, v17
	s_nop 0
	v_mov_b32_dpp v19, v18 row_bcast:31 row_mask:0xf bank_mask:0xf
	v_cndmask_b32_e32 v19, 0, v19, vcc
	v_add_u32_e32 v18, v18, v19
	v_add_u32_e32 v19, -1, v17
	v_cmp_lt_i32_e32 vcc, v19, v20
	v_cndmask_b32_e32 v17, v19, v17, vcc
	v_lshlrev_b32_e32 v17, 2, v17
	ds_bpermute_b32 v17, v17, v18
	v_cmp_eq_u32_e32 vcc, 0, v0
	s_waitcnt lgkmcnt(0)
	v_add_u32_e32 v12, v17, v12
	v_cndmask_b32_e32 v11, v12, v11, vcc
	v_add_u32_e32 v12, v11, v13
	ds_write2_b32 v16, v11, v12 offset1:1
	v_add_u32_e32 v11, v12, v14
	v_add_u32_e32 v12, v11, v15
	ds_write2_b32 v16, v11, v12 offset0:2 offset1:3
.LBB195_2:
	s_or_b64 exec, exec, s[0:1]
	v_cmp_eq_u32_e32 vcc, 0, v0
	v_cmp_ne_u32_e64 s[0:1], 0, v0
	s_waitcnt lgkmcnt(0)
	s_barrier
	s_and_saveexec_b64 s[4:5], s[0:1]
	s_cbranch_execz .LBB195_4
; %bb.3:
	v_add_u32_e32 v0, -1, v0
	v_lshrrev_b32_e32 v5, 5, v0
	v_add_lshl_u32 v0, v5, v0, 2
	ds_read_b32 v5, v0
.LBB195_4:
	s_or_b64 exec, exec, s[4:5]
	s_waitcnt lgkmcnt(0)
	v_add_u32_e32 v0, v5, v1
	v_add_u32_e32 v1, v0, v4
	;; [unrolled: 1-line block ×3, first 2 shown]
	global_store_dword v[2:3], v0, off
	global_store_dword v[6:7], v1, off
	;; [unrolled: 1-line block ×3, first 2 shown]
	s_and_saveexec_b64 s[0:1], vcc
	s_cbranch_execz .LBB195_6
; %bb.5:
	v_mov_b32_e32 v0, 0
	ds_read_b32 v1, v0 offset:1048
	s_mov_b32 s7, 0
	s_lshl_b64 s[0:1], s[6:7], 2
	s_add_u32 s0, s2, s0
	s_addc_u32 s1, s3, s1
	s_waitcnt lgkmcnt(0)
	global_store_dword v0, v1, s[0:1]
.LBB195_6:
	s_endpgm
	.section	.rodata,"a",@progbits
	.p2align	6, 0x0
	.amdhsa_kernel _Z34inclusive_scan_reduce_array_kernelILj256ELj3ELN6hipcub18BlockScanAlgorithmE1EiEvPT2_S3_
		.amdhsa_group_segment_fixed_size 1056
		.amdhsa_private_segment_fixed_size 0
		.amdhsa_kernarg_size 16
		.amdhsa_user_sgpr_count 6
		.amdhsa_user_sgpr_private_segment_buffer 1
		.amdhsa_user_sgpr_dispatch_ptr 0
		.amdhsa_user_sgpr_queue_ptr 0
		.amdhsa_user_sgpr_kernarg_segment_ptr 1
		.amdhsa_user_sgpr_dispatch_id 0
		.amdhsa_user_sgpr_flat_scratch_init 0
		.amdhsa_user_sgpr_kernarg_preload_length 0
		.amdhsa_user_sgpr_kernarg_preload_offset 0
		.amdhsa_user_sgpr_private_segment_size 0
		.amdhsa_uses_dynamic_stack 0
		.amdhsa_system_sgpr_private_segment_wavefront_offset 0
		.amdhsa_system_sgpr_workgroup_id_x 1
		.amdhsa_system_sgpr_workgroup_id_y 0
		.amdhsa_system_sgpr_workgroup_id_z 0
		.amdhsa_system_sgpr_workgroup_info 0
		.amdhsa_system_vgpr_workitem_id 0
		.amdhsa_next_free_vgpr 21
		.amdhsa_next_free_sgpr 8
		.amdhsa_accum_offset 24
		.amdhsa_reserve_vcc 1
		.amdhsa_reserve_flat_scratch 0
		.amdhsa_float_round_mode_32 0
		.amdhsa_float_round_mode_16_64 0
		.amdhsa_float_denorm_mode_32 3
		.amdhsa_float_denorm_mode_16_64 3
		.amdhsa_dx10_clamp 1
		.amdhsa_ieee_mode 1
		.amdhsa_fp16_overflow 0
		.amdhsa_tg_split 0
		.amdhsa_exception_fp_ieee_invalid_op 0
		.amdhsa_exception_fp_denorm_src 0
		.amdhsa_exception_fp_ieee_div_zero 0
		.amdhsa_exception_fp_ieee_overflow 0
		.amdhsa_exception_fp_ieee_underflow 0
		.amdhsa_exception_fp_ieee_inexact 0
		.amdhsa_exception_int_div_zero 0
	.end_amdhsa_kernel
	.section	.text._Z34inclusive_scan_reduce_array_kernelILj256ELj3ELN6hipcub18BlockScanAlgorithmE1EiEvPT2_S3_,"axG",@progbits,_Z34inclusive_scan_reduce_array_kernelILj256ELj3ELN6hipcub18BlockScanAlgorithmE1EiEvPT2_S3_,comdat
.Lfunc_end195:
	.size	_Z34inclusive_scan_reduce_array_kernelILj256ELj3ELN6hipcub18BlockScanAlgorithmE1EiEvPT2_S3_, .Lfunc_end195-_Z34inclusive_scan_reduce_array_kernelILj256ELj3ELN6hipcub18BlockScanAlgorithmE1EiEvPT2_S3_
                                        ; -- End function
	.section	.AMDGPU.csdata,"",@progbits
; Kernel info:
; codeLenInByte = 612
; NumSgprs: 12
; NumVgprs: 21
; NumAgprs: 0
; TotalNumVgprs: 21
; ScratchSize: 0
; MemoryBound: 0
; FloatMode: 240
; IeeeMode: 1
; LDSByteSize: 1056 bytes/workgroup (compile time only)
; SGPRBlocks: 1
; VGPRBlocks: 2
; NumSGPRsForWavesPerEU: 12
; NumVGPRsForWavesPerEU: 21
; AccumOffset: 24
; Occupancy: 8
; WaveLimiterHint : 0
; COMPUTE_PGM_RSRC2:SCRATCH_EN: 0
; COMPUTE_PGM_RSRC2:USER_SGPR: 6
; COMPUTE_PGM_RSRC2:TRAP_HANDLER: 0
; COMPUTE_PGM_RSRC2:TGID_X_EN: 1
; COMPUTE_PGM_RSRC2:TGID_Y_EN: 0
; COMPUTE_PGM_RSRC2:TGID_Z_EN: 0
; COMPUTE_PGM_RSRC2:TIDIG_COMP_CNT: 0
; COMPUTE_PGM_RSRC3_GFX90A:ACCUM_OFFSET: 5
; COMPUTE_PGM_RSRC3_GFX90A:TG_SPLIT: 0
	.section	.text._Z34inclusive_scan_reduce_array_kernelILj32ELj2ELN6hipcub18BlockScanAlgorithmE1EfEvPT2_S3_,"axG",@progbits,_Z34inclusive_scan_reduce_array_kernelILj32ELj2ELN6hipcub18BlockScanAlgorithmE1EfEvPT2_S3_,comdat
	.protected	_Z34inclusive_scan_reduce_array_kernelILj32ELj2ELN6hipcub18BlockScanAlgorithmE1EfEvPT2_S3_ ; -- Begin function _Z34inclusive_scan_reduce_array_kernelILj32ELj2ELN6hipcub18BlockScanAlgorithmE1EfEvPT2_S3_
	.globl	_Z34inclusive_scan_reduce_array_kernelILj32ELj2ELN6hipcub18BlockScanAlgorithmE1EfEvPT2_S3_
	.p2align	8
	.type	_Z34inclusive_scan_reduce_array_kernelILj32ELj2ELN6hipcub18BlockScanAlgorithmE1EfEvPT2_S3_,@function
_Z34inclusive_scan_reduce_array_kernelILj32ELj2ELN6hipcub18BlockScanAlgorithmE1EfEvPT2_S3_: ; @_Z34inclusive_scan_reduce_array_kernelILj32ELj2ELN6hipcub18BlockScanAlgorithmE1EfEvPT2_S3_
; %bb.0:
	s_load_dwordx4 s[0:3], s[4:5], 0x0
	v_lshlrev_b32_e32 v1, 1, v0
	v_lshl_or_b32 v6, s6, 6, v1
	v_mov_b32_e32 v7, 0
	v_lshlrev_b64 v[2:3], 2, v[6:7]
	s_waitcnt lgkmcnt(0)
	v_mov_b32_e32 v1, s1
	v_add_co_u32_e32 v2, vcc, s0, v2
	v_addc_co_u32_e32 v3, vcc, v1, v3, vcc
	global_load_dwordx2 v[4:5], v[2:3], off
	v_mbcnt_lo_u32_b32 v1, -1, 0
	v_mbcnt_hi_u32_b32 v1, -1, v1
	v_and_b32_e32 v6, 15, v1
	v_cmp_eq_u32_e32 vcc, 0, v6
	v_and_b32_e32 v8, 16, v1
	s_waitcnt vmcnt(0)
	v_add_f32_e32 v9, v4, v5
	s_nop 1
	v_mov_b32_dpp v10, v9 row_shr:1 row_mask:0xf bank_mask:0xf
	v_add_f32_e32 v10, v9, v10
	v_cndmask_b32_e32 v9, v10, v9, vcc
	v_cmp_lt_u32_e32 vcc, 1, v6
	s_nop 0
	v_mov_b32_dpp v10, v9 row_shr:2 row_mask:0xf bank_mask:0xf
	v_add_f32_e32 v10, v9, v10
	v_cndmask_b32_e32 v9, v9, v10, vcc
	v_cmp_lt_u32_e32 vcc, 3, v6
	;; [unrolled: 5-line block ×3, first 2 shown]
	s_nop 0
	v_mov_b32_dpp v10, v9 row_shr:8 row_mask:0xf bank_mask:0xf
	v_add_f32_e32 v10, v9, v10
	v_cndmask_b32_e32 v6, v9, v10, vcc
	v_cmp_eq_u32_e32 vcc, 0, v8
	s_nop 0
	v_mov_b32_dpp v9, v6 row_bcast:15 row_mask:0xf bank_mask:0xf
	v_add_f32_e32 v9, v6, v9
	v_cndmask_b32_e32 v6, v9, v6, vcc
	v_cmp_eq_u32_e32 vcc, 31, v0
	s_and_saveexec_b64 s[0:1], vcc
	s_cbranch_execz .LBB196_2
; %bb.1:
	ds_write_b32 v7, v6
.LBB196_2:
	s_or_b64 exec, exec, s[0:1]
	v_add_u32_e32 v7, -1, v1
	v_and_b32_e32 v8, 0x60, v1
	v_cmp_lt_i32_e32 vcc, v7, v8
	v_cndmask_b32_e32 v1, v7, v1, vcc
	v_lshlrev_b32_e32 v1, 2, v1
	ds_bpermute_b32 v1, v1, v6
	v_cmp_eq_u32_e32 vcc, 0, v0
	s_waitcnt lgkmcnt(0)
	; wave barrier
	s_waitcnt lgkmcnt(0)
	v_add_f32_e32 v1, v4, v1
	v_cndmask_b32_e32 v0, v1, v4, vcc
	v_add_f32_e32 v1, v5, v0
	global_store_dwordx2 v[2:3], v[0:1], off
	s_and_saveexec_b64 s[0:1], vcc
	s_cbranch_execz .LBB196_4
; %bb.3:
	v_mov_b32_e32 v0, 0
	ds_read_b32 v1, v0
	s_mov_b32 s7, 0
	s_lshl_b64 s[0:1], s[6:7], 2
	s_add_u32 s0, s2, s0
	s_addc_u32 s1, s3, s1
	s_waitcnt lgkmcnt(0)
	global_store_dword v0, v1, s[0:1]
.LBB196_4:
	s_endpgm
	.section	.rodata,"a",@progbits
	.p2align	6, 0x0
	.amdhsa_kernel _Z34inclusive_scan_reduce_array_kernelILj32ELj2ELN6hipcub18BlockScanAlgorithmE1EfEvPT2_S3_
		.amdhsa_group_segment_fixed_size 4
		.amdhsa_private_segment_fixed_size 0
		.amdhsa_kernarg_size 16
		.amdhsa_user_sgpr_count 6
		.amdhsa_user_sgpr_private_segment_buffer 1
		.amdhsa_user_sgpr_dispatch_ptr 0
		.amdhsa_user_sgpr_queue_ptr 0
		.amdhsa_user_sgpr_kernarg_segment_ptr 1
		.amdhsa_user_sgpr_dispatch_id 0
		.amdhsa_user_sgpr_flat_scratch_init 0
		.amdhsa_user_sgpr_kernarg_preload_length 0
		.amdhsa_user_sgpr_kernarg_preload_offset 0
		.amdhsa_user_sgpr_private_segment_size 0
		.amdhsa_uses_dynamic_stack 0
		.amdhsa_system_sgpr_private_segment_wavefront_offset 0
		.amdhsa_system_sgpr_workgroup_id_x 1
		.amdhsa_system_sgpr_workgroup_id_y 0
		.amdhsa_system_sgpr_workgroup_id_z 0
		.amdhsa_system_sgpr_workgroup_info 0
		.amdhsa_system_vgpr_workitem_id 0
		.amdhsa_next_free_vgpr 11
		.amdhsa_next_free_sgpr 8
		.amdhsa_accum_offset 12
		.amdhsa_reserve_vcc 1
		.amdhsa_reserve_flat_scratch 0
		.amdhsa_float_round_mode_32 0
		.amdhsa_float_round_mode_16_64 0
		.amdhsa_float_denorm_mode_32 3
		.amdhsa_float_denorm_mode_16_64 3
		.amdhsa_dx10_clamp 1
		.amdhsa_ieee_mode 1
		.amdhsa_fp16_overflow 0
		.amdhsa_tg_split 0
		.amdhsa_exception_fp_ieee_invalid_op 0
		.amdhsa_exception_fp_denorm_src 0
		.amdhsa_exception_fp_ieee_div_zero 0
		.amdhsa_exception_fp_ieee_overflow 0
		.amdhsa_exception_fp_ieee_underflow 0
		.amdhsa_exception_fp_ieee_inexact 0
		.amdhsa_exception_int_div_zero 0
	.end_amdhsa_kernel
	.section	.text._Z34inclusive_scan_reduce_array_kernelILj32ELj2ELN6hipcub18BlockScanAlgorithmE1EfEvPT2_S3_,"axG",@progbits,_Z34inclusive_scan_reduce_array_kernelILj32ELj2ELN6hipcub18BlockScanAlgorithmE1EfEvPT2_S3_,comdat
.Lfunc_end196:
	.size	_Z34inclusive_scan_reduce_array_kernelILj32ELj2ELN6hipcub18BlockScanAlgorithmE1EfEvPT2_S3_, .Lfunc_end196-_Z34inclusive_scan_reduce_array_kernelILj32ELj2ELN6hipcub18BlockScanAlgorithmE1EfEvPT2_S3_
                                        ; -- End function
	.section	.AMDGPU.csdata,"",@progbits
; Kernel info:
; codeLenInByte = 348
; NumSgprs: 12
; NumVgprs: 11
; NumAgprs: 0
; TotalNumVgprs: 11
; ScratchSize: 0
; MemoryBound: 0
; FloatMode: 240
; IeeeMode: 1
; LDSByteSize: 4 bytes/workgroup (compile time only)
; SGPRBlocks: 1
; VGPRBlocks: 1
; NumSGPRsForWavesPerEU: 12
; NumVGPRsForWavesPerEU: 11
; AccumOffset: 12
; Occupancy: 8
; WaveLimiterHint : 0
; COMPUTE_PGM_RSRC2:SCRATCH_EN: 0
; COMPUTE_PGM_RSRC2:USER_SGPR: 6
; COMPUTE_PGM_RSRC2:TRAP_HANDLER: 0
; COMPUTE_PGM_RSRC2:TGID_X_EN: 1
; COMPUTE_PGM_RSRC2:TGID_Y_EN: 0
; COMPUTE_PGM_RSRC2:TGID_Z_EN: 0
; COMPUTE_PGM_RSRC2:TIDIG_COMP_CNT: 0
; COMPUTE_PGM_RSRC3_GFX90A:ACCUM_OFFSET: 2
; COMPUTE_PGM_RSRC3_GFX90A:TG_SPLIT: 0
	.section	.text._Z34inclusive_scan_reduce_array_kernelILj6ELj32ELN6hipcub18BlockScanAlgorithmE1EfEvPT2_S3_,"axG",@progbits,_Z34inclusive_scan_reduce_array_kernelILj6ELj32ELN6hipcub18BlockScanAlgorithmE1EfEvPT2_S3_,comdat
	.protected	_Z34inclusive_scan_reduce_array_kernelILj6ELj32ELN6hipcub18BlockScanAlgorithmE1EfEvPT2_S3_ ; -- Begin function _Z34inclusive_scan_reduce_array_kernelILj6ELj32ELN6hipcub18BlockScanAlgorithmE1EfEvPT2_S3_
	.globl	_Z34inclusive_scan_reduce_array_kernelILj6ELj32ELN6hipcub18BlockScanAlgorithmE1EfEvPT2_S3_
	.p2align	8
	.type	_Z34inclusive_scan_reduce_array_kernelILj6ELj32ELN6hipcub18BlockScanAlgorithmE1EfEvPT2_S3_,@function
_Z34inclusive_scan_reduce_array_kernelILj6ELj32ELN6hipcub18BlockScanAlgorithmE1EfEvPT2_S3_: ; @_Z34inclusive_scan_reduce_array_kernelILj6ELj32ELN6hipcub18BlockScanAlgorithmE1EfEvPT2_S3_
; %bb.0:
	s_load_dwordx4 s[0:3], s[4:5], 0x0
	s_mul_i32 s4, s6, 6
	v_add_lshl_u32 v36, s4, v0, 5
	v_mov_b32_e32 v37, 0
	v_lshlrev_b64 v[2:3], 2, v[36:37]
	s_waitcnt lgkmcnt(0)
	v_mov_b32_e32 v1, s1
	v_add_co_u32_e32 v34, vcc, s0, v2
	v_addc_co_u32_e32 v35, vcc, v1, v3, vcc
	global_load_dwordx4 v[30:33], v[34:35], off
	global_load_dwordx4 v[26:29], v[34:35], off offset:16
	global_load_dwordx4 v[22:25], v[34:35], off offset:32
	;; [unrolled: 1-line block ×7, first 2 shown]
	v_mbcnt_lo_u32_b32 v1, -1, 0
	v_mbcnt_hi_u32_b32 v1, -1, v1
	v_and_b32_e32 v36, 7, v1
	v_cmp_eq_u32_e32 vcc, 0, v36
	s_waitcnt vmcnt(7)
	v_add_f32_e32 v38, v30, v31
	v_add_f32_e32 v38, v38, v32
	v_add_f32_e32 v38, v38, v33
	s_waitcnt vmcnt(6)
	v_add_f32_e32 v38, v38, v26
	v_add_f32_e32 v38, v38, v27
	v_add_f32_e32 v38, v38, v28
	v_add_f32_e32 v38, v38, v29
	s_waitcnt vmcnt(5)
	v_add_f32_e32 v38, v38, v22
	;; [unrolled: 5-line block ×7, first 2 shown]
	v_add_f32_e32 v38, v38, v3
	v_add_f32_e32 v38, v38, v4
	;; [unrolled: 1-line block ×3, first 2 shown]
	s_nop 1
	v_mov_b32_dpp v39, v38 row_shr:1 row_mask:0xf bank_mask:0xf
	v_add_f32_e32 v39, v38, v39
	v_cndmask_b32_e32 v38, v39, v38, vcc
	v_cmp_lt_u32_e32 vcc, 1, v36
	s_nop 0
	v_mov_b32_dpp v39, v38 row_shr:2 row_mask:0xf bank_mask:0xf
	v_add_f32_e32 v39, v38, v39
	v_cndmask_b32_e32 v38, v38, v39, vcc
	v_cmp_lt_u32_e32 vcc, 3, v36
	s_nop 0
	v_mov_b32_dpp v39, v38 row_shr:4 row_mask:0xf bank_mask:0xf
	v_add_f32_e32 v39, v38, v39
	v_cndmask_b32_e32 v36, v38, v39, vcc
	v_cmp_eq_u32_e32 vcc, 5, v0
	s_and_saveexec_b64 s[0:1], vcc
	s_cbranch_execz .LBB197_2
; %bb.1:
	ds_write_b32 v37, v36
.LBB197_2:
	s_or_b64 exec, exec, s[0:1]
	v_add_u32_e32 v37, -1, v1
	v_and_b32_e32 v38, 0x78, v1
	v_cmp_lt_i32_e32 vcc, v37, v38
	v_cndmask_b32_e32 v1, v37, v1, vcc
	v_lshlrev_b32_e32 v1, 2, v1
	ds_bpermute_b32 v1, v1, v36
	v_cmp_eq_u32_e32 vcc, 0, v0
	s_waitcnt lgkmcnt(0)
	; wave barrier
	s_waitcnt lgkmcnt(0)
	v_add_f32_e32 v1, v30, v1
	v_cndmask_b32_e32 v30, v1, v30, vcc
	v_add_f32_e32 v31, v30, v31
	v_add_f32_e32 v32, v31, v32
	;; [unrolled: 1-line block ×31, first 2 shown]
	global_store_dwordx4 v[34:35], v[30:33], off
	global_store_dwordx4 v[34:35], v[26:29], off offset:16
	global_store_dwordx4 v[34:35], v[22:25], off offset:32
	global_store_dwordx4 v[34:35], v[14:17], off offset:48
	global_store_dwordx4 v[34:35], v[18:21], off offset:64
	global_store_dwordx4 v[34:35], v[10:13], off offset:80
	global_store_dwordx4 v[34:35], v[6:9], off offset:96
	global_store_dwordx4 v[34:35], v[0:3], off offset:112
	s_and_saveexec_b64 s[0:1], vcc
	s_cbranch_execz .LBB197_4
; %bb.3:
	v_mov_b32_e32 v0, 0
	ds_read_b32 v1, v0
	s_mov_b32 s7, 0
	s_lshl_b64 s[0:1], s[6:7], 2
	s_add_u32 s0, s2, s0
	s_addc_u32 s1, s3, s1
	s_waitcnt lgkmcnt(0)
	global_store_dword v0, v1, s[0:1]
.LBB197_4:
	s_endpgm
	.section	.rodata,"a",@progbits
	.p2align	6, 0x0
	.amdhsa_kernel _Z34inclusive_scan_reduce_array_kernelILj6ELj32ELN6hipcub18BlockScanAlgorithmE1EfEvPT2_S3_
		.amdhsa_group_segment_fixed_size 4
		.amdhsa_private_segment_fixed_size 0
		.amdhsa_kernarg_size 16
		.amdhsa_user_sgpr_count 6
		.amdhsa_user_sgpr_private_segment_buffer 1
		.amdhsa_user_sgpr_dispatch_ptr 0
		.amdhsa_user_sgpr_queue_ptr 0
		.amdhsa_user_sgpr_kernarg_segment_ptr 1
		.amdhsa_user_sgpr_dispatch_id 0
		.amdhsa_user_sgpr_flat_scratch_init 0
		.amdhsa_user_sgpr_kernarg_preload_length 0
		.amdhsa_user_sgpr_kernarg_preload_offset 0
		.amdhsa_user_sgpr_private_segment_size 0
		.amdhsa_uses_dynamic_stack 0
		.amdhsa_system_sgpr_private_segment_wavefront_offset 0
		.amdhsa_system_sgpr_workgroup_id_x 1
		.amdhsa_system_sgpr_workgroup_id_y 0
		.amdhsa_system_sgpr_workgroup_id_z 0
		.amdhsa_system_sgpr_workgroup_info 0
		.amdhsa_system_vgpr_workitem_id 0
		.amdhsa_next_free_vgpr 40
		.amdhsa_next_free_sgpr 8
		.amdhsa_accum_offset 40
		.amdhsa_reserve_vcc 1
		.amdhsa_reserve_flat_scratch 0
		.amdhsa_float_round_mode_32 0
		.amdhsa_float_round_mode_16_64 0
		.amdhsa_float_denorm_mode_32 3
		.amdhsa_float_denorm_mode_16_64 3
		.amdhsa_dx10_clamp 1
		.amdhsa_ieee_mode 1
		.amdhsa_fp16_overflow 0
		.amdhsa_tg_split 0
		.amdhsa_exception_fp_ieee_invalid_op 0
		.amdhsa_exception_fp_denorm_src 0
		.amdhsa_exception_fp_ieee_div_zero 0
		.amdhsa_exception_fp_ieee_overflow 0
		.amdhsa_exception_fp_ieee_underflow 0
		.amdhsa_exception_fp_ieee_inexact 0
		.amdhsa_exception_int_div_zero 0
	.end_amdhsa_kernel
	.section	.text._Z34inclusive_scan_reduce_array_kernelILj6ELj32ELN6hipcub18BlockScanAlgorithmE1EfEvPT2_S3_,"axG",@progbits,_Z34inclusive_scan_reduce_array_kernelILj6ELj32ELN6hipcub18BlockScanAlgorithmE1EfEvPT2_S3_,comdat
.Lfunc_end197:
	.size	_Z34inclusive_scan_reduce_array_kernelILj6ELj32ELN6hipcub18BlockScanAlgorithmE1EfEvPT2_S3_, .Lfunc_end197-_Z34inclusive_scan_reduce_array_kernelILj6ELj32ELN6hipcub18BlockScanAlgorithmE1EfEvPT2_S3_
                                        ; -- End function
	.section	.AMDGPU.csdata,"",@progbits
; Kernel info:
; codeLenInByte = 676
; NumSgprs: 12
; NumVgprs: 40
; NumAgprs: 0
; TotalNumVgprs: 40
; ScratchSize: 0
; MemoryBound: 0
; FloatMode: 240
; IeeeMode: 1
; LDSByteSize: 4 bytes/workgroup (compile time only)
; SGPRBlocks: 1
; VGPRBlocks: 4
; NumSGPRsForWavesPerEU: 12
; NumVGPRsForWavesPerEU: 40
; AccumOffset: 40
; Occupancy: 8
; WaveLimiterHint : 0
; COMPUTE_PGM_RSRC2:SCRATCH_EN: 0
; COMPUTE_PGM_RSRC2:USER_SGPR: 6
; COMPUTE_PGM_RSRC2:TRAP_HANDLER: 0
; COMPUTE_PGM_RSRC2:TGID_X_EN: 1
; COMPUTE_PGM_RSRC2:TGID_Y_EN: 0
; COMPUTE_PGM_RSRC2:TGID_Z_EN: 0
; COMPUTE_PGM_RSRC2:TIDIG_COMP_CNT: 0
; COMPUTE_PGM_RSRC3_GFX90A:ACCUM_OFFSET: 9
; COMPUTE_PGM_RSRC3_GFX90A:TG_SPLIT: 0
	.section	.text._Z34inclusive_scan_reduce_array_kernelILj16ELj5ELN6hipcub18BlockScanAlgorithmE0E12hip_bfloat16EvPT2_S4_,"axG",@progbits,_Z34inclusive_scan_reduce_array_kernelILj16ELj5ELN6hipcub18BlockScanAlgorithmE0E12hip_bfloat16EvPT2_S4_,comdat
	.protected	_Z34inclusive_scan_reduce_array_kernelILj16ELj5ELN6hipcub18BlockScanAlgorithmE0E12hip_bfloat16EvPT2_S4_ ; -- Begin function _Z34inclusive_scan_reduce_array_kernelILj16ELj5ELN6hipcub18BlockScanAlgorithmE0E12hip_bfloat16EvPT2_S4_
	.globl	_Z34inclusive_scan_reduce_array_kernelILj16ELj5ELN6hipcub18BlockScanAlgorithmE0E12hip_bfloat16EvPT2_S4_
	.p2align	8
	.type	_Z34inclusive_scan_reduce_array_kernelILj16ELj5ELN6hipcub18BlockScanAlgorithmE0E12hip_bfloat16EvPT2_S4_,@function
_Z34inclusive_scan_reduce_array_kernelILj16ELj5ELN6hipcub18BlockScanAlgorithmE0E12hip_bfloat16EvPT2_S4_: ; @_Z34inclusive_scan_reduce_array_kernelILj16ELj5ELN6hipcub18BlockScanAlgorithmE0E12hip_bfloat16EvPT2_S4_
; %bb.0:
	s_load_dwordx4 s[0:3], s[4:5], 0x0
	v_lshl_or_b32 v1, s6, 4, v0
	v_lshl_add_u32 v8, v1, 2, v1
	v_mov_b32_e32 v9, 0
	v_lshlrev_b64 v[2:3], 1, v[8:9]
	s_waitcnt lgkmcnt(0)
	v_mov_b32_e32 v1, s1
	v_add_co_u32_e32 v2, vcc, s0, v2
	v_add_u32_e32 v4, 1, v8
	v_mov_b32_e32 v5, v9
	v_addc_co_u32_e32 v3, vcc, v1, v3, vcc
	v_lshlrev_b64 v[4:5], 1, v[4:5]
	v_mov_b32_e32 v6, s1
	v_add_co_u32_e32 v4, vcc, s0, v4
	v_addc_co_u32_e32 v5, vcc, v6, v5, vcc
	v_add_u32_e32 v6, 3, v8
	v_mov_b32_e32 v7, v9
	v_lshlrev_b64 v[6:7], 1, v[6:7]
	v_add_u32_e32 v10, 2, v8
	v_mov_b32_e32 v12, s1
	v_add_co_u32_e32 v6, vcc, s0, v6
	v_add_u32_e32 v8, 4, v8
	v_mov_b32_e32 v11, v9
	v_addc_co_u32_e32 v7, vcc, v12, v7, vcc
	v_lshlrev_b64 v[8:9], 1, v[8:9]
	v_add_co_u32_e32 v8, vcc, s0, v8
	global_load_ushort v1, v[2:3], off
	v_addc_co_u32_e32 v9, vcc, v12, v9, vcc
	global_load_ushort v16, v[6:7], off
	global_load_ushort v17, v[8:9], off
	;; [unrolled: 1-line block ×3, first 2 shown]
	v_lshlrev_b64 v[10:11], 1, v[10:11]
	v_mov_b32_e32 v13, s1
	v_add_co_u32_e32 v10, vcc, s0, v10
	v_addc_co_u32_e32 v11, vcc, v13, v11, vcc
	global_load_ushort v18, v[10:11], off
	s_mov_b32 s0, 0x7f800000
	s_waitcnt vmcnt(1)
	v_lshlrev_b32_e32 v13, 16, v12
	v_lshlrev_b32_e32 v12, 16, v1
	v_mov_b32_e32 v14, v13
	v_pk_add_f32 v[14:15], v[14:15], v[12:13] op_sel_hi:[0,1]
	v_and_b32_e32 v15, 0x7f800000, v14
	v_cmp_ne_u32_e32 vcc, s0, v15
                                        ; implicit-def: $vgpr15
	s_and_saveexec_b64 s[0:1], vcc
	s_xor_b64 s[0:1], exec, s[0:1]
; %bb.1:
	v_bfe_u32 v15, v14, 16, 1
	s_movk_i32 s4, 0x7fff
	v_add3_u32 v15, v14, v15, s4
; %bb.2:
	s_andn2_saveexec_b64 s[0:1], s[0:1]
; %bb.3:
	v_mov_b32_e32 v15, 0
	v_or_b32_e32 v19, 0x10000, v14
	v_cmp_eq_u32_sdwa vcc, v14, v15 src0_sel:WORD_0 src1_sel:DWORD
	v_cndmask_b32_e32 v15, v19, v14, vcc
; %bb.4:
	s_or_b64 exec, exec, s[0:1]
	v_and_b32_e32 v19, 0xffff0000, v15
	s_waitcnt vmcnt(0)
	v_lshlrev_b32_e32 v15, 16, v18
	v_add_f32_e32 v18, v19, v15
	s_mov_b32 s0, 0x7f800000
	v_and_b32_e32 v19, 0x7f800000, v18
	v_cmp_ne_u32_e32 vcc, s0, v19
                                        ; implicit-def: $vgpr19
	s_and_saveexec_b64 s[0:1], vcc
	s_xor_b64 s[0:1], exec, s[0:1]
; %bb.5:
	v_bfe_u32 v19, v18, 16, 1
	s_movk_i32 s4, 0x7fff
	v_add3_u32 v19, v18, v19, s4
                                        ; implicit-def: $vgpr18
; %bb.6:
	s_andn2_saveexec_b64 s[0:1], s[0:1]
; %bb.7:
	v_mov_b32_e32 v19, 0
	v_or_b32_e32 v20, 0x10000, v18
	v_cmp_eq_u32_sdwa vcc, v18, v19 src0_sel:WORD_0 src1_sel:DWORD
	v_cndmask_b32_e32 v19, v20, v18, vcc
; %bb.8:
	s_or_b64 exec, exec, s[0:1]
	v_and_b32_e32 v18, 0xffff0000, v19
	v_lshlrev_b32_e32 v16, 16, v16
	v_add_f32_e32 v18, v18, v16
	s_mov_b32 s0, 0x7f800000
	v_and_b32_e32 v19, 0x7f800000, v18
	v_cmp_ne_u32_e32 vcc, s0, v19
                                        ; implicit-def: $vgpr19
	s_and_saveexec_b64 s[0:1], vcc
	s_xor_b64 s[0:1], exec, s[0:1]
; %bb.9:
	v_bfe_u32 v19, v18, 16, 1
	s_movk_i32 s4, 0x7fff
	v_add3_u32 v19, v18, v19, s4
                                        ; implicit-def: $vgpr18
; %bb.10:
	s_andn2_saveexec_b64 s[0:1], s[0:1]
; %bb.11:
	v_mov_b32_e32 v19, 0
	v_or_b32_e32 v20, 0x10000, v18
	v_cmp_eq_u32_sdwa vcc, v18, v19 src0_sel:WORD_0 src1_sel:DWORD
	v_cndmask_b32_e32 v19, v20, v18, vcc
; %bb.12:
	s_or_b64 exec, exec, s[0:1]
	v_and_b32_e32 v18, 0xffff0000, v19
	v_lshlrev_b32_e32 v17, 16, v17
	v_add_f32_e32 v18, v18, v17
	s_mov_b32 s0, 0x7f800000
	v_and_b32_e32 v19, 0x7f800000, v18
	v_cmp_ne_u32_e32 vcc, s0, v19
                                        ; implicit-def: $vgpr19
	s_and_saveexec_b64 s[0:1], vcc
	s_xor_b64 s[0:1], exec, s[0:1]
; %bb.13:
	v_bfe_u32 v19, v18, 16, 1
	s_movk_i32 s4, 0x7fff
	v_add3_u32 v19, v18, v19, s4
                                        ; implicit-def: $vgpr18
; %bb.14:
	s_andn2_saveexec_b64 s[0:1], s[0:1]
; %bb.15:
	v_mov_b32_e32 v19, 0
	v_or_b32_e32 v20, 0x10000, v18
	v_cmp_eq_u32_sdwa vcc, v18, v19 src0_sel:WORD_0 src1_sel:DWORD
	v_cndmask_b32_e32 v19, v20, v18, vcc
; %bb.16:
	s_or_b64 exec, exec, s[0:1]
	v_lshrrev_b32_e32 v20, 16, v19
	v_and_b32_e32 v21, 0xffff0000, v19
	s_mov_b32 s0, 0x7f800000
	v_mov_b32_dpp v18, v20 row_shr:1 row_mask:0xf bank_mask:0xf
	v_lshlrev_b32_e32 v18, 16, v18
	v_add_f32_e32 v18, v21, v18
	v_and_b32_e32 v19, 0x7f800000, v18
	v_cmp_ne_u32_e32 vcc, s0, v19
                                        ; implicit-def: $vgpr22
	s_and_saveexec_b64 s[0:1], vcc
	s_xor_b64 s[0:1], exec, s[0:1]
; %bb.17:
	v_bfe_u32 v19, v18, 16, 1
	s_movk_i32 s4, 0x7fff
	v_add3_u32 v22, v18, v19, s4
                                        ; implicit-def: $vgpr18
; %bb.18:
	s_andn2_saveexec_b64 s[0:1], s[0:1]
; %bb.19:
	v_mov_b32_e32 v19, 0
	v_or_b32_e32 v22, 0x10000, v18
	v_cmp_eq_u32_sdwa vcc, v18, v19 src0_sel:WORD_0 src1_sel:DWORD
	v_cndmask_b32_e32 v22, v22, v18, vcc
; %bb.20:
	s_or_b64 exec, exec, s[0:1]
	v_mbcnt_lo_u32_b32 v18, -1, 0
	v_mbcnt_hi_u32_b32 v18, -1, v18
	v_and_b32_e32 v19, 15, v18
	v_lshrrev_b32_e32 v23, 16, v22
	v_cmp_eq_u32_e32 vcc, 0, v19
	v_and_b32_e32 v22, 0xffff0000, v22
	v_cndmask_b32_e32 v20, v23, v20, vcc
	v_cndmask_b32_e32 v21, v22, v21, vcc
	s_mov_b32 s0, 0x7f800000
	v_mov_b32_dpp v22, v20 row_shr:2 row_mask:0xf bank_mask:0xf
	v_lshlrev_b32_e32 v22, 16, v22
	v_add_f32_e32 v22, v21, v22
	v_and_b32_e32 v23, 0x7f800000, v22
	v_cmp_ne_u32_e32 vcc, s0, v23
                                        ; implicit-def: $vgpr23
	s_and_saveexec_b64 s[0:1], vcc
	s_xor_b64 s[0:1], exec, s[0:1]
; %bb.21:
	v_bfe_u32 v23, v22, 16, 1
	s_movk_i32 s4, 0x7fff
	v_add3_u32 v23, v22, v23, s4
                                        ; implicit-def: $vgpr22
; %bb.22:
	s_andn2_saveexec_b64 s[0:1], s[0:1]
; %bb.23:
	v_mov_b32_e32 v23, 0
	v_or_b32_e32 v24, 0x10000, v22
	v_cmp_eq_u32_sdwa vcc, v22, v23 src0_sel:WORD_0 src1_sel:DWORD
	v_cndmask_b32_e32 v23, v24, v22, vcc
; %bb.24:
	s_or_b64 exec, exec, s[0:1]
	v_lshrrev_b32_e32 v22, 16, v23
	v_cmp_lt_u32_e32 vcc, 1, v19
	v_cndmask_b32_e32 v20, v20, v22, vcc
	v_and_b32_e32 v23, 0xffff0000, v23
	v_cndmask_b32_e32 v21, v21, v23, vcc
	v_mov_b32_dpp v22, v20 row_shr:4 row_mask:0xf bank_mask:0xf
	v_lshlrev_b32_e32 v22, 16, v22
	v_add_f32_e32 v22, v21, v22
	s_mov_b32 s0, 0x7f800000
	v_and_b32_e32 v23, 0x7f800000, v22
	v_cmp_ne_u32_e32 vcc, s0, v23
                                        ; implicit-def: $vgpr23
	s_and_saveexec_b64 s[0:1], vcc
	s_xor_b64 s[0:1], exec, s[0:1]
; %bb.25:
	v_bfe_u32 v23, v22, 16, 1
	s_movk_i32 s4, 0x7fff
	v_add3_u32 v23, v22, v23, s4
                                        ; implicit-def: $vgpr22
; %bb.26:
	s_andn2_saveexec_b64 s[0:1], s[0:1]
; %bb.27:
	v_mov_b32_e32 v23, 0
	v_or_b32_e32 v24, 0x10000, v22
	v_cmp_eq_u32_sdwa vcc, v22, v23 src0_sel:WORD_0 src1_sel:DWORD
	v_cndmask_b32_e32 v23, v24, v22, vcc
; %bb.28:
	s_or_b64 exec, exec, s[0:1]
	v_lshrrev_b32_e32 v22, 16, v23
	v_cmp_lt_u32_e32 vcc, 3, v19
	v_cndmask_b32_e32 v20, v20, v22, vcc
	v_and_b32_e32 v23, 0xffff0000, v23
	v_cndmask_b32_e32 v21, v21, v23, vcc
	v_mov_b32_dpp v22, v20 row_shr:8 row_mask:0xf bank_mask:0xf
	v_lshlrev_b32_e32 v22, 16, v22
	v_add_f32_e32 v21, v21, v22
	s_mov_b32 s0, 0x7f800000
	v_and_b32_e32 v22, 0x7f800000, v21
	v_cmp_ne_u32_e32 vcc, s0, v22
                                        ; implicit-def: $vgpr22
	s_and_saveexec_b64 s[0:1], vcc
	s_xor_b64 s[0:1], exec, s[0:1]
; %bb.29:
	v_bfe_u32 v22, v21, 16, 1
	s_movk_i32 s4, 0x7fff
	v_add3_u32 v22, v21, v22, s4
                                        ; implicit-def: $vgpr21
; %bb.30:
	s_andn2_saveexec_b64 s[0:1], s[0:1]
; %bb.31:
	v_mov_b32_e32 v22, 0
	v_or_b32_e32 v23, 0x10000, v21
	v_cmp_eq_u32_sdwa vcc, v21, v22 src0_sel:WORD_0 src1_sel:DWORD
	v_cndmask_b32_e32 v22, v23, v21, vcc
; %bb.32:
	s_or_b64 exec, exec, s[0:1]
	v_lshrrev_b32_e32 v21, 16, v22
	v_cmp_lt_u32_e32 vcc, 7, v19
	v_cndmask_b32_e32 v19, v20, v21, vcc
	v_cmp_eq_u32_e32 vcc, 15, v0
	s_and_saveexec_b64 s[0:1], vcc
	s_cbranch_execz .LBB198_34
; %bb.33:
	v_mov_b32_e32 v20, 0
	ds_write_b16 v20, v19
.LBB198_34:
	s_or_b64 exec, exec, s[0:1]
	v_add_u32_e32 v20, -1, v18
	v_and_b32_e32 v21, 0x70, v18
	v_cmp_lt_i32_e32 vcc, v20, v21
	v_cndmask_b32_e32 v18, v20, v18, vcc
	v_lshlrev_b32_e32 v18, 2, v18
	ds_bpermute_b32 v18, v18, v19
	v_cmp_eq_u32_e32 vcc, 0, v0
	v_cmp_ne_u32_e64 s[0:1], 0, v0
	s_waitcnt lgkmcnt(0)
	; wave barrier
	s_waitcnt lgkmcnt(0)
	s_and_saveexec_b64 s[4:5], s[0:1]
	s_cbranch_execz .LBB198_40
; %bb.35:
	v_lshlrev_b32_e32 v0, 16, v18
	v_add_f32_e32 v0, v12, v0
	s_mov_b32 s0, 0x7f800000
	v_and_b32_e32 v1, 0x7f800000, v0
	v_cmp_ne_u32_e64 s[0:1], s0, v1
                                        ; implicit-def: $vgpr12
	s_and_saveexec_b64 s[8:9], s[0:1]
	s_xor_b64 s[0:1], exec, s[8:9]
; %bb.36:
	v_bfe_u32 v1, v0, 16, 1
	s_movk_i32 s7, 0x7fff
	v_add3_u32 v12, v0, v1, s7
                                        ; implicit-def: $vgpr0
; %bb.37:
	s_andn2_saveexec_b64 s[8:9], s[0:1]
; %bb.38:
	v_mov_b32_e32 v1, 0
	v_or_b32_e32 v12, 0x10000, v0
	v_cmp_eq_u32_sdwa s[0:1], v0, v1 src0_sel:WORD_0 src1_sel:DWORD
	v_cndmask_b32_e64 v12, v12, v0, s[0:1]
; %bb.39:
	s_or_b64 exec, exec, s[8:9]
	v_and_b32_e32 v0, 0xffff0000, v12
	v_lshrrev_b32_e32 v1, 16, v12
	v_add_f32_e32 v14, v13, v0
.LBB198_40:
	s_or_b64 exec, exec, s[4:5]
	s_mov_b32 s0, 0x7f800000
	v_and_b32_e32 v0, 0x7f800000, v14
	v_cmp_ne_u32_e64 s[0:1], s0, v0
                                        ; implicit-def: $vgpr0
	s_and_saveexec_b64 s[4:5], s[0:1]
	s_xor_b64 s[0:1], exec, s[4:5]
; %bb.41:
	v_bfe_u32 v0, v14, 16, 1
	s_movk_i32 s4, 0x7fff
	v_add3_u32 v0, v14, v0, s4
                                        ; implicit-def: $vgpr14
; %bb.42:
	s_andn2_saveexec_b64 s[4:5], s[0:1]
; %bb.43:
	v_mov_b32_e32 v0, 0
	v_or_b32_e32 v12, 0x10000, v14
	v_cmp_eq_u32_sdwa s[0:1], v14, v0 src0_sel:WORD_0 src1_sel:DWORD
	v_cndmask_b32_e64 v0, v12, v14, s[0:1]
; %bb.44:
	s_or_b64 exec, exec, s[4:5]
	v_and_b32_e32 v12, 0xffff0000, v0
	v_add_f32_e32 v13, v12, v15
	s_mov_b32 s0, 0x7f800000
	v_and_b32_e32 v12, 0x7f800000, v13
	v_cmp_ne_u32_e64 s[0:1], s0, v12
                                        ; implicit-def: $vgpr12
	s_and_saveexec_b64 s[4:5], s[0:1]
	s_xor_b64 s[0:1], exec, s[4:5]
; %bb.45:
	v_bfe_u32 v12, v13, 16, 1
	s_movk_i32 s4, 0x7fff
	v_add3_u32 v12, v13, v12, s4
                                        ; implicit-def: $vgpr13
; %bb.46:
	s_andn2_saveexec_b64 s[4:5], s[0:1]
; %bb.47:
	v_mov_b32_e32 v12, 0
	v_or_b32_e32 v14, 0x10000, v13
	v_cmp_eq_u32_sdwa s[0:1], v13, v12 src0_sel:WORD_0 src1_sel:DWORD
	v_cndmask_b32_e64 v12, v14, v13, s[0:1]
; %bb.48:
	s_or_b64 exec, exec, s[4:5]
	v_and_b32_e32 v13, 0xffff0000, v12
	v_add_f32_e32 v14, v13, v16
	s_mov_b32 s0, 0x7f800000
	v_and_b32_e32 v13, 0x7f800000, v14
	v_cmp_ne_u32_e64 s[0:1], s0, v13
                                        ; implicit-def: $vgpr13
	s_and_saveexec_b64 s[4:5], s[0:1]
	s_xor_b64 s[0:1], exec, s[4:5]
; %bb.49:
	v_bfe_u32 v13, v14, 16, 1
	s_movk_i32 s4, 0x7fff
	v_add3_u32 v13, v14, v13, s4
                                        ; implicit-def: $vgpr14
; %bb.50:
	s_andn2_saveexec_b64 s[4:5], s[0:1]
; %bb.51:
	v_mov_b32_e32 v13, 0
	v_or_b32_e32 v15, 0x10000, v14
	v_cmp_eq_u32_sdwa s[0:1], v14, v13 src0_sel:WORD_0 src1_sel:DWORD
	v_cndmask_b32_e64 v13, v15, v14, s[0:1]
; %bb.52:
	s_or_b64 exec, exec, s[4:5]
	v_and_b32_e32 v14, 0xffff0000, v13
	v_add_f32_e32 v14, v14, v17
	s_mov_b32 s0, 0x7f800000
	v_and_b32_e32 v15, 0x7f800000, v14
	v_cmp_ne_u32_e64 s[0:1], s0, v15
                                        ; implicit-def: $vgpr15
	s_and_saveexec_b64 s[4:5], s[0:1]
	s_xor_b64 s[0:1], exec, s[4:5]
; %bb.53:
	v_bfe_u32 v15, v14, 16, 1
	s_movk_i32 s4, 0x7fff
	v_add3_u32 v15, v14, v15, s4
                                        ; implicit-def: $vgpr14
; %bb.54:
	s_andn2_saveexec_b64 s[4:5], s[0:1]
; %bb.55:
	v_mov_b32_e32 v15, 0
	v_or_b32_e32 v16, 0x10000, v14
	v_cmp_eq_u32_sdwa s[0:1], v14, v15 src0_sel:WORD_0 src1_sel:DWORD
	v_cndmask_b32_e64 v15, v16, v14, s[0:1]
; %bb.56:
	s_or_b64 exec, exec, s[4:5]
	global_store_short v[2:3], v1, off
	global_store_short_d16_hi v[4:5], v0, off
	global_store_short_d16_hi v[10:11], v12, off
	;; [unrolled: 1-line block ×4, first 2 shown]
	s_and_saveexec_b64 s[0:1], vcc
	s_cbranch_execz .LBB198_58
; %bb.57:
	v_mov_b32_e32 v0, 0
	ds_read_u16 v1, v0
	s_mov_b32 s7, 0
	s_lshl_b64 s[0:1], s[6:7], 1
	s_add_u32 s0, s2, s0
	s_addc_u32 s1, s3, s1
	s_waitcnt lgkmcnt(0)
	global_store_short v0, v1, s[0:1]
.LBB198_58:
	s_endpgm
	.section	.rodata,"a",@progbits
	.p2align	6, 0x0
	.amdhsa_kernel _Z34inclusive_scan_reduce_array_kernelILj16ELj5ELN6hipcub18BlockScanAlgorithmE0E12hip_bfloat16EvPT2_S4_
		.amdhsa_group_segment_fixed_size 2
		.amdhsa_private_segment_fixed_size 0
		.amdhsa_kernarg_size 16
		.amdhsa_user_sgpr_count 6
		.amdhsa_user_sgpr_private_segment_buffer 1
		.amdhsa_user_sgpr_dispatch_ptr 0
		.amdhsa_user_sgpr_queue_ptr 0
		.amdhsa_user_sgpr_kernarg_segment_ptr 1
		.amdhsa_user_sgpr_dispatch_id 0
		.amdhsa_user_sgpr_flat_scratch_init 0
		.amdhsa_user_sgpr_kernarg_preload_length 0
		.amdhsa_user_sgpr_kernarg_preload_offset 0
		.amdhsa_user_sgpr_private_segment_size 0
		.amdhsa_uses_dynamic_stack 0
		.amdhsa_system_sgpr_private_segment_wavefront_offset 0
		.amdhsa_system_sgpr_workgroup_id_x 1
		.amdhsa_system_sgpr_workgroup_id_y 0
		.amdhsa_system_sgpr_workgroup_id_z 0
		.amdhsa_system_sgpr_workgroup_info 0
		.amdhsa_system_vgpr_workitem_id 0
		.amdhsa_next_free_vgpr 25
		.amdhsa_next_free_sgpr 10
		.amdhsa_accum_offset 28
		.amdhsa_reserve_vcc 1
		.amdhsa_reserve_flat_scratch 0
		.amdhsa_float_round_mode_32 0
		.amdhsa_float_round_mode_16_64 0
		.amdhsa_float_denorm_mode_32 3
		.amdhsa_float_denorm_mode_16_64 3
		.amdhsa_dx10_clamp 1
		.amdhsa_ieee_mode 1
		.amdhsa_fp16_overflow 0
		.amdhsa_tg_split 0
		.amdhsa_exception_fp_ieee_invalid_op 0
		.amdhsa_exception_fp_denorm_src 0
		.amdhsa_exception_fp_ieee_div_zero 0
		.amdhsa_exception_fp_ieee_overflow 0
		.amdhsa_exception_fp_ieee_underflow 0
		.amdhsa_exception_fp_ieee_inexact 0
		.amdhsa_exception_int_div_zero 0
	.end_amdhsa_kernel
	.section	.text._Z34inclusive_scan_reduce_array_kernelILj16ELj5ELN6hipcub18BlockScanAlgorithmE0E12hip_bfloat16EvPT2_S4_,"axG",@progbits,_Z34inclusive_scan_reduce_array_kernelILj16ELj5ELN6hipcub18BlockScanAlgorithmE0E12hip_bfloat16EvPT2_S4_,comdat
.Lfunc_end198:
	.size	_Z34inclusive_scan_reduce_array_kernelILj16ELj5ELN6hipcub18BlockScanAlgorithmE0E12hip_bfloat16EvPT2_S4_, .Lfunc_end198-_Z34inclusive_scan_reduce_array_kernelILj16ELj5ELN6hipcub18BlockScanAlgorithmE0E12hip_bfloat16EvPT2_S4_
                                        ; -- End function
	.section	.AMDGPU.csdata,"",@progbits
; Kernel info:
; codeLenInByte = 1776
; NumSgprs: 14
; NumVgprs: 25
; NumAgprs: 0
; TotalNumVgprs: 25
; ScratchSize: 0
; MemoryBound: 0
; FloatMode: 240
; IeeeMode: 1
; LDSByteSize: 2 bytes/workgroup (compile time only)
; SGPRBlocks: 1
; VGPRBlocks: 3
; NumSGPRsForWavesPerEU: 14
; NumVGPRsForWavesPerEU: 25
; AccumOffset: 28
; Occupancy: 8
; WaveLimiterHint : 0
; COMPUTE_PGM_RSRC2:SCRATCH_EN: 0
; COMPUTE_PGM_RSRC2:USER_SGPR: 6
; COMPUTE_PGM_RSRC2:TRAP_HANDLER: 0
; COMPUTE_PGM_RSRC2:TGID_X_EN: 1
; COMPUTE_PGM_RSRC2:TGID_Y_EN: 0
; COMPUTE_PGM_RSRC2:TGID_Z_EN: 0
; COMPUTE_PGM_RSRC2:TIDIG_COMP_CNT: 0
; COMPUTE_PGM_RSRC3_GFX90A:ACCUM_OFFSET: 6
; COMPUTE_PGM_RSRC3_GFX90A:TG_SPLIT: 0
	.section	.text._Z34inclusive_scan_reduce_array_kernelILj65ELj5ELN6hipcub18BlockScanAlgorithmE0E6__halfEvPT2_S4_,"axG",@progbits,_Z34inclusive_scan_reduce_array_kernelILj65ELj5ELN6hipcub18BlockScanAlgorithmE0E6__halfEvPT2_S4_,comdat
	.protected	_Z34inclusive_scan_reduce_array_kernelILj65ELj5ELN6hipcub18BlockScanAlgorithmE0E6__halfEvPT2_S4_ ; -- Begin function _Z34inclusive_scan_reduce_array_kernelILj65ELj5ELN6hipcub18BlockScanAlgorithmE0E6__halfEvPT2_S4_
	.globl	_Z34inclusive_scan_reduce_array_kernelILj65ELj5ELN6hipcub18BlockScanAlgorithmE0E6__halfEvPT2_S4_
	.p2align	8
	.type	_Z34inclusive_scan_reduce_array_kernelILj65ELj5ELN6hipcub18BlockScanAlgorithmE0E6__halfEvPT2_S4_,@function
_Z34inclusive_scan_reduce_array_kernelILj65ELj5ELN6hipcub18BlockScanAlgorithmE0E6__halfEvPT2_S4_: ; @_Z34inclusive_scan_reduce_array_kernelILj65ELj5ELN6hipcub18BlockScanAlgorithmE0E6__halfEvPT2_S4_
; %bb.0:
	s_load_dwordx4 s[0:3], s[4:5], 0x0
	s_mul_i32 s4, s6, 0x41
	v_add_u32_e32 v1, s4, v0
	v_lshl_add_u32 v10, v1, 2, v1
	v_mov_b32_e32 v11, 0
	v_lshlrev_b64 v[2:3], 1, v[10:11]
	s_waitcnt lgkmcnt(0)
	v_mov_b32_e32 v1, s1
	v_add_co_u32_e32 v2, vcc, s0, v2
	v_add_u32_e32 v4, 1, v10
	v_mov_b32_e32 v5, v11
	v_addc_co_u32_e32 v3, vcc, v1, v3, vcc
	v_lshlrev_b64 v[4:5], 1, v[4:5]
	v_add_co_u32_e32 v4, vcc, s0, v4
	v_add_u32_e32 v6, 2, v10
	v_mov_b32_e32 v7, v11
	v_addc_co_u32_e32 v5, vcc, v1, v5, vcc
	v_lshlrev_b64 v[6:7], 1, v[6:7]
	;; [unrolled: 5-line block ×3, first 2 shown]
	v_add_co_u32_e32 v8, vcc, s0, v8
	v_add_u32_e32 v10, 4, v10
	v_addc_co_u32_e32 v9, vcc, v1, v9, vcc
	v_lshlrev_b64 v[10:11], 1, v[10:11]
	v_add_co_u32_e32 v10, vcc, s0, v10
	v_addc_co_u32_e32 v11, vcc, v1, v11, vcc
	global_load_ushort v1, v[2:3], off
	global_load_ushort v12, v[4:5], off
	;; [unrolled: 1-line block ×5, first 2 shown]
	v_mbcnt_lo_u32_b32 v16, -1, 0
	v_mbcnt_hi_u32_b32 v16, -1, v16
	v_cmp_gt_u32_e64 s[0:1], 64, v0
	v_and_b32_e32 v18, 15, v16
	v_cndmask_b32_e64 v19, 64, 63, s[0:1]
	v_cmp_eq_u32_e64 s[0:1], 0, v18
	v_and_b32_e32 v20, 16, v16
	v_lshrrev_b32_e32 v17, 6, v0
	v_cmp_lt_u32_e32 vcc, 63, v0
	s_waitcnt vmcnt(3)
	v_add_f16_e32 v21, v1, v12
	s_waitcnt vmcnt(2)
	v_add_f16_e32 v21, v21, v13
	;; [unrolled: 2-line block ×4, first 2 shown]
	s_nop 1
	v_mov_b32_dpp v22, v21 row_shr:1 row_mask:0xf bank_mask:0xf
	v_add_f16_e32 v22, v21, v22
	v_cndmask_b32_e64 v21, v22, v21, s[0:1]
	v_and_b32_e32 v22, 0xffff, v21
	v_cmp_lt_u32_e64 s[0:1], 1, v18
	s_nop 0
	v_mov_b32_dpp v22, v22 row_shr:2 row_mask:0xf bank_mask:0xf
	v_add_f16_e32 v22, v21, v22
	v_cndmask_b32_e64 v21, v21, v22, s[0:1]
	v_and_b32_e32 v22, 0xffff, v21
	v_cmp_lt_u32_e64 s[0:1], 3, v18
	;; [unrolled: 6-line block ×3, first 2 shown]
	s_nop 0
	v_mov_b32_dpp v22, v22 row_shr:8 row_mask:0xf bank_mask:0xf
	v_add_f16_e32 v22, v21, v22
	v_cndmask_b32_e64 v18, v21, v22, s[0:1]
	v_and_b32_e32 v21, 0xffff, v18
	v_cmp_eq_u32_e64 s[0:1], 0, v20
	s_nop 0
	v_mov_b32_dpp v21, v21 row_bcast:15 row_mask:0xf bank_mask:0xf
	v_add_f16_e32 v21, v18, v21
	v_cndmask_b32_e64 v18, v21, v18, s[0:1]
	v_and_b32_e32 v20, 0xffff, v18
	v_cmp_lt_u32_e64 s[0:1], 31, v16
	s_nop 0
	v_mov_b32_dpp v20, v20 row_bcast:31 row_mask:0xf bank_mask:0xf
	v_add_f16_e32 v20, v18, v20
	v_cndmask_b32_e64 v18, v18, v20, s[0:1]
	v_cmp_eq_u32_e64 s[0:1], v19, v0
	s_and_saveexec_b64 s[4:5], s[0:1]
	s_cbranch_execz .LBB199_2
; %bb.1:
	v_lshlrev_b32_e32 v19, 1, v17
	ds_write_b16 v19, v18
.LBB199_2:
	s_or_b64 exec, exec, s[4:5]
	v_cmp_gt_u32_e64 s[0:1], 2, v0
	s_waitcnt lgkmcnt(0)
	s_barrier
	s_and_saveexec_b64 s[4:5], s[0:1]
	s_cbranch_execz .LBB199_4
; %bb.3:
	v_lshlrev_b32_e32 v19, 1, v0
	ds_read_u16 v20, v19
	v_and_b32_e32 v21, 1, v16
	v_cmp_eq_u32_e64 s[0:1], 0, v21
	s_waitcnt lgkmcnt(0)
	v_and_b32_e32 v22, 0xffff, v20
	s_nop 1
	v_mov_b32_dpp v22, v22 row_shr:1 row_mask:0xf bank_mask:0xf
	v_add_f16_e32 v22, v20, v22
	v_cndmask_b32_e64 v20, v22, v20, s[0:1]
	ds_write_b16 v19, v20
.LBB199_4:
	s_or_b64 exec, exec, s[4:5]
	s_waitcnt lgkmcnt(0)
	s_barrier
	s_waitcnt lgkmcnt(0)
                                        ; implicit-def: $vgpr19
	s_and_saveexec_b64 s[0:1], vcc
	s_cbranch_execz .LBB199_6
; %bb.5:
	v_lshl_add_u32 v17, v17, 1, -2
	ds_read_u16 v19, v17
	s_waitcnt lgkmcnt(0)
	v_add_f16_e32 v18, v18, v19
.LBB199_6:
	s_or_b64 exec, exec, s[0:1]
	v_and_b32_e32 v17, 0xffff, v18
	v_add_u32_e32 v18, -1, v16
	v_and_b32_e32 v20, 64, v16
	v_cmp_lt_i32_e32 vcc, v18, v20
	v_cndmask_b32_e32 v18, v18, v16, vcc
	v_lshlrev_b32_e32 v18, 2, v18
	ds_bpermute_b32 v17, v18, v17
	v_cmp_eq_u32_e32 vcc, 0, v16
	s_mov_b32 s7, 0
	s_waitcnt lgkmcnt(0)
	v_cndmask_b32_e32 v16, v17, v19, vcc
	v_add_f16_e32 v16, v1, v16
	v_cmp_eq_u32_e32 vcc, 0, v0
	v_cndmask_b32_e32 v0, v16, v1, vcc
	v_add_f16_e32 v1, v12, v0
	v_add_f16_e32 v12, v13, v1
	;; [unrolled: 1-line block ×4, first 2 shown]
	global_store_short v[2:3], v0, off
	global_store_short v[4:5], v1, off
	;; [unrolled: 1-line block ×5, first 2 shown]
	s_and_saveexec_b64 s[0:1], vcc
	s_cbranch_execz .LBB199_8
; %bb.7:
	v_mov_b32_e32 v0, 0
	ds_read_u16 v1, v0 offset:2
	s_lshl_b64 s[0:1], s[6:7], 1
	s_add_u32 s0, s2, s0
	s_addc_u32 s1, s3, s1
	s_waitcnt lgkmcnt(0)
	global_store_short v0, v1, s[0:1]
.LBB199_8:
	s_endpgm
	.section	.rodata,"a",@progbits
	.p2align	6, 0x0
	.amdhsa_kernel _Z34inclusive_scan_reduce_array_kernelILj65ELj5ELN6hipcub18BlockScanAlgorithmE0E6__halfEvPT2_S4_
		.amdhsa_group_segment_fixed_size 4
		.amdhsa_private_segment_fixed_size 0
		.amdhsa_kernarg_size 16
		.amdhsa_user_sgpr_count 6
		.amdhsa_user_sgpr_private_segment_buffer 1
		.amdhsa_user_sgpr_dispatch_ptr 0
		.amdhsa_user_sgpr_queue_ptr 0
		.amdhsa_user_sgpr_kernarg_segment_ptr 1
		.amdhsa_user_sgpr_dispatch_id 0
		.amdhsa_user_sgpr_flat_scratch_init 0
		.amdhsa_user_sgpr_kernarg_preload_length 0
		.amdhsa_user_sgpr_kernarg_preload_offset 0
		.amdhsa_user_sgpr_private_segment_size 0
		.amdhsa_uses_dynamic_stack 0
		.amdhsa_system_sgpr_private_segment_wavefront_offset 0
		.amdhsa_system_sgpr_workgroup_id_x 1
		.amdhsa_system_sgpr_workgroup_id_y 0
		.amdhsa_system_sgpr_workgroup_id_z 0
		.amdhsa_system_sgpr_workgroup_info 0
		.amdhsa_system_vgpr_workitem_id 0
		.amdhsa_next_free_vgpr 23
		.amdhsa_next_free_sgpr 8
		.amdhsa_accum_offset 24
		.amdhsa_reserve_vcc 1
		.amdhsa_reserve_flat_scratch 0
		.amdhsa_float_round_mode_32 0
		.amdhsa_float_round_mode_16_64 0
		.amdhsa_float_denorm_mode_32 3
		.amdhsa_float_denorm_mode_16_64 3
		.amdhsa_dx10_clamp 1
		.amdhsa_ieee_mode 1
		.amdhsa_fp16_overflow 0
		.amdhsa_tg_split 0
		.amdhsa_exception_fp_ieee_invalid_op 0
		.amdhsa_exception_fp_denorm_src 0
		.amdhsa_exception_fp_ieee_div_zero 0
		.amdhsa_exception_fp_ieee_overflow 0
		.amdhsa_exception_fp_ieee_underflow 0
		.amdhsa_exception_fp_ieee_inexact 0
		.amdhsa_exception_int_div_zero 0
	.end_amdhsa_kernel
	.section	.text._Z34inclusive_scan_reduce_array_kernelILj65ELj5ELN6hipcub18BlockScanAlgorithmE0E6__halfEvPT2_S4_,"axG",@progbits,_Z34inclusive_scan_reduce_array_kernelILj65ELj5ELN6hipcub18BlockScanAlgorithmE0E6__halfEvPT2_S4_,comdat
.Lfunc_end199:
	.size	_Z34inclusive_scan_reduce_array_kernelILj65ELj5ELN6hipcub18BlockScanAlgorithmE0E6__halfEvPT2_S4_, .Lfunc_end199-_Z34inclusive_scan_reduce_array_kernelILj65ELj5ELN6hipcub18BlockScanAlgorithmE0E6__halfEvPT2_S4_
                                        ; -- End function
	.section	.AMDGPU.csdata,"",@progbits
; Kernel info:
; codeLenInByte = 844
; NumSgprs: 12
; NumVgprs: 23
; NumAgprs: 0
; TotalNumVgprs: 23
; ScratchSize: 0
; MemoryBound: 0
; FloatMode: 240
; IeeeMode: 1
; LDSByteSize: 4 bytes/workgroup (compile time only)
; SGPRBlocks: 1
; VGPRBlocks: 2
; NumSGPRsForWavesPerEU: 12
; NumVGPRsForWavesPerEU: 23
; AccumOffset: 24
; Occupancy: 8
; WaveLimiterHint : 0
; COMPUTE_PGM_RSRC2:SCRATCH_EN: 0
; COMPUTE_PGM_RSRC2:USER_SGPR: 6
; COMPUTE_PGM_RSRC2:TRAP_HANDLER: 0
; COMPUTE_PGM_RSRC2:TGID_X_EN: 1
; COMPUTE_PGM_RSRC2:TGID_Y_EN: 0
; COMPUTE_PGM_RSRC2:TGID_Z_EN: 0
; COMPUTE_PGM_RSRC2:TIDIG_COMP_CNT: 0
; COMPUTE_PGM_RSRC3_GFX90A:ACCUM_OFFSET: 5
; COMPUTE_PGM_RSRC3_GFX90A:TG_SPLIT: 0
	.section	.text._Z34inclusive_scan_reduce_array_kernelILj255ELj15ELN6hipcub18BlockScanAlgorithmE0EfEvPT2_S3_,"axG",@progbits,_Z34inclusive_scan_reduce_array_kernelILj255ELj15ELN6hipcub18BlockScanAlgorithmE0EfEvPT2_S3_,comdat
	.protected	_Z34inclusive_scan_reduce_array_kernelILj255ELj15ELN6hipcub18BlockScanAlgorithmE0EfEvPT2_S3_ ; -- Begin function _Z34inclusive_scan_reduce_array_kernelILj255ELj15ELN6hipcub18BlockScanAlgorithmE0EfEvPT2_S3_
	.globl	_Z34inclusive_scan_reduce_array_kernelILj255ELj15ELN6hipcub18BlockScanAlgorithmE0EfEvPT2_S3_
	.p2align	8
	.type	_Z34inclusive_scan_reduce_array_kernelILj255ELj15ELN6hipcub18BlockScanAlgorithmE0EfEvPT2_S3_,@function
_Z34inclusive_scan_reduce_array_kernelILj255ELj15ELN6hipcub18BlockScanAlgorithmE0EfEvPT2_S3_: ; @_Z34inclusive_scan_reduce_array_kernelILj255ELj15ELN6hipcub18BlockScanAlgorithmE0EfEvPT2_S3_
; %bb.0:
	s_load_dwordx4 s[0:3], s[4:5], 0x0
	s_mul_i32 s4, s6, 0xff
	v_add_u32_e32 v1, s4, v0
	v_mul_lo_u32 v30, v1, 15
	v_mov_b32_e32 v31, 0
	v_lshlrev_b64 v[2:3], 2, v[30:31]
	s_waitcnt lgkmcnt(0)
	v_mov_b32_e32 v1, s1
	v_add_co_u32_e32 v2, vcc, s0, v2
	v_add_u32_e32 v4, 1, v30
	v_mov_b32_e32 v5, v31
	v_addc_co_u32_e32 v3, vcc, v1, v3, vcc
	v_lshlrev_b64 v[4:5], 2, v[4:5]
	v_add_co_u32_e32 v4, vcc, s0, v4
	v_add_u32_e32 v6, 2, v30
	v_mov_b32_e32 v7, v31
	v_addc_co_u32_e32 v5, vcc, v1, v5, vcc
	v_lshlrev_b64 v[6:7], 2, v[6:7]
	;; [unrolled: 5-line block ×8, first 2 shown]
	v_mov_b32_e32 v20, s1
	v_add_co_u32_e32 v18, vcc, s0, v18
	v_addc_co_u32_e32 v19, vcc, v20, v19, vcc
	v_add_u32_e32 v20, 9, v30
	v_mov_b32_e32 v21, v31
	v_lshlrev_b64 v[20:21], 2, v[20:21]
	v_mov_b32_e32 v22, s1
	v_add_co_u32_e32 v20, vcc, s0, v20
	v_addc_co_u32_e32 v21, vcc, v22, v21, vcc
	v_add_u32_e32 v22, 10, v30
	v_mov_b32_e32 v23, v31
	v_lshlrev_b64 v[22:23], 2, v[22:23]
	;; [unrolled: 6-line block ×3, first 2 shown]
	v_mov_b32_e32 v26, s1
	v_add_co_u32_e32 v24, vcc, s0, v24
	v_addc_co_u32_e32 v25, vcc, v26, v25, vcc
	v_add_u32_e32 v26, 12, v30
	v_mov_b32_e32 v27, v31
	global_load_dword v1, v[2:3], off
	global_load_dword v32, v[4:5], off
	;; [unrolled: 1-line block ×8, first 2 shown]
	v_lshlrev_b64 v[26:27], 2, v[26:27]
	v_mov_b32_e32 v28, s1
	v_add_co_u32_e32 v26, vcc, s0, v26
	v_addc_co_u32_e32 v27, vcc, v28, v27, vcc
	v_add_u32_e32 v28, 13, v30
	v_mov_b32_e32 v29, v31
	v_lshlrev_b64 v[28:29], 2, v[28:29]
	v_mov_b32_e32 v39, s1
	v_add_co_u32_e32 v28, vcc, s0, v28
	v_add_u32_e32 v30, 14, v30
	v_addc_co_u32_e32 v29, vcc, v39, v29, vcc
	v_lshlrev_b64 v[30:31], 2, v[30:31]
	v_add_co_u32_e32 v30, vcc, s0, v30
	v_addc_co_u32_e32 v31, vcc, v39, v31, vcc
	global_load_dword v39, v[18:19], off
	global_load_dword v40, v[20:21], off
	;; [unrolled: 1-line block ×7, first 2 shown]
	s_waitcnt vmcnt(13)
	v_add_f32_e32 v46, v1, v32
	s_waitcnt vmcnt(12)
	v_add_f32_e32 v46, v33, v46
	;; [unrolled: 2-line block ×14, first 2 shown]
	v_mbcnt_lo_u32_b32 v46, -1, 0
	v_mbcnt_hi_u32_b32 v46, -1, v46
	v_and_b32_e32 v48, 15, v46
	v_mov_b32_dpp v49, v47 row_shr:1 row_mask:0xf bank_mask:0xf
	v_add_f32_e32 v49, v47, v49
	v_cmp_eq_u32_e32 vcc, 0, v48
	v_cndmask_b32_e32 v47, v49, v47, vcc
	v_cmp_lt_u32_e32 vcc, 1, v48
	s_nop 0
	v_mov_b32_dpp v49, v47 row_shr:2 row_mask:0xf bank_mask:0xf
	v_add_f32_e32 v49, v47, v49
	v_cndmask_b32_e32 v47, v47, v49, vcc
	v_cmp_lt_u32_e32 vcc, 3, v48
	s_nop 0
	v_mov_b32_dpp v49, v47 row_shr:4 row_mask:0xf bank_mask:0xf
	v_add_f32_e32 v49, v47, v49
	;; [unrolled: 5-line block ×3, first 2 shown]
	v_cndmask_b32_e32 v47, v47, v49, vcc
	v_and_b32_e32 v49, 16, v46
	v_cmp_eq_u32_e32 vcc, 0, v49
	v_mov_b32_dpp v48, v47 row_bcast:15 row_mask:0xf bank_mask:0xf
	v_add_f32_e32 v48, v47, v48
	v_cndmask_b32_e32 v47, v48, v47, vcc
	v_and_b32_e32 v49, 0xc0, v0
	v_min_u32_e32 v49, 0xbf, v49
	v_mov_b32_dpp v48, v47 row_bcast:31 row_mask:0xf bank_mask:0xf
	v_add_f32_e32 v48, v47, v48
	v_cmp_lt_u32_e32 vcc, 31, v46
	v_add_u32_e32 v49, 63, v49
	v_cndmask_b32_e32 v47, v47, v48, vcc
	v_lshrrev_b32_e32 v48, 6, v0
	v_cmp_eq_u32_e32 vcc, v49, v0
	s_and_saveexec_b64 s[0:1], vcc
	s_cbranch_execz .LBB200_2
; %bb.1:
	v_lshlrev_b32_e32 v49, 2, v48
	ds_write_b32 v49, v47
.LBB200_2:
	s_or_b64 exec, exec, s[0:1]
	v_cmp_gt_u32_e32 vcc, 4, v0
	s_waitcnt lgkmcnt(0)
	s_barrier
	s_and_saveexec_b64 s[0:1], vcc
	s_cbranch_execz .LBB200_4
; %bb.3:
	v_lshlrev_b32_e32 v49, 2, v0
	ds_read_b32 v50, v49
	v_and_b32_e32 v51, 3, v46
	v_cmp_eq_u32_e32 vcc, 0, v51
	s_waitcnt lgkmcnt(0)
	v_mov_b32_dpp v52, v50 row_shr:1 row_mask:0xf bank_mask:0xf
	v_add_f32_e32 v52, v50, v52
	v_cndmask_b32_e32 v50, v52, v50, vcc
	v_cmp_lt_u32_e32 vcc, 1, v51
	s_nop 0
	v_mov_b32_dpp v52, v50 row_shr:2 row_mask:0xf bank_mask:0xf
	v_add_f32_e32 v52, v50, v52
	v_cndmask_b32_e32 v50, v50, v52, vcc
	ds_write_b32 v49, v50
.LBB200_4:
	s_or_b64 exec, exec, s[0:1]
	v_cmp_lt_u32_e32 vcc, 63, v0
	s_waitcnt lgkmcnt(0)
	s_barrier
	s_waitcnt lgkmcnt(0)
                                        ; implicit-def: $vgpr49
	s_and_saveexec_b64 s[0:1], vcc
	s_cbranch_execz .LBB200_6
; %bb.5:
	v_lshl_add_u32 v48, v48, 2, -4
	ds_read_b32 v49, v48
	s_waitcnt lgkmcnt(0)
	v_add_f32_e32 v47, v47, v49
.LBB200_6:
	s_or_b64 exec, exec, s[0:1]
	v_add_u32_e32 v48, -1, v46
	v_and_b32_e32 v50, 64, v46
	v_cmp_lt_i32_e32 vcc, v48, v50
	v_cndmask_b32_e32 v48, v48, v46, vcc
	v_lshlrev_b32_e32 v48, 2, v48
	ds_bpermute_b32 v47, v48, v47
	v_cmp_eq_u32_e32 vcc, 0, v46
	s_mov_b32 s7, 0
	s_waitcnt lgkmcnt(0)
	v_cndmask_b32_e32 v46, v47, v49, vcc
	v_add_f32_e32 v46, v1, v46
	v_cmp_eq_u32_e32 vcc, 0, v0
	v_cndmask_b32_e32 v0, v46, v1, vcc
	v_add_f32_e32 v1, v32, v0
	v_add_f32_e32 v32, v33, v1
	;; [unrolled: 1-line block ×14, first 2 shown]
	global_store_dword v[2:3], v0, off
	global_store_dword v[4:5], v1, off
	global_store_dword v[6:7], v32, off
	global_store_dword v[8:9], v33, off
	global_store_dword v[10:11], v34, off
	global_store_dword v[12:13], v35, off
	global_store_dword v[14:15], v36, off
	global_store_dword v[16:17], v37, off
	global_store_dword v[18:19], v38, off
	global_store_dword v[20:21], v39, off
	global_store_dword v[22:23], v40, off
	global_store_dword v[24:25], v41, off
	global_store_dword v[26:27], v42, off
	global_store_dword v[28:29], v43, off
	global_store_dword v[30:31], v44, off
	s_and_saveexec_b64 s[0:1], vcc
	s_cbranch_execz .LBB200_8
; %bb.7:
	v_mov_b32_e32 v0, 0
	ds_read_b32 v1, v0 offset:12
	s_lshl_b64 s[0:1], s[6:7], 2
	s_add_u32 s0, s2, s0
	s_addc_u32 s1, s3, s1
	s_waitcnt lgkmcnt(0)
	global_store_dword v0, v1, s[0:1]
.LBB200_8:
	s_endpgm
	.section	.rodata,"a",@progbits
	.p2align	6, 0x0
	.amdhsa_kernel _Z34inclusive_scan_reduce_array_kernelILj255ELj15ELN6hipcub18BlockScanAlgorithmE0EfEvPT2_S3_
		.amdhsa_group_segment_fixed_size 16
		.amdhsa_private_segment_fixed_size 0
		.amdhsa_kernarg_size 16
		.amdhsa_user_sgpr_count 6
		.amdhsa_user_sgpr_private_segment_buffer 1
		.amdhsa_user_sgpr_dispatch_ptr 0
		.amdhsa_user_sgpr_queue_ptr 0
		.amdhsa_user_sgpr_kernarg_segment_ptr 1
		.amdhsa_user_sgpr_dispatch_id 0
		.amdhsa_user_sgpr_flat_scratch_init 0
		.amdhsa_user_sgpr_kernarg_preload_length 0
		.amdhsa_user_sgpr_kernarg_preload_offset 0
		.amdhsa_user_sgpr_private_segment_size 0
		.amdhsa_uses_dynamic_stack 0
		.amdhsa_system_sgpr_private_segment_wavefront_offset 0
		.amdhsa_system_sgpr_workgroup_id_x 1
		.amdhsa_system_sgpr_workgroup_id_y 0
		.amdhsa_system_sgpr_workgroup_id_z 0
		.amdhsa_system_sgpr_workgroup_info 0
		.amdhsa_system_vgpr_workitem_id 0
		.amdhsa_next_free_vgpr 53
		.amdhsa_next_free_sgpr 8
		.amdhsa_accum_offset 56
		.amdhsa_reserve_vcc 1
		.amdhsa_reserve_flat_scratch 0
		.amdhsa_float_round_mode_32 0
		.amdhsa_float_round_mode_16_64 0
		.amdhsa_float_denorm_mode_32 3
		.amdhsa_float_denorm_mode_16_64 3
		.amdhsa_dx10_clamp 1
		.amdhsa_ieee_mode 1
		.amdhsa_fp16_overflow 0
		.amdhsa_tg_split 0
		.amdhsa_exception_fp_ieee_invalid_op 0
		.amdhsa_exception_fp_denorm_src 0
		.amdhsa_exception_fp_ieee_div_zero 0
		.amdhsa_exception_fp_ieee_overflow 0
		.amdhsa_exception_fp_ieee_underflow 0
		.amdhsa_exception_fp_ieee_inexact 0
		.amdhsa_exception_int_div_zero 0
	.end_amdhsa_kernel
	.section	.text._Z34inclusive_scan_reduce_array_kernelILj255ELj15ELN6hipcub18BlockScanAlgorithmE0EfEvPT2_S3_,"axG",@progbits,_Z34inclusive_scan_reduce_array_kernelILj255ELj15ELN6hipcub18BlockScanAlgorithmE0EfEvPT2_S3_,comdat
.Lfunc_end200:
	.size	_Z34inclusive_scan_reduce_array_kernelILj255ELj15ELN6hipcub18BlockScanAlgorithmE0EfEvPT2_S3_, .Lfunc_end200-_Z34inclusive_scan_reduce_array_kernelILj255ELj15ELN6hipcub18BlockScanAlgorithmE0EfEvPT2_S3_
                                        ; -- End function
	.section	.AMDGPU.csdata,"",@progbits
; Kernel info:
; codeLenInByte = 1280
; NumSgprs: 12
; NumVgprs: 53
; NumAgprs: 0
; TotalNumVgprs: 53
; ScratchSize: 0
; MemoryBound: 0
; FloatMode: 240
; IeeeMode: 1
; LDSByteSize: 16 bytes/workgroup (compile time only)
; SGPRBlocks: 1
; VGPRBlocks: 6
; NumSGPRsForWavesPerEU: 12
; NumVGPRsForWavesPerEU: 53
; AccumOffset: 56
; Occupancy: 8
; WaveLimiterHint : 0
; COMPUTE_PGM_RSRC2:SCRATCH_EN: 0
; COMPUTE_PGM_RSRC2:USER_SGPR: 6
; COMPUTE_PGM_RSRC2:TRAP_HANDLER: 0
; COMPUTE_PGM_RSRC2:TGID_X_EN: 1
; COMPUTE_PGM_RSRC2:TGID_Y_EN: 0
; COMPUTE_PGM_RSRC2:TGID_Z_EN: 0
; COMPUTE_PGM_RSRC2:TIDIG_COMP_CNT: 0
; COMPUTE_PGM_RSRC3_GFX90A:ACCUM_OFFSET: 13
; COMPUTE_PGM_RSRC3_GFX90A:TG_SPLIT: 0
	.section	.text._Z34inclusive_scan_reduce_array_kernelILj162ELj7ELN6hipcub18BlockScanAlgorithmE0EfEvPT2_S3_,"axG",@progbits,_Z34inclusive_scan_reduce_array_kernelILj162ELj7ELN6hipcub18BlockScanAlgorithmE0EfEvPT2_S3_,comdat
	.protected	_Z34inclusive_scan_reduce_array_kernelILj162ELj7ELN6hipcub18BlockScanAlgorithmE0EfEvPT2_S3_ ; -- Begin function _Z34inclusive_scan_reduce_array_kernelILj162ELj7ELN6hipcub18BlockScanAlgorithmE0EfEvPT2_S3_
	.globl	_Z34inclusive_scan_reduce_array_kernelILj162ELj7ELN6hipcub18BlockScanAlgorithmE0EfEvPT2_S3_
	.p2align	8
	.type	_Z34inclusive_scan_reduce_array_kernelILj162ELj7ELN6hipcub18BlockScanAlgorithmE0EfEvPT2_S3_,@function
_Z34inclusive_scan_reduce_array_kernelILj162ELj7ELN6hipcub18BlockScanAlgorithmE0EfEvPT2_S3_: ; @_Z34inclusive_scan_reduce_array_kernelILj162ELj7ELN6hipcub18BlockScanAlgorithmE0EfEvPT2_S3_
; %bb.0:
	s_load_dwordx4 s[0:3], s[4:5], 0x0
	s_mul_i32 s4, s6, 0xa2
	v_add_u32_e32 v1, s4, v0
	v_mul_lo_u32 v14, v1, 7
	v_mov_b32_e32 v15, 0
	v_lshlrev_b64 v[2:3], 2, v[14:15]
	s_waitcnt lgkmcnt(0)
	v_mov_b32_e32 v1, s1
	v_add_co_u32_e32 v2, vcc, s0, v2
	v_add_u32_e32 v4, 1, v14
	v_mov_b32_e32 v5, v15
	v_addc_co_u32_e32 v3, vcc, v1, v3, vcc
	v_lshlrev_b64 v[4:5], 2, v[4:5]
	v_add_co_u32_e32 v4, vcc, s0, v4
	v_add_u32_e32 v6, 2, v14
	v_mov_b32_e32 v7, v15
	v_addc_co_u32_e32 v5, vcc, v1, v5, vcc
	v_lshlrev_b64 v[6:7], 2, v[6:7]
	;; [unrolled: 5-line block ×5, first 2 shown]
	v_add_co_u32_e32 v12, vcc, s0, v12
	v_add_u32_e32 v14, 6, v14
	v_addc_co_u32_e32 v13, vcc, v1, v13, vcc
	v_lshlrev_b64 v[14:15], 2, v[14:15]
	v_add_co_u32_e32 v14, vcc, s0, v14
	v_addc_co_u32_e32 v15, vcc, v1, v15, vcc
	global_load_dword v1, v[2:3], off
	global_load_dword v16, v[4:5], off
	;; [unrolled: 1-line block ×7, first 2 shown]
	v_and_b32_e32 v24, 0xc0, v0
	v_min_u32_e32 v24, 0x62, v24
	v_add_u32_e32 v27, 63, v24
	v_mbcnt_lo_u32_b32 v22, -1, 0
	v_mbcnt_hi_u32_b32 v22, -1, v22
	v_and_b32_e32 v25, 15, v22
	v_cmp_eq_u32_e32 vcc, 0, v25
	v_and_b32_e32 v26, 16, v22
	v_lshrrev_b32_e32 v23, 6, v0
	s_waitcnt vmcnt(5)
	v_add_f32_e32 v24, v1, v16
	s_waitcnt vmcnt(4)
	v_add_f32_e32 v24, v17, v24
	;; [unrolled: 2-line block ×6, first 2 shown]
	s_nop 1
	v_mov_b32_dpp v28, v24 row_shr:1 row_mask:0xf bank_mask:0xf
	v_add_f32_e32 v28, v24, v28
	v_cndmask_b32_e32 v24, v28, v24, vcc
	v_cmp_lt_u32_e32 vcc, 1, v25
	s_nop 0
	v_mov_b32_dpp v28, v24 row_shr:2 row_mask:0xf bank_mask:0xf
	v_add_f32_e32 v28, v24, v28
	v_cndmask_b32_e32 v24, v24, v28, vcc
	v_cmp_lt_u32_e32 vcc, 3, v25
	;; [unrolled: 5-line block ×3, first 2 shown]
	s_nop 0
	v_mov_b32_dpp v28, v24 row_shr:8 row_mask:0xf bank_mask:0xf
	v_add_f32_e32 v28, v24, v28
	v_cndmask_b32_e32 v24, v24, v28, vcc
	v_cmp_eq_u32_e32 vcc, 0, v26
	s_nop 0
	v_mov_b32_dpp v25, v24 row_bcast:15 row_mask:0xf bank_mask:0xf
	v_add_f32_e32 v25, v24, v25
	v_cndmask_b32_e32 v24, v25, v24, vcc
	v_cmp_lt_u32_e32 vcc, 31, v22
	s_nop 0
	v_mov_b32_dpp v25, v24 row_bcast:31 row_mask:0xf bank_mask:0xf
	v_add_f32_e32 v25, v24, v25
	v_cndmask_b32_e32 v24, v24, v25, vcc
	v_cmp_eq_u32_e32 vcc, v27, v0
	s_and_saveexec_b64 s[0:1], vcc
	s_cbranch_execz .LBB201_2
; %bb.1:
	v_lshlrev_b32_e32 v25, 2, v23
	ds_write_b32 v25, v24
.LBB201_2:
	s_or_b64 exec, exec, s[0:1]
	v_cmp_gt_u32_e32 vcc, 3, v0
	s_waitcnt lgkmcnt(0)
	s_barrier
	s_and_saveexec_b64 s[0:1], vcc
	s_cbranch_execz .LBB201_4
; %bb.3:
	v_lshlrev_b32_e32 v25, 2, v0
	ds_read_b32 v26, v25
	v_and_b32_e32 v27, 3, v22
	v_cmp_eq_u32_e32 vcc, 0, v27
	s_waitcnt lgkmcnt(0)
	v_mov_b32_dpp v28, v26 row_shr:1 row_mask:0xf bank_mask:0xf
	v_add_f32_e32 v28, v26, v28
	v_cndmask_b32_e32 v26, v28, v26, vcc
	v_cmp_lt_u32_e32 vcc, 1, v27
	s_nop 0
	v_mov_b32_dpp v28, v26 row_shr:2 row_mask:0xf bank_mask:0xf
	v_add_f32_e32 v28, v26, v28
	v_cndmask_b32_e32 v26, v26, v28, vcc
	ds_write_b32 v25, v26
.LBB201_4:
	s_or_b64 exec, exec, s[0:1]
	v_cmp_lt_u32_e32 vcc, 63, v0
	s_waitcnt lgkmcnt(0)
	s_barrier
	s_waitcnt lgkmcnt(0)
                                        ; implicit-def: $vgpr25
	s_and_saveexec_b64 s[0:1], vcc
	s_cbranch_execz .LBB201_6
; %bb.5:
	v_lshl_add_u32 v23, v23, 2, -4
	ds_read_b32 v25, v23
	s_waitcnt lgkmcnt(0)
	v_add_f32_e32 v24, v24, v25
.LBB201_6:
	s_or_b64 exec, exec, s[0:1]
	v_add_u32_e32 v23, -1, v22
	v_and_b32_e32 v26, 64, v22
	v_cmp_lt_i32_e32 vcc, v23, v26
	v_cndmask_b32_e32 v23, v23, v22, vcc
	v_lshlrev_b32_e32 v23, 2, v23
	ds_bpermute_b32 v23, v23, v24
	v_cmp_eq_u32_e32 vcc, 0, v22
	s_mov_b32 s7, 0
	s_waitcnt lgkmcnt(0)
	v_cndmask_b32_e32 v22, v23, v25, vcc
	v_add_f32_e32 v22, v1, v22
	v_cmp_eq_u32_e32 vcc, 0, v0
	v_cndmask_b32_e32 v0, v22, v1, vcc
	v_add_f32_e32 v1, v16, v0
	v_add_f32_e32 v16, v17, v1
	;; [unrolled: 1-line block ×6, first 2 shown]
	global_store_dword v[2:3], v0, off
	global_store_dword v[4:5], v1, off
	;; [unrolled: 1-line block ×7, first 2 shown]
	s_and_saveexec_b64 s[0:1], vcc
	s_cbranch_execz .LBB201_8
; %bb.7:
	v_mov_b32_e32 v0, 0
	ds_read_b32 v1, v0 offset:8
	s_lshl_b64 s[0:1], s[6:7], 2
	s_add_u32 s0, s2, s0
	s_addc_u32 s1, s3, s1
	s_waitcnt lgkmcnt(0)
	global_store_dword v0, v1, s[0:1]
.LBB201_8:
	s_endpgm
	.section	.rodata,"a",@progbits
	.p2align	6, 0x0
	.amdhsa_kernel _Z34inclusive_scan_reduce_array_kernelILj162ELj7ELN6hipcub18BlockScanAlgorithmE0EfEvPT2_S3_
		.amdhsa_group_segment_fixed_size 12
		.amdhsa_private_segment_fixed_size 0
		.amdhsa_kernarg_size 16
		.amdhsa_user_sgpr_count 6
		.amdhsa_user_sgpr_private_segment_buffer 1
		.amdhsa_user_sgpr_dispatch_ptr 0
		.amdhsa_user_sgpr_queue_ptr 0
		.amdhsa_user_sgpr_kernarg_segment_ptr 1
		.amdhsa_user_sgpr_dispatch_id 0
		.amdhsa_user_sgpr_flat_scratch_init 0
		.amdhsa_user_sgpr_kernarg_preload_length 0
		.amdhsa_user_sgpr_kernarg_preload_offset 0
		.amdhsa_user_sgpr_private_segment_size 0
		.amdhsa_uses_dynamic_stack 0
		.amdhsa_system_sgpr_private_segment_wavefront_offset 0
		.amdhsa_system_sgpr_workgroup_id_x 1
		.amdhsa_system_sgpr_workgroup_id_y 0
		.amdhsa_system_sgpr_workgroup_id_z 0
		.amdhsa_system_sgpr_workgroup_info 0
		.amdhsa_system_vgpr_workitem_id 0
		.amdhsa_next_free_vgpr 29
		.amdhsa_next_free_sgpr 8
		.amdhsa_accum_offset 32
		.amdhsa_reserve_vcc 1
		.amdhsa_reserve_flat_scratch 0
		.amdhsa_float_round_mode_32 0
		.amdhsa_float_round_mode_16_64 0
		.amdhsa_float_denorm_mode_32 3
		.amdhsa_float_denorm_mode_16_64 3
		.amdhsa_dx10_clamp 1
		.amdhsa_ieee_mode 1
		.amdhsa_fp16_overflow 0
		.amdhsa_tg_split 0
		.amdhsa_exception_fp_ieee_invalid_op 0
		.amdhsa_exception_fp_denorm_src 0
		.amdhsa_exception_fp_ieee_div_zero 0
		.amdhsa_exception_fp_ieee_overflow 0
		.amdhsa_exception_fp_ieee_underflow 0
		.amdhsa_exception_fp_ieee_inexact 0
		.amdhsa_exception_int_div_zero 0
	.end_amdhsa_kernel
	.section	.text._Z34inclusive_scan_reduce_array_kernelILj162ELj7ELN6hipcub18BlockScanAlgorithmE0EfEvPT2_S3_,"axG",@progbits,_Z34inclusive_scan_reduce_array_kernelILj162ELj7ELN6hipcub18BlockScanAlgorithmE0EfEvPT2_S3_,comdat
.Lfunc_end201:
	.size	_Z34inclusive_scan_reduce_array_kernelILj162ELj7ELN6hipcub18BlockScanAlgorithmE0EfEvPT2_S3_, .Lfunc_end201-_Z34inclusive_scan_reduce_array_kernelILj162ELj7ELN6hipcub18BlockScanAlgorithmE0EfEvPT2_S3_
                                        ; -- End function
	.section	.AMDGPU.csdata,"",@progbits
; Kernel info:
; codeLenInByte = 852
; NumSgprs: 12
; NumVgprs: 29
; NumAgprs: 0
; TotalNumVgprs: 29
; ScratchSize: 0
; MemoryBound: 0
; FloatMode: 240
; IeeeMode: 1
; LDSByteSize: 12 bytes/workgroup (compile time only)
; SGPRBlocks: 1
; VGPRBlocks: 3
; NumSGPRsForWavesPerEU: 12
; NumVGPRsForWavesPerEU: 29
; AccumOffset: 32
; Occupancy: 8
; WaveLimiterHint : 0
; COMPUTE_PGM_RSRC2:SCRATCH_EN: 0
; COMPUTE_PGM_RSRC2:USER_SGPR: 6
; COMPUTE_PGM_RSRC2:TRAP_HANDLER: 0
; COMPUTE_PGM_RSRC2:TGID_X_EN: 1
; COMPUTE_PGM_RSRC2:TGID_Y_EN: 0
; COMPUTE_PGM_RSRC2:TGID_Z_EN: 0
; COMPUTE_PGM_RSRC2:TIDIG_COMP_CNT: 0
; COMPUTE_PGM_RSRC3_GFX90A:ACCUM_OFFSET: 7
; COMPUTE_PGM_RSRC3_GFX90A:TG_SPLIT: 0
	.section	.text._Z34inclusive_scan_reduce_array_kernelILj65ELj5ELN6hipcub18BlockScanAlgorithmE0EfEvPT2_S3_,"axG",@progbits,_Z34inclusive_scan_reduce_array_kernelILj65ELj5ELN6hipcub18BlockScanAlgorithmE0EfEvPT2_S3_,comdat
	.protected	_Z34inclusive_scan_reduce_array_kernelILj65ELj5ELN6hipcub18BlockScanAlgorithmE0EfEvPT2_S3_ ; -- Begin function _Z34inclusive_scan_reduce_array_kernelILj65ELj5ELN6hipcub18BlockScanAlgorithmE0EfEvPT2_S3_
	.globl	_Z34inclusive_scan_reduce_array_kernelILj65ELj5ELN6hipcub18BlockScanAlgorithmE0EfEvPT2_S3_
	.p2align	8
	.type	_Z34inclusive_scan_reduce_array_kernelILj65ELj5ELN6hipcub18BlockScanAlgorithmE0EfEvPT2_S3_,@function
_Z34inclusive_scan_reduce_array_kernelILj65ELj5ELN6hipcub18BlockScanAlgorithmE0EfEvPT2_S3_: ; @_Z34inclusive_scan_reduce_array_kernelILj65ELj5ELN6hipcub18BlockScanAlgorithmE0EfEvPT2_S3_
; %bb.0:
	s_load_dwordx4 s[0:3], s[4:5], 0x0
	s_mul_i32 s4, s6, 0x41
	v_add_u32_e32 v1, s4, v0
	v_lshl_add_u32 v10, v1, 2, v1
	v_mov_b32_e32 v11, 0
	v_lshlrev_b64 v[2:3], 2, v[10:11]
	s_waitcnt lgkmcnt(0)
	v_mov_b32_e32 v1, s1
	v_add_co_u32_e32 v2, vcc, s0, v2
	v_add_u32_e32 v4, 1, v10
	v_mov_b32_e32 v5, v11
	v_addc_co_u32_e32 v3, vcc, v1, v3, vcc
	v_lshlrev_b64 v[4:5], 2, v[4:5]
	v_add_co_u32_e32 v4, vcc, s0, v4
	v_add_u32_e32 v6, 2, v10
	v_mov_b32_e32 v7, v11
	v_addc_co_u32_e32 v5, vcc, v1, v5, vcc
	v_lshlrev_b64 v[6:7], 2, v[6:7]
	;; [unrolled: 5-line block ×3, first 2 shown]
	v_add_co_u32_e32 v8, vcc, s0, v8
	v_add_u32_e32 v10, 4, v10
	v_addc_co_u32_e32 v9, vcc, v1, v9, vcc
	v_lshlrev_b64 v[10:11], 2, v[10:11]
	v_add_co_u32_e32 v10, vcc, s0, v10
	v_addc_co_u32_e32 v11, vcc, v1, v11, vcc
	global_load_dword v1, v[2:3], off
	global_load_dword v12, v[4:5], off
	;; [unrolled: 1-line block ×5, first 2 shown]
	v_mbcnt_lo_u32_b32 v16, -1, 0
	v_mbcnt_hi_u32_b32 v16, -1, v16
	v_cmp_gt_u32_e64 s[0:1], 64, v0
	v_and_b32_e32 v18, 15, v16
	v_cndmask_b32_e64 v19, 64, 63, s[0:1]
	v_cmp_eq_u32_e64 s[0:1], 0, v18
	v_and_b32_e32 v20, 16, v16
	v_lshrrev_b32_e32 v17, 6, v0
	v_cmp_lt_u32_e32 vcc, 63, v0
	s_waitcnt vmcnt(3)
	v_add_f32_e32 v21, v1, v12
	s_waitcnt vmcnt(2)
	v_add_f32_e32 v21, v13, v21
	;; [unrolled: 2-line block ×4, first 2 shown]
	s_nop 1
	v_mov_b32_dpp v22, v21 row_shr:1 row_mask:0xf bank_mask:0xf
	v_add_f32_e32 v22, v21, v22
	v_cndmask_b32_e64 v21, v22, v21, s[0:1]
	v_cmp_lt_u32_e64 s[0:1], 1, v18
	s_nop 0
	v_mov_b32_dpp v22, v21 row_shr:2 row_mask:0xf bank_mask:0xf
	v_add_f32_e32 v22, v21, v22
	v_cndmask_b32_e64 v21, v21, v22, s[0:1]
	v_cmp_lt_u32_e64 s[0:1], 3, v18
	;; [unrolled: 5-line block ×3, first 2 shown]
	s_nop 0
	v_mov_b32_dpp v22, v21 row_shr:8 row_mask:0xf bank_mask:0xf
	v_add_f32_e32 v22, v21, v22
	v_cndmask_b32_e64 v18, v21, v22, s[0:1]
	v_cmp_eq_u32_e64 s[0:1], 0, v20
	s_nop 0
	v_mov_b32_dpp v21, v18 row_bcast:15 row_mask:0xf bank_mask:0xf
	v_add_f32_e32 v21, v18, v21
	v_cndmask_b32_e64 v18, v21, v18, s[0:1]
	v_cmp_lt_u32_e64 s[0:1], 31, v16
	s_nop 0
	v_mov_b32_dpp v20, v18 row_bcast:31 row_mask:0xf bank_mask:0xf
	v_add_f32_e32 v20, v18, v20
	v_cndmask_b32_e64 v18, v18, v20, s[0:1]
	v_cmp_eq_u32_e64 s[0:1], v19, v0
	s_and_saveexec_b64 s[4:5], s[0:1]
	s_cbranch_execz .LBB202_2
; %bb.1:
	v_lshlrev_b32_e32 v19, 2, v17
	ds_write_b32 v19, v18
.LBB202_2:
	s_or_b64 exec, exec, s[4:5]
	v_cmp_gt_u32_e64 s[0:1], 2, v0
	s_waitcnt lgkmcnt(0)
	s_barrier
	s_and_saveexec_b64 s[4:5], s[0:1]
	s_cbranch_execz .LBB202_4
; %bb.3:
	v_lshlrev_b32_e32 v19, 2, v0
	ds_read_b32 v20, v19
	v_and_b32_e32 v21, 1, v16
	v_cmp_eq_u32_e64 s[0:1], 0, v21
	s_waitcnt lgkmcnt(0)
	v_mov_b32_dpp v22, v20 row_shr:1 row_mask:0xf bank_mask:0xf
	v_add_f32_e32 v22, v20, v22
	v_cndmask_b32_e64 v20, v22, v20, s[0:1]
	ds_write_b32 v19, v20
.LBB202_4:
	s_or_b64 exec, exec, s[4:5]
	s_waitcnt lgkmcnt(0)
	s_barrier
	s_waitcnt lgkmcnt(0)
                                        ; implicit-def: $vgpr19
	s_and_saveexec_b64 s[0:1], vcc
	s_cbranch_execz .LBB202_6
; %bb.5:
	v_lshl_add_u32 v17, v17, 2, -4
	ds_read_b32 v19, v17
	s_waitcnt lgkmcnt(0)
	v_add_f32_e32 v18, v18, v19
.LBB202_6:
	s_or_b64 exec, exec, s[0:1]
	v_add_u32_e32 v17, -1, v16
	v_and_b32_e32 v20, 64, v16
	v_cmp_lt_i32_e32 vcc, v17, v20
	v_cndmask_b32_e32 v17, v17, v16, vcc
	v_lshlrev_b32_e32 v17, 2, v17
	ds_bpermute_b32 v17, v17, v18
	v_cmp_eq_u32_e32 vcc, 0, v16
	s_mov_b32 s7, 0
	s_waitcnt lgkmcnt(0)
	v_cndmask_b32_e32 v16, v17, v19, vcc
	v_add_f32_e32 v16, v1, v16
	v_cmp_eq_u32_e32 vcc, 0, v0
	v_cndmask_b32_e32 v0, v16, v1, vcc
	v_add_f32_e32 v1, v12, v0
	v_add_f32_e32 v12, v13, v1
	;; [unrolled: 1-line block ×4, first 2 shown]
	global_store_dword v[2:3], v0, off
	global_store_dword v[4:5], v1, off
	;; [unrolled: 1-line block ×5, first 2 shown]
	s_and_saveexec_b64 s[0:1], vcc
	s_cbranch_execz .LBB202_8
; %bb.7:
	v_mov_b32_e32 v0, 0
	ds_read_b32 v1, v0 offset:4
	s_lshl_b64 s[0:1], s[6:7], 2
	s_add_u32 s0, s2, s0
	s_addc_u32 s1, s3, s1
	s_waitcnt lgkmcnt(0)
	global_store_dword v0, v1, s[0:1]
.LBB202_8:
	s_endpgm
	.section	.rodata,"a",@progbits
	.p2align	6, 0x0
	.amdhsa_kernel _Z34inclusive_scan_reduce_array_kernelILj65ELj5ELN6hipcub18BlockScanAlgorithmE0EfEvPT2_S3_
		.amdhsa_group_segment_fixed_size 8
		.amdhsa_private_segment_fixed_size 0
		.amdhsa_kernarg_size 16
		.amdhsa_user_sgpr_count 6
		.amdhsa_user_sgpr_private_segment_buffer 1
		.amdhsa_user_sgpr_dispatch_ptr 0
		.amdhsa_user_sgpr_queue_ptr 0
		.amdhsa_user_sgpr_kernarg_segment_ptr 1
		.amdhsa_user_sgpr_dispatch_id 0
		.amdhsa_user_sgpr_flat_scratch_init 0
		.amdhsa_user_sgpr_kernarg_preload_length 0
		.amdhsa_user_sgpr_kernarg_preload_offset 0
		.amdhsa_user_sgpr_private_segment_size 0
		.amdhsa_uses_dynamic_stack 0
		.amdhsa_system_sgpr_private_segment_wavefront_offset 0
		.amdhsa_system_sgpr_workgroup_id_x 1
		.amdhsa_system_sgpr_workgroup_id_y 0
		.amdhsa_system_sgpr_workgroup_id_z 0
		.amdhsa_system_sgpr_workgroup_info 0
		.amdhsa_system_vgpr_workitem_id 0
		.amdhsa_next_free_vgpr 23
		.amdhsa_next_free_sgpr 8
		.amdhsa_accum_offset 24
		.amdhsa_reserve_vcc 1
		.amdhsa_reserve_flat_scratch 0
		.amdhsa_float_round_mode_32 0
		.amdhsa_float_round_mode_16_64 0
		.amdhsa_float_denorm_mode_32 3
		.amdhsa_float_denorm_mode_16_64 3
		.amdhsa_dx10_clamp 1
		.amdhsa_ieee_mode 1
		.amdhsa_fp16_overflow 0
		.amdhsa_tg_split 0
		.amdhsa_exception_fp_ieee_invalid_op 0
		.amdhsa_exception_fp_denorm_src 0
		.amdhsa_exception_fp_ieee_div_zero 0
		.amdhsa_exception_fp_ieee_overflow 0
		.amdhsa_exception_fp_ieee_underflow 0
		.amdhsa_exception_fp_ieee_inexact 0
		.amdhsa_exception_int_div_zero 0
	.end_amdhsa_kernel
	.section	.text._Z34inclusive_scan_reduce_array_kernelILj65ELj5ELN6hipcub18BlockScanAlgorithmE0EfEvPT2_S3_,"axG",@progbits,_Z34inclusive_scan_reduce_array_kernelILj65ELj5ELN6hipcub18BlockScanAlgorithmE0EfEvPT2_S3_,comdat
.Lfunc_end202:
	.size	_Z34inclusive_scan_reduce_array_kernelILj65ELj5ELN6hipcub18BlockScanAlgorithmE0EfEvPT2_S3_, .Lfunc_end202-_Z34inclusive_scan_reduce_array_kernelILj65ELj5ELN6hipcub18BlockScanAlgorithmE0EfEvPT2_S3_
                                        ; -- End function
	.section	.AMDGPU.csdata,"",@progbits
; Kernel info:
; codeLenInByte = 784
; NumSgprs: 12
; NumVgprs: 23
; NumAgprs: 0
; TotalNumVgprs: 23
; ScratchSize: 0
; MemoryBound: 0
; FloatMode: 240
; IeeeMode: 1
; LDSByteSize: 8 bytes/workgroup (compile time only)
; SGPRBlocks: 1
; VGPRBlocks: 2
; NumSGPRsForWavesPerEU: 12
; NumVGPRsForWavesPerEU: 23
; AccumOffset: 24
; Occupancy: 8
; WaveLimiterHint : 0
; COMPUTE_PGM_RSRC2:SCRATCH_EN: 0
; COMPUTE_PGM_RSRC2:USER_SGPR: 6
; COMPUTE_PGM_RSRC2:TRAP_HANDLER: 0
; COMPUTE_PGM_RSRC2:TGID_X_EN: 1
; COMPUTE_PGM_RSRC2:TGID_Y_EN: 0
; COMPUTE_PGM_RSRC2:TGID_Z_EN: 0
; COMPUTE_PGM_RSRC2:TIDIG_COMP_CNT: 0
; COMPUTE_PGM_RSRC3_GFX90A:ACCUM_OFFSET: 5
; COMPUTE_PGM_RSRC3_GFX90A:TG_SPLIT: 0
	.section	.text._Z34inclusive_scan_reduce_array_kernelILj37ELj2ELN6hipcub18BlockScanAlgorithmE0EfEvPT2_S3_,"axG",@progbits,_Z34inclusive_scan_reduce_array_kernelILj37ELj2ELN6hipcub18BlockScanAlgorithmE0EfEvPT2_S3_,comdat
	.protected	_Z34inclusive_scan_reduce_array_kernelILj37ELj2ELN6hipcub18BlockScanAlgorithmE0EfEvPT2_S3_ ; -- Begin function _Z34inclusive_scan_reduce_array_kernelILj37ELj2ELN6hipcub18BlockScanAlgorithmE0EfEvPT2_S3_
	.globl	_Z34inclusive_scan_reduce_array_kernelILj37ELj2ELN6hipcub18BlockScanAlgorithmE0EfEvPT2_S3_
	.p2align	8
	.type	_Z34inclusive_scan_reduce_array_kernelILj37ELj2ELN6hipcub18BlockScanAlgorithmE0EfEvPT2_S3_,@function
_Z34inclusive_scan_reduce_array_kernelILj37ELj2ELN6hipcub18BlockScanAlgorithmE0EfEvPT2_S3_: ; @_Z34inclusive_scan_reduce_array_kernelILj37ELj2ELN6hipcub18BlockScanAlgorithmE0EfEvPT2_S3_
; %bb.0:
	s_load_dwordx4 s[0:3], s[4:5], 0x0
	s_mul_i32 s4, s6, 37
	v_add_lshl_u32 v6, s4, v0, 1
	v_mov_b32_e32 v7, 0
	v_lshlrev_b64 v[2:3], 2, v[6:7]
	s_waitcnt lgkmcnt(0)
	v_mov_b32_e32 v1, s1
	v_add_co_u32_e32 v2, vcc, s0, v2
	v_addc_co_u32_e32 v3, vcc, v1, v3, vcc
	global_load_dwordx2 v[4:5], v[2:3], off
	v_mbcnt_lo_u32_b32 v1, -1, 0
	v_mbcnt_hi_u32_b32 v1, -1, v1
	v_and_b32_e32 v6, 15, v1
	v_cmp_eq_u32_e32 vcc, 0, v6
	v_and_b32_e32 v8, 16, v1
	s_waitcnt vmcnt(0)
	v_add_f32_e32 v9, v4, v5
	s_nop 1
	v_mov_b32_dpp v10, v9 row_shr:1 row_mask:0xf bank_mask:0xf
	v_add_f32_e32 v10, v9, v10
	v_cndmask_b32_e32 v9, v10, v9, vcc
	v_cmp_lt_u32_e32 vcc, 1, v6
	s_nop 0
	v_mov_b32_dpp v10, v9 row_shr:2 row_mask:0xf bank_mask:0xf
	v_add_f32_e32 v10, v9, v10
	v_cndmask_b32_e32 v9, v9, v10, vcc
	v_cmp_lt_u32_e32 vcc, 3, v6
	;; [unrolled: 5-line block ×3, first 2 shown]
	s_nop 0
	v_mov_b32_dpp v10, v9 row_shr:8 row_mask:0xf bank_mask:0xf
	v_add_f32_e32 v10, v9, v10
	v_cndmask_b32_e32 v6, v9, v10, vcc
	v_cmp_eq_u32_e32 vcc, 0, v8
	s_nop 0
	v_mov_b32_dpp v9, v6 row_bcast:15 row_mask:0xf bank_mask:0xf
	v_add_f32_e32 v9, v6, v9
	v_cndmask_b32_e32 v6, v9, v6, vcc
	v_cmp_lt_u32_e32 vcc, 31, v1
	s_nop 0
	v_mov_b32_dpp v8, v6 row_bcast:31 row_mask:0xf bank_mask:0xf
	v_add_f32_e32 v8, v6, v8
	v_cndmask_b32_e32 v6, v6, v8, vcc
	v_cmp_eq_u32_e32 vcc, 36, v0
	s_and_saveexec_b64 s[0:1], vcc
	s_cbranch_execz .LBB203_2
; %bb.1:
	ds_write_b32 v7, v6
.LBB203_2:
	s_or_b64 exec, exec, s[0:1]
	v_add_u32_e32 v7, -1, v1
	v_and_b32_e32 v8, 64, v1
	v_cmp_lt_i32_e32 vcc, v7, v8
	v_cndmask_b32_e32 v1, v7, v1, vcc
	v_lshlrev_b32_e32 v1, 2, v1
	ds_bpermute_b32 v1, v1, v6
	v_cmp_eq_u32_e32 vcc, 0, v0
	s_waitcnt lgkmcnt(0)
	; wave barrier
	s_waitcnt lgkmcnt(0)
	v_add_f32_e32 v1, v4, v1
	v_cndmask_b32_e32 v0, v1, v4, vcc
	v_add_f32_e32 v1, v5, v0
	global_store_dwordx2 v[2:3], v[0:1], off
	s_and_saveexec_b64 s[0:1], vcc
	s_cbranch_execz .LBB203_4
; %bb.3:
	v_mov_b32_e32 v0, 0
	ds_read_b32 v1, v0
	s_mov_b32 s7, 0
	s_lshl_b64 s[0:1], s[6:7], 2
	s_add_u32 s0, s2, s0
	s_addc_u32 s1, s3, s1
	s_waitcnt lgkmcnt(0)
	global_store_dword v0, v1, s[0:1]
.LBB203_4:
	s_endpgm
	.section	.rodata,"a",@progbits
	.p2align	6, 0x0
	.amdhsa_kernel _Z34inclusive_scan_reduce_array_kernelILj37ELj2ELN6hipcub18BlockScanAlgorithmE0EfEvPT2_S3_
		.amdhsa_group_segment_fixed_size 4
		.amdhsa_private_segment_fixed_size 0
		.amdhsa_kernarg_size 16
		.amdhsa_user_sgpr_count 6
		.amdhsa_user_sgpr_private_segment_buffer 1
		.amdhsa_user_sgpr_dispatch_ptr 0
		.amdhsa_user_sgpr_queue_ptr 0
		.amdhsa_user_sgpr_kernarg_segment_ptr 1
		.amdhsa_user_sgpr_dispatch_id 0
		.amdhsa_user_sgpr_flat_scratch_init 0
		.amdhsa_user_sgpr_kernarg_preload_length 0
		.amdhsa_user_sgpr_kernarg_preload_offset 0
		.amdhsa_user_sgpr_private_segment_size 0
		.amdhsa_uses_dynamic_stack 0
		.amdhsa_system_sgpr_private_segment_wavefront_offset 0
		.amdhsa_system_sgpr_workgroup_id_x 1
		.amdhsa_system_sgpr_workgroup_id_y 0
		.amdhsa_system_sgpr_workgroup_id_z 0
		.amdhsa_system_sgpr_workgroup_info 0
		.amdhsa_system_vgpr_workitem_id 0
		.amdhsa_next_free_vgpr 11
		.amdhsa_next_free_sgpr 8
		.amdhsa_accum_offset 12
		.amdhsa_reserve_vcc 1
		.amdhsa_reserve_flat_scratch 0
		.amdhsa_float_round_mode_32 0
		.amdhsa_float_round_mode_16_64 0
		.amdhsa_float_denorm_mode_32 3
		.amdhsa_float_denorm_mode_16_64 3
		.amdhsa_dx10_clamp 1
		.amdhsa_ieee_mode 1
		.amdhsa_fp16_overflow 0
		.amdhsa_tg_split 0
		.amdhsa_exception_fp_ieee_invalid_op 0
		.amdhsa_exception_fp_denorm_src 0
		.amdhsa_exception_fp_ieee_div_zero 0
		.amdhsa_exception_fp_ieee_overflow 0
		.amdhsa_exception_fp_ieee_underflow 0
		.amdhsa_exception_fp_ieee_inexact 0
		.amdhsa_exception_int_div_zero 0
	.end_amdhsa_kernel
	.section	.text._Z34inclusive_scan_reduce_array_kernelILj37ELj2ELN6hipcub18BlockScanAlgorithmE0EfEvPT2_S3_,"axG",@progbits,_Z34inclusive_scan_reduce_array_kernelILj37ELj2ELN6hipcub18BlockScanAlgorithmE0EfEvPT2_S3_,comdat
.Lfunc_end203:
	.size	_Z34inclusive_scan_reduce_array_kernelILj37ELj2ELN6hipcub18BlockScanAlgorithmE0EfEvPT2_S3_, .Lfunc_end203-_Z34inclusive_scan_reduce_array_kernelILj37ELj2ELN6hipcub18BlockScanAlgorithmE0EfEvPT2_S3_
                                        ; -- End function
	.section	.AMDGPU.csdata,"",@progbits
; Kernel info:
; codeLenInByte = 368
; NumSgprs: 12
; NumVgprs: 11
; NumAgprs: 0
; TotalNumVgprs: 11
; ScratchSize: 0
; MemoryBound: 0
; FloatMode: 240
; IeeeMode: 1
; LDSByteSize: 4 bytes/workgroup (compile time only)
; SGPRBlocks: 1
; VGPRBlocks: 1
; NumSGPRsForWavesPerEU: 12
; NumVGPRsForWavesPerEU: 11
; AccumOffset: 12
; Occupancy: 8
; WaveLimiterHint : 0
; COMPUTE_PGM_RSRC2:SCRATCH_EN: 0
; COMPUTE_PGM_RSRC2:USER_SGPR: 6
; COMPUTE_PGM_RSRC2:TRAP_HANDLER: 0
; COMPUTE_PGM_RSRC2:TGID_X_EN: 1
; COMPUTE_PGM_RSRC2:TGID_Y_EN: 0
; COMPUTE_PGM_RSRC2:TGID_Z_EN: 0
; COMPUTE_PGM_RSRC2:TIDIG_COMP_CNT: 0
; COMPUTE_PGM_RSRC3_GFX90A:ACCUM_OFFSET: 2
; COMPUTE_PGM_RSRC3_GFX90A:TG_SPLIT: 0
	.section	.text._Z34inclusive_scan_reduce_array_kernelILj512ELj4ELN6hipcub18BlockScanAlgorithmE0EiEvPT2_S3_,"axG",@progbits,_Z34inclusive_scan_reduce_array_kernelILj512ELj4ELN6hipcub18BlockScanAlgorithmE0EiEvPT2_S3_,comdat
	.protected	_Z34inclusive_scan_reduce_array_kernelILj512ELj4ELN6hipcub18BlockScanAlgorithmE0EiEvPT2_S3_ ; -- Begin function _Z34inclusive_scan_reduce_array_kernelILj512ELj4ELN6hipcub18BlockScanAlgorithmE0EiEvPT2_S3_
	.globl	_Z34inclusive_scan_reduce_array_kernelILj512ELj4ELN6hipcub18BlockScanAlgorithmE0EiEvPT2_S3_
	.p2align	8
	.type	_Z34inclusive_scan_reduce_array_kernelILj512ELj4ELN6hipcub18BlockScanAlgorithmE0EiEvPT2_S3_,@function
_Z34inclusive_scan_reduce_array_kernelILj512ELj4ELN6hipcub18BlockScanAlgorithmE0EiEvPT2_S3_: ; @_Z34inclusive_scan_reduce_array_kernelILj512ELj4ELN6hipcub18BlockScanAlgorithmE0EiEvPT2_S3_
; %bb.0:
	s_load_dwordx4 s[0:3], s[4:5], 0x0
	v_lshlrev_b32_e32 v8, 2, v0
	v_lshl_or_b32 v2, s6, 11, v8
	v_mov_b32_e32 v3, 0
	v_lshlrev_b64 v[2:3], 2, v[2:3]
	s_waitcnt lgkmcnt(0)
	v_mov_b32_e32 v1, s1
	v_add_co_u32_e32 v6, vcc, s0, v2
	v_addc_co_u32_e32 v7, vcc, v1, v3, vcc
	global_load_dwordx4 v[2:5], v[6:7], off
	v_mbcnt_lo_u32_b32 v1, -1, 0
	v_mbcnt_hi_u32_b32 v1, -1, v1
	v_and_b32_e32 v10, 15, v1
	v_cmp_ne_u32_e32 vcc, 0, v10
	v_bfe_i32 v12, v1, 4, 1
	v_or_b32_e32 v11, 63, v0
	v_lshrrev_b32_e32 v9, 6, v0
	s_waitcnt vmcnt(0)
	v_add_u32_e32 v13, v3, v2
	v_add3_u32 v13, v13, v4, v5
	s_nop 1
	v_mov_b32_dpp v14, v13 row_shr:1 row_mask:0xf bank_mask:0xf
	v_cndmask_b32_e32 v14, 0, v14, vcc
	v_add_u32_e32 v13, v14, v13
	v_cmp_lt_u32_e32 vcc, 1, v10
	s_nop 0
	v_mov_b32_dpp v14, v13 row_shr:2 row_mask:0xf bank_mask:0xf
	v_cndmask_b32_e32 v14, 0, v14, vcc
	v_add_u32_e32 v13, v13, v14
	v_cmp_lt_u32_e32 vcc, 3, v10
	s_nop 0
	v_mov_b32_dpp v14, v13 row_shr:4 row_mask:0xf bank_mask:0xf
	v_cndmask_b32_e32 v14, 0, v14, vcc
	v_add_u32_e32 v13, v13, v14
	v_cmp_lt_u32_e32 vcc, 7, v10
	s_nop 0
	v_mov_b32_dpp v14, v13 row_shr:8 row_mask:0xf bank_mask:0xf
	v_cndmask_b32_e32 v10, 0, v14, vcc
	v_add_u32_e32 v10, v13, v10
	v_cmp_lt_u32_e32 vcc, 31, v1
	s_nop 0
	v_mov_b32_dpp v13, v10 row_bcast:15 row_mask:0xf bank_mask:0xf
	v_and_b32_e32 v12, v12, v13
	v_add_u32_e32 v10, v10, v12
	s_nop 1
	v_mov_b32_dpp v12, v10 row_bcast:31 row_mask:0xf bank_mask:0xf
	v_cndmask_b32_e32 v12, 0, v12, vcc
	v_add_u32_e32 v10, v10, v12
	v_cmp_eq_u32_e32 vcc, v11, v0
	s_and_saveexec_b64 s[0:1], vcc
	s_cbranch_execz .LBB204_2
; %bb.1:
	v_lshlrev_b32_e32 v11, 2, v9
	ds_write_b32 v11, v10
.LBB204_2:
	s_or_b64 exec, exec, s[0:1]
	v_cmp_gt_u32_e32 vcc, 8, v0
	s_waitcnt lgkmcnt(0)
	s_barrier
	s_and_saveexec_b64 s[0:1], vcc
	s_cbranch_execz .LBB204_4
; %bb.3:
	ds_read_b32 v11, v8
	v_and_b32_e32 v12, 7, v1
	v_cmp_ne_u32_e32 vcc, 0, v12
	s_waitcnt lgkmcnt(0)
	v_mov_b32_dpp v13, v11 row_shr:1 row_mask:0xf bank_mask:0xf
	v_cndmask_b32_e32 v13, 0, v13, vcc
	v_add_u32_e32 v11, v13, v11
	v_cmp_lt_u32_e32 vcc, 1, v12
	s_nop 0
	v_mov_b32_dpp v13, v11 row_shr:2 row_mask:0xf bank_mask:0xf
	v_cndmask_b32_e32 v13, 0, v13, vcc
	v_add_u32_e32 v11, v11, v13
	v_cmp_lt_u32_e32 vcc, 3, v12
	s_nop 0
	v_mov_b32_dpp v13, v11 row_shr:4 row_mask:0xf bank_mask:0xf
	v_cndmask_b32_e32 v12, 0, v13, vcc
	v_add_u32_e32 v11, v11, v12
	ds_write_b32 v8, v11
.LBB204_4:
	s_or_b64 exec, exec, s[0:1]
	v_cmp_lt_u32_e32 vcc, 63, v0
	s_waitcnt lgkmcnt(0)
	s_barrier
	s_waitcnt lgkmcnt(0)
                                        ; implicit-def: $vgpr8
	s_and_saveexec_b64 s[0:1], vcc
	s_cbranch_execz .LBB204_6
; %bb.5:
	v_lshl_add_u32 v8, v9, 2, -4
	ds_read_b32 v8, v8
	s_waitcnt lgkmcnt(0)
	v_add_u32_e32 v10, v8, v10
.LBB204_6:
	s_or_b64 exec, exec, s[0:1]
	v_add_u32_e32 v9, -1, v1
	v_and_b32_e32 v11, 64, v1
	v_cmp_lt_i32_e32 vcc, v9, v11
	v_cndmask_b32_e32 v9, v9, v1, vcc
	v_lshlrev_b32_e32 v9, 2, v9
	ds_bpermute_b32 v9, v9, v10
	v_cmp_eq_u32_e32 vcc, 0, v1
	s_mov_b32 s7, 0
	s_waitcnt lgkmcnt(0)
	v_cndmask_b32_e32 v1, v9, v8, vcc
	v_cmp_eq_u32_e32 vcc, 0, v0
	v_cndmask_b32_e64 v0, v1, 0, vcc
	v_add_u32_e32 v0, v0, v2
	v_add_u32_e32 v1, v0, v3
	v_add_u32_e32 v2, v1, v4
	v_add_u32_e32 v3, v2, v5
	global_store_dwordx4 v[6:7], v[0:3], off
	s_and_saveexec_b64 s[0:1], vcc
	s_cbranch_execz .LBB204_8
; %bb.7:
	v_mov_b32_e32 v0, 0
	ds_read_b32 v1, v0 offset:28
	s_lshl_b64 s[0:1], s[6:7], 2
	s_add_u32 s0, s2, s0
	s_addc_u32 s1, s3, s1
	s_waitcnt lgkmcnt(0)
	global_store_dword v0, v1, s[0:1]
.LBB204_8:
	s_endpgm
	.section	.rodata,"a",@progbits
	.p2align	6, 0x0
	.amdhsa_kernel _Z34inclusive_scan_reduce_array_kernelILj512ELj4ELN6hipcub18BlockScanAlgorithmE0EiEvPT2_S3_
		.amdhsa_group_segment_fixed_size 32
		.amdhsa_private_segment_fixed_size 0
		.amdhsa_kernarg_size 16
		.amdhsa_user_sgpr_count 6
		.amdhsa_user_sgpr_private_segment_buffer 1
		.amdhsa_user_sgpr_dispatch_ptr 0
		.amdhsa_user_sgpr_queue_ptr 0
		.amdhsa_user_sgpr_kernarg_segment_ptr 1
		.amdhsa_user_sgpr_dispatch_id 0
		.amdhsa_user_sgpr_flat_scratch_init 0
		.amdhsa_user_sgpr_kernarg_preload_length 0
		.amdhsa_user_sgpr_kernarg_preload_offset 0
		.amdhsa_user_sgpr_private_segment_size 0
		.amdhsa_uses_dynamic_stack 0
		.amdhsa_system_sgpr_private_segment_wavefront_offset 0
		.amdhsa_system_sgpr_workgroup_id_x 1
		.amdhsa_system_sgpr_workgroup_id_y 0
		.amdhsa_system_sgpr_workgroup_id_z 0
		.amdhsa_system_sgpr_workgroup_info 0
		.amdhsa_system_vgpr_workitem_id 0
		.amdhsa_next_free_vgpr 15
		.amdhsa_next_free_sgpr 8
		.amdhsa_accum_offset 16
		.amdhsa_reserve_vcc 1
		.amdhsa_reserve_flat_scratch 0
		.amdhsa_float_round_mode_32 0
		.amdhsa_float_round_mode_16_64 0
		.amdhsa_float_denorm_mode_32 3
		.amdhsa_float_denorm_mode_16_64 3
		.amdhsa_dx10_clamp 1
		.amdhsa_ieee_mode 1
		.amdhsa_fp16_overflow 0
		.amdhsa_tg_split 0
		.amdhsa_exception_fp_ieee_invalid_op 0
		.amdhsa_exception_fp_denorm_src 0
		.amdhsa_exception_fp_ieee_div_zero 0
		.amdhsa_exception_fp_ieee_overflow 0
		.amdhsa_exception_fp_ieee_underflow 0
		.amdhsa_exception_fp_ieee_inexact 0
		.amdhsa_exception_int_div_zero 0
	.end_amdhsa_kernel
	.section	.text._Z34inclusive_scan_reduce_array_kernelILj512ELj4ELN6hipcub18BlockScanAlgorithmE0EiEvPT2_S3_,"axG",@progbits,_Z34inclusive_scan_reduce_array_kernelILj512ELj4ELN6hipcub18BlockScanAlgorithmE0EiEvPT2_S3_,comdat
.Lfunc_end204:
	.size	_Z34inclusive_scan_reduce_array_kernelILj512ELj4ELN6hipcub18BlockScanAlgorithmE0EiEvPT2_S3_, .Lfunc_end204-_Z34inclusive_scan_reduce_array_kernelILj512ELj4ELN6hipcub18BlockScanAlgorithmE0EiEvPT2_S3_
                                        ; -- End function
	.section	.AMDGPU.csdata,"",@progbits
; Kernel info:
; codeLenInByte = 572
; NumSgprs: 12
; NumVgprs: 15
; NumAgprs: 0
; TotalNumVgprs: 15
; ScratchSize: 0
; MemoryBound: 0
; FloatMode: 240
; IeeeMode: 1
; LDSByteSize: 32 bytes/workgroup (compile time only)
; SGPRBlocks: 1
; VGPRBlocks: 1
; NumSGPRsForWavesPerEU: 12
; NumVGPRsForWavesPerEU: 15
; AccumOffset: 16
; Occupancy: 8
; WaveLimiterHint : 0
; COMPUTE_PGM_RSRC2:SCRATCH_EN: 0
; COMPUTE_PGM_RSRC2:USER_SGPR: 6
; COMPUTE_PGM_RSRC2:TRAP_HANDLER: 0
; COMPUTE_PGM_RSRC2:TGID_X_EN: 1
; COMPUTE_PGM_RSRC2:TGID_Y_EN: 0
; COMPUTE_PGM_RSRC2:TGID_Z_EN: 0
; COMPUTE_PGM_RSRC2:TIDIG_COMP_CNT: 0
; COMPUTE_PGM_RSRC3_GFX90A:ACCUM_OFFSET: 3
; COMPUTE_PGM_RSRC3_GFX90A:TG_SPLIT: 0
	.section	.text._Z34inclusive_scan_reduce_array_kernelILj256ELj3ELN6hipcub18BlockScanAlgorithmE0EjEvPT2_S3_,"axG",@progbits,_Z34inclusive_scan_reduce_array_kernelILj256ELj3ELN6hipcub18BlockScanAlgorithmE0EjEvPT2_S3_,comdat
	.protected	_Z34inclusive_scan_reduce_array_kernelILj256ELj3ELN6hipcub18BlockScanAlgorithmE0EjEvPT2_S3_ ; -- Begin function _Z34inclusive_scan_reduce_array_kernelILj256ELj3ELN6hipcub18BlockScanAlgorithmE0EjEvPT2_S3_
	.globl	_Z34inclusive_scan_reduce_array_kernelILj256ELj3ELN6hipcub18BlockScanAlgorithmE0EjEvPT2_S3_
	.p2align	8
	.type	_Z34inclusive_scan_reduce_array_kernelILj256ELj3ELN6hipcub18BlockScanAlgorithmE0EjEvPT2_S3_,@function
_Z34inclusive_scan_reduce_array_kernelILj256ELj3ELN6hipcub18BlockScanAlgorithmE0EjEvPT2_S3_: ; @_Z34inclusive_scan_reduce_array_kernelILj256ELj3ELN6hipcub18BlockScanAlgorithmE0EjEvPT2_S3_
; %bb.0:
	s_load_dwordx4 s[0:3], s[4:5], 0x0
	v_lshl_or_b32 v1, s6, 8, v0
	v_lshl_add_u32 v6, v1, 1, v1
	v_mov_b32_e32 v7, 0
	v_lshlrev_b64 v[2:3], 2, v[6:7]
	s_waitcnt lgkmcnt(0)
	v_mov_b32_e32 v1, s1
	v_add_co_u32_e32 v2, vcc, s0, v2
	v_add_u32_e32 v4, 1, v6
	v_mov_b32_e32 v5, v7
	v_addc_co_u32_e32 v3, vcc, v1, v3, vcc
	v_lshlrev_b64 v[4:5], 2, v[4:5]
	v_add_co_u32_e32 v4, vcc, s0, v4
	v_add_u32_e32 v6, 2, v6
	v_addc_co_u32_e32 v5, vcc, v1, v5, vcc
	v_lshlrev_b64 v[6:7], 2, v[6:7]
	v_add_co_u32_e32 v6, vcc, s0, v6
	v_addc_co_u32_e32 v7, vcc, v1, v7, vcc
	global_load_dword v1, v[2:3], off
	global_load_dword v8, v[4:5], off
	;; [unrolled: 1-line block ×3, first 2 shown]
	v_mbcnt_lo_u32_b32 v10, -1, 0
	v_mbcnt_hi_u32_b32 v10, -1, v10
	v_and_b32_e32 v12, 15, v10
	v_cmp_ne_u32_e32 vcc, 0, v12
	v_bfe_i32 v14, v10, 4, 1
	v_or_b32_e32 v13, 63, v0
	v_lshrrev_b32_e32 v11, 6, v0
	s_waitcnt vmcnt(0)
	v_add3_u32 v15, v8, v1, v9
	s_nop 1
	v_mov_b32_dpp v16, v15 row_shr:1 row_mask:0xf bank_mask:0xf
	v_cndmask_b32_e32 v16, 0, v16, vcc
	v_add_u32_e32 v15, v16, v15
	v_cmp_lt_u32_e32 vcc, 1, v12
	s_nop 0
	v_mov_b32_dpp v16, v15 row_shr:2 row_mask:0xf bank_mask:0xf
	v_cndmask_b32_e32 v16, 0, v16, vcc
	v_add_u32_e32 v15, v15, v16
	v_cmp_lt_u32_e32 vcc, 3, v12
	;; [unrolled: 5-line block ×4, first 2 shown]
	s_nop 0
	v_mov_b32_dpp v15, v12 row_bcast:15 row_mask:0xf bank_mask:0xf
	v_and_b32_e32 v14, v14, v15
	v_add_u32_e32 v12, v12, v14
	s_nop 1
	v_mov_b32_dpp v14, v12 row_bcast:31 row_mask:0xf bank_mask:0xf
	v_cndmask_b32_e32 v14, 0, v14, vcc
	v_add_u32_e32 v12, v12, v14
	v_cmp_eq_u32_e32 vcc, v13, v0
	s_and_saveexec_b64 s[0:1], vcc
	s_cbranch_execz .LBB205_2
; %bb.1:
	v_lshlrev_b32_e32 v13, 2, v11
	ds_write_b32 v13, v12
.LBB205_2:
	s_or_b64 exec, exec, s[0:1]
	v_cmp_gt_u32_e32 vcc, 4, v0
	s_waitcnt lgkmcnt(0)
	s_barrier
	s_and_saveexec_b64 s[0:1], vcc
	s_cbranch_execz .LBB205_4
; %bb.3:
	v_lshlrev_b32_e32 v13, 2, v0
	ds_read_b32 v14, v13
	v_and_b32_e32 v15, 3, v10
	v_cmp_ne_u32_e32 vcc, 0, v15
	s_waitcnt lgkmcnt(0)
	v_mov_b32_dpp v16, v14 row_shr:1 row_mask:0xf bank_mask:0xf
	v_cndmask_b32_e32 v16, 0, v16, vcc
	v_add_u32_e32 v14, v16, v14
	v_cmp_lt_u32_e32 vcc, 1, v15
	s_nop 0
	v_mov_b32_dpp v16, v14 row_shr:2 row_mask:0xf bank_mask:0xf
	v_cndmask_b32_e32 v15, 0, v16, vcc
	v_add_u32_e32 v14, v14, v15
	ds_write_b32 v13, v14
.LBB205_4:
	s_or_b64 exec, exec, s[0:1]
	v_cmp_lt_u32_e32 vcc, 63, v0
	s_waitcnt lgkmcnt(0)
	s_barrier
	s_waitcnt lgkmcnt(0)
                                        ; implicit-def: $vgpr13
	s_and_saveexec_b64 s[0:1], vcc
	s_cbranch_execz .LBB205_6
; %bb.5:
	v_lshl_add_u32 v11, v11, 2, -4
	ds_read_b32 v13, v11
	s_waitcnt lgkmcnt(0)
	v_add_u32_e32 v12, v13, v12
.LBB205_6:
	s_or_b64 exec, exec, s[0:1]
	v_add_u32_e32 v11, -1, v10
	v_and_b32_e32 v14, 64, v10
	v_cmp_lt_i32_e32 vcc, v11, v14
	v_cndmask_b32_e32 v11, v11, v10, vcc
	v_lshlrev_b32_e32 v11, 2, v11
	ds_bpermute_b32 v11, v11, v12
	v_cmp_eq_u32_e32 vcc, 0, v10
	s_mov_b32 s7, 0
	s_waitcnt lgkmcnt(0)
	v_cndmask_b32_e32 v10, v11, v13, vcc
	v_cmp_eq_u32_e32 vcc, 0, v0
	v_cndmask_b32_e64 v0, v10, 0, vcc
	v_add_u32_e32 v0, v0, v1
	v_add_u32_e32 v1, v0, v8
	;; [unrolled: 1-line block ×3, first 2 shown]
	global_store_dword v[2:3], v0, off
	global_store_dword v[4:5], v1, off
	;; [unrolled: 1-line block ×3, first 2 shown]
	s_and_saveexec_b64 s[0:1], vcc
	s_cbranch_execz .LBB205_8
; %bb.7:
	v_mov_b32_e32 v0, 0
	ds_read_b32 v1, v0 offset:12
	s_lshl_b64 s[0:1], s[6:7], 2
	s_add_u32 s0, s2, s0
	s_addc_u32 s1, s3, s1
	s_waitcnt lgkmcnt(0)
	global_store_dword v0, v1, s[0:1]
.LBB205_8:
	s_endpgm
	.section	.rodata,"a",@progbits
	.p2align	6, 0x0
	.amdhsa_kernel _Z34inclusive_scan_reduce_array_kernelILj256ELj3ELN6hipcub18BlockScanAlgorithmE0EjEvPT2_S3_
		.amdhsa_group_segment_fixed_size 16
		.amdhsa_private_segment_fixed_size 0
		.amdhsa_kernarg_size 16
		.amdhsa_user_sgpr_count 6
		.amdhsa_user_sgpr_private_segment_buffer 1
		.amdhsa_user_sgpr_dispatch_ptr 0
		.amdhsa_user_sgpr_queue_ptr 0
		.amdhsa_user_sgpr_kernarg_segment_ptr 1
		.amdhsa_user_sgpr_dispatch_id 0
		.amdhsa_user_sgpr_flat_scratch_init 0
		.amdhsa_user_sgpr_kernarg_preload_length 0
		.amdhsa_user_sgpr_kernarg_preload_offset 0
		.amdhsa_user_sgpr_private_segment_size 0
		.amdhsa_uses_dynamic_stack 0
		.amdhsa_system_sgpr_private_segment_wavefront_offset 0
		.amdhsa_system_sgpr_workgroup_id_x 1
		.amdhsa_system_sgpr_workgroup_id_y 0
		.amdhsa_system_sgpr_workgroup_id_z 0
		.amdhsa_system_sgpr_workgroup_info 0
		.amdhsa_system_vgpr_workitem_id 0
		.amdhsa_next_free_vgpr 17
		.amdhsa_next_free_sgpr 8
		.amdhsa_accum_offset 20
		.amdhsa_reserve_vcc 1
		.amdhsa_reserve_flat_scratch 0
		.amdhsa_float_round_mode_32 0
		.amdhsa_float_round_mode_16_64 0
		.amdhsa_float_denorm_mode_32 3
		.amdhsa_float_denorm_mode_16_64 3
		.amdhsa_dx10_clamp 1
		.amdhsa_ieee_mode 1
		.amdhsa_fp16_overflow 0
		.amdhsa_tg_split 0
		.amdhsa_exception_fp_ieee_invalid_op 0
		.amdhsa_exception_fp_denorm_src 0
		.amdhsa_exception_fp_ieee_div_zero 0
		.amdhsa_exception_fp_ieee_overflow 0
		.amdhsa_exception_fp_ieee_underflow 0
		.amdhsa_exception_fp_ieee_inexact 0
		.amdhsa_exception_int_div_zero 0
	.end_amdhsa_kernel
	.section	.text._Z34inclusive_scan_reduce_array_kernelILj256ELj3ELN6hipcub18BlockScanAlgorithmE0EjEvPT2_S3_,"axG",@progbits,_Z34inclusive_scan_reduce_array_kernelILj256ELj3ELN6hipcub18BlockScanAlgorithmE0EjEvPT2_S3_,comdat
.Lfunc_end205:
	.size	_Z34inclusive_scan_reduce_array_kernelILj256ELj3ELN6hipcub18BlockScanAlgorithmE0EjEvPT2_S3_, .Lfunc_end205-_Z34inclusive_scan_reduce_array_kernelILj256ELj3ELN6hipcub18BlockScanAlgorithmE0EjEvPT2_S3_
                                        ; -- End function
	.section	.AMDGPU.csdata,"",@progbits
; Kernel info:
; codeLenInByte = 624
; NumSgprs: 12
; NumVgprs: 17
; NumAgprs: 0
; TotalNumVgprs: 17
; ScratchSize: 0
; MemoryBound: 0
; FloatMode: 240
; IeeeMode: 1
; LDSByteSize: 16 bytes/workgroup (compile time only)
; SGPRBlocks: 1
; VGPRBlocks: 2
; NumSGPRsForWavesPerEU: 12
; NumVGPRsForWavesPerEU: 17
; AccumOffset: 20
; Occupancy: 8
; WaveLimiterHint : 0
; COMPUTE_PGM_RSRC2:SCRATCH_EN: 0
; COMPUTE_PGM_RSRC2:USER_SGPR: 6
; COMPUTE_PGM_RSRC2:TRAP_HANDLER: 0
; COMPUTE_PGM_RSRC2:TGID_X_EN: 1
; COMPUTE_PGM_RSRC2:TGID_Y_EN: 0
; COMPUTE_PGM_RSRC2:TGID_Z_EN: 0
; COMPUTE_PGM_RSRC2:TIDIG_COMP_CNT: 0
; COMPUTE_PGM_RSRC3_GFX90A:ACCUM_OFFSET: 4
; COMPUTE_PGM_RSRC3_GFX90A:TG_SPLIT: 0
	.section	.text._Z34inclusive_scan_reduce_array_kernelILj32ELj2ELN6hipcub18BlockScanAlgorithmE0EfEvPT2_S3_,"axG",@progbits,_Z34inclusive_scan_reduce_array_kernelILj32ELj2ELN6hipcub18BlockScanAlgorithmE0EfEvPT2_S3_,comdat
	.protected	_Z34inclusive_scan_reduce_array_kernelILj32ELj2ELN6hipcub18BlockScanAlgorithmE0EfEvPT2_S3_ ; -- Begin function _Z34inclusive_scan_reduce_array_kernelILj32ELj2ELN6hipcub18BlockScanAlgorithmE0EfEvPT2_S3_
	.globl	_Z34inclusive_scan_reduce_array_kernelILj32ELj2ELN6hipcub18BlockScanAlgorithmE0EfEvPT2_S3_
	.p2align	8
	.type	_Z34inclusive_scan_reduce_array_kernelILj32ELj2ELN6hipcub18BlockScanAlgorithmE0EfEvPT2_S3_,@function
_Z34inclusive_scan_reduce_array_kernelILj32ELj2ELN6hipcub18BlockScanAlgorithmE0EfEvPT2_S3_: ; @_Z34inclusive_scan_reduce_array_kernelILj32ELj2ELN6hipcub18BlockScanAlgorithmE0EfEvPT2_S3_
; %bb.0:
	s_load_dwordx4 s[0:3], s[4:5], 0x0
	v_lshlrev_b32_e32 v1, 1, v0
	v_lshl_or_b32 v6, s6, 6, v1
	v_mov_b32_e32 v7, 0
	v_lshlrev_b64 v[2:3], 2, v[6:7]
	s_waitcnt lgkmcnt(0)
	v_mov_b32_e32 v1, s1
	v_add_co_u32_e32 v2, vcc, s0, v2
	v_addc_co_u32_e32 v3, vcc, v1, v3, vcc
	global_load_dwordx2 v[4:5], v[2:3], off
	v_mbcnt_lo_u32_b32 v1, -1, 0
	v_mbcnt_hi_u32_b32 v1, -1, v1
	v_and_b32_e32 v6, 15, v1
	v_cmp_eq_u32_e32 vcc, 0, v6
	v_and_b32_e32 v8, 16, v1
	s_waitcnt vmcnt(0)
	v_add_f32_e32 v9, v4, v5
	s_nop 1
	v_mov_b32_dpp v10, v9 row_shr:1 row_mask:0xf bank_mask:0xf
	v_add_f32_e32 v10, v9, v10
	v_cndmask_b32_e32 v9, v10, v9, vcc
	v_cmp_lt_u32_e32 vcc, 1, v6
	s_nop 0
	v_mov_b32_dpp v10, v9 row_shr:2 row_mask:0xf bank_mask:0xf
	v_add_f32_e32 v10, v9, v10
	v_cndmask_b32_e32 v9, v9, v10, vcc
	v_cmp_lt_u32_e32 vcc, 3, v6
	s_nop 0
	v_mov_b32_dpp v10, v9 row_shr:4 row_mask:0xf bank_mask:0xf
	v_add_f32_e32 v10, v9, v10
	v_cndmask_b32_e32 v9, v9, v10, vcc
	v_cmp_lt_u32_e32 vcc, 7, v6
	s_nop 0
	v_mov_b32_dpp v10, v9 row_shr:8 row_mask:0xf bank_mask:0xf
	v_add_f32_e32 v10, v9, v10
	v_cndmask_b32_e32 v6, v9, v10, vcc
	v_cmp_eq_u32_e32 vcc, 0, v8
	s_nop 0
	v_mov_b32_dpp v9, v6 row_bcast:15 row_mask:0xf bank_mask:0xf
	v_add_f32_e32 v9, v6, v9
	v_cndmask_b32_e32 v6, v9, v6, vcc
	v_cmp_eq_u32_e32 vcc, 31, v0
	s_and_saveexec_b64 s[0:1], vcc
	s_cbranch_execz .LBB206_2
; %bb.1:
	ds_write_b32 v7, v6
.LBB206_2:
	s_or_b64 exec, exec, s[0:1]
	v_add_u32_e32 v7, -1, v1
	v_and_b32_e32 v8, 0x60, v1
	v_cmp_lt_i32_e32 vcc, v7, v8
	v_cndmask_b32_e32 v1, v7, v1, vcc
	v_lshlrev_b32_e32 v1, 2, v1
	ds_bpermute_b32 v1, v1, v6
	v_cmp_eq_u32_e32 vcc, 0, v0
	s_waitcnt lgkmcnt(0)
	; wave barrier
	s_waitcnt lgkmcnt(0)
	v_add_f32_e32 v1, v4, v1
	v_cndmask_b32_e32 v0, v1, v4, vcc
	v_add_f32_e32 v1, v5, v0
	global_store_dwordx2 v[2:3], v[0:1], off
	s_and_saveexec_b64 s[0:1], vcc
	s_cbranch_execz .LBB206_4
; %bb.3:
	v_mov_b32_e32 v0, 0
	ds_read_b32 v1, v0
	s_mov_b32 s7, 0
	s_lshl_b64 s[0:1], s[6:7], 2
	s_add_u32 s0, s2, s0
	s_addc_u32 s1, s3, s1
	s_waitcnt lgkmcnt(0)
	global_store_dword v0, v1, s[0:1]
.LBB206_4:
	s_endpgm
	.section	.rodata,"a",@progbits
	.p2align	6, 0x0
	.amdhsa_kernel _Z34inclusive_scan_reduce_array_kernelILj32ELj2ELN6hipcub18BlockScanAlgorithmE0EfEvPT2_S3_
		.amdhsa_group_segment_fixed_size 4
		.amdhsa_private_segment_fixed_size 0
		.amdhsa_kernarg_size 16
		.amdhsa_user_sgpr_count 6
		.amdhsa_user_sgpr_private_segment_buffer 1
		.amdhsa_user_sgpr_dispatch_ptr 0
		.amdhsa_user_sgpr_queue_ptr 0
		.amdhsa_user_sgpr_kernarg_segment_ptr 1
		.amdhsa_user_sgpr_dispatch_id 0
		.amdhsa_user_sgpr_flat_scratch_init 0
		.amdhsa_user_sgpr_kernarg_preload_length 0
		.amdhsa_user_sgpr_kernarg_preload_offset 0
		.amdhsa_user_sgpr_private_segment_size 0
		.amdhsa_uses_dynamic_stack 0
		.amdhsa_system_sgpr_private_segment_wavefront_offset 0
		.amdhsa_system_sgpr_workgroup_id_x 1
		.amdhsa_system_sgpr_workgroup_id_y 0
		.amdhsa_system_sgpr_workgroup_id_z 0
		.amdhsa_system_sgpr_workgroup_info 0
		.amdhsa_system_vgpr_workitem_id 0
		.amdhsa_next_free_vgpr 11
		.amdhsa_next_free_sgpr 8
		.amdhsa_accum_offset 12
		.amdhsa_reserve_vcc 1
		.amdhsa_reserve_flat_scratch 0
		.amdhsa_float_round_mode_32 0
		.amdhsa_float_round_mode_16_64 0
		.amdhsa_float_denorm_mode_32 3
		.amdhsa_float_denorm_mode_16_64 3
		.amdhsa_dx10_clamp 1
		.amdhsa_ieee_mode 1
		.amdhsa_fp16_overflow 0
		.amdhsa_tg_split 0
		.amdhsa_exception_fp_ieee_invalid_op 0
		.amdhsa_exception_fp_denorm_src 0
		.amdhsa_exception_fp_ieee_div_zero 0
		.amdhsa_exception_fp_ieee_overflow 0
		.amdhsa_exception_fp_ieee_underflow 0
		.amdhsa_exception_fp_ieee_inexact 0
		.amdhsa_exception_int_div_zero 0
	.end_amdhsa_kernel
	.section	.text._Z34inclusive_scan_reduce_array_kernelILj32ELj2ELN6hipcub18BlockScanAlgorithmE0EfEvPT2_S3_,"axG",@progbits,_Z34inclusive_scan_reduce_array_kernelILj32ELj2ELN6hipcub18BlockScanAlgorithmE0EfEvPT2_S3_,comdat
.Lfunc_end206:
	.size	_Z34inclusive_scan_reduce_array_kernelILj32ELj2ELN6hipcub18BlockScanAlgorithmE0EfEvPT2_S3_, .Lfunc_end206-_Z34inclusive_scan_reduce_array_kernelILj32ELj2ELN6hipcub18BlockScanAlgorithmE0EfEvPT2_S3_
                                        ; -- End function
	.section	.AMDGPU.csdata,"",@progbits
; Kernel info:
; codeLenInByte = 348
; NumSgprs: 12
; NumVgprs: 11
; NumAgprs: 0
; TotalNumVgprs: 11
; ScratchSize: 0
; MemoryBound: 0
; FloatMode: 240
; IeeeMode: 1
; LDSByteSize: 4 bytes/workgroup (compile time only)
; SGPRBlocks: 1
; VGPRBlocks: 1
; NumSGPRsForWavesPerEU: 12
; NumVGPRsForWavesPerEU: 11
; AccumOffset: 12
; Occupancy: 8
; WaveLimiterHint : 0
; COMPUTE_PGM_RSRC2:SCRATCH_EN: 0
; COMPUTE_PGM_RSRC2:USER_SGPR: 6
; COMPUTE_PGM_RSRC2:TRAP_HANDLER: 0
; COMPUTE_PGM_RSRC2:TGID_X_EN: 1
; COMPUTE_PGM_RSRC2:TGID_Y_EN: 0
; COMPUTE_PGM_RSRC2:TGID_Z_EN: 0
; COMPUTE_PGM_RSRC2:TIDIG_COMP_CNT: 0
; COMPUTE_PGM_RSRC3_GFX90A:ACCUM_OFFSET: 2
; COMPUTE_PGM_RSRC3_GFX90A:TG_SPLIT: 0
	.section	.text._Z34inclusive_scan_reduce_array_kernelILj6ELj32ELN6hipcub18BlockScanAlgorithmE0EfEvPT2_S3_,"axG",@progbits,_Z34inclusive_scan_reduce_array_kernelILj6ELj32ELN6hipcub18BlockScanAlgorithmE0EfEvPT2_S3_,comdat
	.protected	_Z34inclusive_scan_reduce_array_kernelILj6ELj32ELN6hipcub18BlockScanAlgorithmE0EfEvPT2_S3_ ; -- Begin function _Z34inclusive_scan_reduce_array_kernelILj6ELj32ELN6hipcub18BlockScanAlgorithmE0EfEvPT2_S3_
	.globl	_Z34inclusive_scan_reduce_array_kernelILj6ELj32ELN6hipcub18BlockScanAlgorithmE0EfEvPT2_S3_
	.p2align	8
	.type	_Z34inclusive_scan_reduce_array_kernelILj6ELj32ELN6hipcub18BlockScanAlgorithmE0EfEvPT2_S3_,@function
_Z34inclusive_scan_reduce_array_kernelILj6ELj32ELN6hipcub18BlockScanAlgorithmE0EfEvPT2_S3_: ; @_Z34inclusive_scan_reduce_array_kernelILj6ELj32ELN6hipcub18BlockScanAlgorithmE0EfEvPT2_S3_
; %bb.0:
	s_load_dwordx4 s[0:3], s[4:5], 0x0
	s_mul_i32 s4, s6, 6
	v_add_lshl_u32 v36, s4, v0, 5
	v_mov_b32_e32 v37, 0
	v_lshlrev_b64 v[2:3], 2, v[36:37]
	s_waitcnt lgkmcnt(0)
	v_mov_b32_e32 v1, s1
	v_add_co_u32_e32 v34, vcc, s0, v2
	v_addc_co_u32_e32 v35, vcc, v1, v3, vcc
	global_load_dwordx4 v[30:33], v[34:35], off
	global_load_dwordx4 v[26:29], v[34:35], off offset:16
	global_load_dwordx4 v[22:25], v[34:35], off offset:32
	;; [unrolled: 1-line block ×7, first 2 shown]
	v_mbcnt_lo_u32_b32 v1, -1, 0
	v_mbcnt_hi_u32_b32 v1, -1, v1
	v_and_b32_e32 v36, 7, v1
	v_cmp_eq_u32_e32 vcc, 0, v36
	s_waitcnt vmcnt(7)
	v_add_f32_e32 v38, v30, v31
	v_add_f32_e32 v38, v38, v32
	v_add_f32_e32 v38, v38, v33
	s_waitcnt vmcnt(6)
	v_add_f32_e32 v38, v38, v26
	v_add_f32_e32 v38, v38, v27
	v_add_f32_e32 v38, v38, v28
	v_add_f32_e32 v38, v38, v29
	s_waitcnt vmcnt(5)
	v_add_f32_e32 v38, v38, v22
	;; [unrolled: 5-line block ×7, first 2 shown]
	v_add_f32_e32 v38, v38, v3
	v_add_f32_e32 v38, v38, v4
	;; [unrolled: 1-line block ×3, first 2 shown]
	s_nop 1
	v_mov_b32_dpp v39, v38 row_shr:1 row_mask:0xf bank_mask:0xf
	v_add_f32_e32 v39, v38, v39
	v_cndmask_b32_e32 v38, v39, v38, vcc
	v_cmp_lt_u32_e32 vcc, 1, v36
	s_nop 0
	v_mov_b32_dpp v39, v38 row_shr:2 row_mask:0xf bank_mask:0xf
	v_add_f32_e32 v39, v38, v39
	v_cndmask_b32_e32 v38, v38, v39, vcc
	v_cmp_lt_u32_e32 vcc, 3, v36
	s_nop 0
	v_mov_b32_dpp v39, v38 row_shr:4 row_mask:0xf bank_mask:0xf
	v_add_f32_e32 v39, v38, v39
	v_cndmask_b32_e32 v36, v38, v39, vcc
	v_cmp_eq_u32_e32 vcc, 5, v0
	s_and_saveexec_b64 s[0:1], vcc
	s_cbranch_execz .LBB207_2
; %bb.1:
	ds_write_b32 v37, v36
.LBB207_2:
	s_or_b64 exec, exec, s[0:1]
	v_add_u32_e32 v37, -1, v1
	v_and_b32_e32 v38, 0x78, v1
	v_cmp_lt_i32_e32 vcc, v37, v38
	v_cndmask_b32_e32 v1, v37, v1, vcc
	v_lshlrev_b32_e32 v1, 2, v1
	ds_bpermute_b32 v1, v1, v36
	v_cmp_eq_u32_e32 vcc, 0, v0
	s_waitcnt lgkmcnt(0)
	; wave barrier
	s_waitcnt lgkmcnt(0)
	v_add_f32_e32 v1, v30, v1
	v_cndmask_b32_e32 v30, v1, v30, vcc
	v_add_f32_e32 v31, v30, v31
	v_add_f32_e32 v32, v31, v32
	;; [unrolled: 1-line block ×31, first 2 shown]
	global_store_dwordx4 v[34:35], v[30:33], off
	global_store_dwordx4 v[34:35], v[26:29], off offset:16
	global_store_dwordx4 v[34:35], v[22:25], off offset:32
	;; [unrolled: 1-line block ×7, first 2 shown]
	s_and_saveexec_b64 s[0:1], vcc
	s_cbranch_execz .LBB207_4
; %bb.3:
	v_mov_b32_e32 v0, 0
	ds_read_b32 v1, v0
	s_mov_b32 s7, 0
	s_lshl_b64 s[0:1], s[6:7], 2
	s_add_u32 s0, s2, s0
	s_addc_u32 s1, s3, s1
	s_waitcnt lgkmcnt(0)
	global_store_dword v0, v1, s[0:1]
.LBB207_4:
	s_endpgm
	.section	.rodata,"a",@progbits
	.p2align	6, 0x0
	.amdhsa_kernel _Z34inclusive_scan_reduce_array_kernelILj6ELj32ELN6hipcub18BlockScanAlgorithmE0EfEvPT2_S3_
		.amdhsa_group_segment_fixed_size 4
		.amdhsa_private_segment_fixed_size 0
		.amdhsa_kernarg_size 16
		.amdhsa_user_sgpr_count 6
		.amdhsa_user_sgpr_private_segment_buffer 1
		.amdhsa_user_sgpr_dispatch_ptr 0
		.amdhsa_user_sgpr_queue_ptr 0
		.amdhsa_user_sgpr_kernarg_segment_ptr 1
		.amdhsa_user_sgpr_dispatch_id 0
		.amdhsa_user_sgpr_flat_scratch_init 0
		.amdhsa_user_sgpr_kernarg_preload_length 0
		.amdhsa_user_sgpr_kernarg_preload_offset 0
		.amdhsa_user_sgpr_private_segment_size 0
		.amdhsa_uses_dynamic_stack 0
		.amdhsa_system_sgpr_private_segment_wavefront_offset 0
		.amdhsa_system_sgpr_workgroup_id_x 1
		.amdhsa_system_sgpr_workgroup_id_y 0
		.amdhsa_system_sgpr_workgroup_id_z 0
		.amdhsa_system_sgpr_workgroup_info 0
		.amdhsa_system_vgpr_workitem_id 0
		.amdhsa_next_free_vgpr 40
		.amdhsa_next_free_sgpr 8
		.amdhsa_accum_offset 40
		.amdhsa_reserve_vcc 1
		.amdhsa_reserve_flat_scratch 0
		.amdhsa_float_round_mode_32 0
		.amdhsa_float_round_mode_16_64 0
		.amdhsa_float_denorm_mode_32 3
		.amdhsa_float_denorm_mode_16_64 3
		.amdhsa_dx10_clamp 1
		.amdhsa_ieee_mode 1
		.amdhsa_fp16_overflow 0
		.amdhsa_tg_split 0
		.amdhsa_exception_fp_ieee_invalid_op 0
		.amdhsa_exception_fp_denorm_src 0
		.amdhsa_exception_fp_ieee_div_zero 0
		.amdhsa_exception_fp_ieee_overflow 0
		.amdhsa_exception_fp_ieee_underflow 0
		.amdhsa_exception_fp_ieee_inexact 0
		.amdhsa_exception_int_div_zero 0
	.end_amdhsa_kernel
	.section	.text._Z34inclusive_scan_reduce_array_kernelILj6ELj32ELN6hipcub18BlockScanAlgorithmE0EfEvPT2_S3_,"axG",@progbits,_Z34inclusive_scan_reduce_array_kernelILj6ELj32ELN6hipcub18BlockScanAlgorithmE0EfEvPT2_S3_,comdat
.Lfunc_end207:
	.size	_Z34inclusive_scan_reduce_array_kernelILj6ELj32ELN6hipcub18BlockScanAlgorithmE0EfEvPT2_S3_, .Lfunc_end207-_Z34inclusive_scan_reduce_array_kernelILj6ELj32ELN6hipcub18BlockScanAlgorithmE0EfEvPT2_S3_
                                        ; -- End function
	.section	.AMDGPU.csdata,"",@progbits
; Kernel info:
; codeLenInByte = 676
; NumSgprs: 12
; NumVgprs: 40
; NumAgprs: 0
; TotalNumVgprs: 40
; ScratchSize: 0
; MemoryBound: 0
; FloatMode: 240
; IeeeMode: 1
; LDSByteSize: 4 bytes/workgroup (compile time only)
; SGPRBlocks: 1
; VGPRBlocks: 4
; NumSGPRsForWavesPerEU: 12
; NumVGPRsForWavesPerEU: 40
; AccumOffset: 40
; Occupancy: 8
; WaveLimiterHint : 0
; COMPUTE_PGM_RSRC2:SCRATCH_EN: 0
; COMPUTE_PGM_RSRC2:USER_SGPR: 6
; COMPUTE_PGM_RSRC2:TRAP_HANDLER: 0
; COMPUTE_PGM_RSRC2:TGID_X_EN: 1
; COMPUTE_PGM_RSRC2:TGID_Y_EN: 0
; COMPUTE_PGM_RSRC2:TGID_Z_EN: 0
; COMPUTE_PGM_RSRC2:TIDIG_COMP_CNT: 0
; COMPUTE_PGM_RSRC3_GFX90A:ACCUM_OFFSET: 9
; COMPUTE_PGM_RSRC3_GFX90A:TG_SPLIT: 0
	.section	.text._Z43inclusive_scan_array_prefix_callback_kernelILj16ELj5ELN6hipcub18BlockScanAlgorithmE1E12hip_bfloat16EvPT2_S4_S3_,"axG",@progbits,_Z43inclusive_scan_array_prefix_callback_kernelILj16ELj5ELN6hipcub18BlockScanAlgorithmE1E12hip_bfloat16EvPT2_S4_S3_,comdat
	.protected	_Z43inclusive_scan_array_prefix_callback_kernelILj16ELj5ELN6hipcub18BlockScanAlgorithmE1E12hip_bfloat16EvPT2_S4_S3_ ; -- Begin function _Z43inclusive_scan_array_prefix_callback_kernelILj16ELj5ELN6hipcub18BlockScanAlgorithmE1E12hip_bfloat16EvPT2_S4_S3_
	.globl	_Z43inclusive_scan_array_prefix_callback_kernelILj16ELj5ELN6hipcub18BlockScanAlgorithmE1E12hip_bfloat16EvPT2_S4_S3_
	.p2align	8
	.type	_Z43inclusive_scan_array_prefix_callback_kernelILj16ELj5ELN6hipcub18BlockScanAlgorithmE1E12hip_bfloat16EvPT2_S4_S3_,@function
_Z43inclusive_scan_array_prefix_callback_kernelILj16ELj5ELN6hipcub18BlockScanAlgorithmE1E12hip_bfloat16EvPT2_S4_S3_: ; @_Z43inclusive_scan_array_prefix_callback_kernelILj16ELj5ELN6hipcub18BlockScanAlgorithmE1E12hip_bfloat16EvPT2_S4_S3_
; %bb.0:
	s_load_dwordx4 s[0:3], s[4:5], 0x0
	v_lshl_or_b32 v1, s6, 4, v0
	v_lshl_add_u32 v8, v1, 2, v1
	v_mov_b32_e32 v9, 0
	v_lshlrev_b64 v[2:3], 1, v[8:9]
	s_waitcnt lgkmcnt(0)
	v_mov_b32_e32 v1, s1
	v_add_co_u32_e32 v2, vcc, s0, v2
	v_add_u32_e32 v4, 1, v8
	v_mov_b32_e32 v5, v9
	v_addc_co_u32_e32 v3, vcc, v1, v3, vcc
	v_lshlrev_b64 v[4:5], 1, v[4:5]
	v_add_co_u32_e32 v4, vcc, s0, v4
	v_add_u32_e32 v6, 3, v8
	v_mov_b32_e32 v7, v9
	v_addc_co_u32_e32 v5, vcc, v1, v5, vcc
	v_lshlrev_b64 v[6:7], 1, v[6:7]
	v_add_u32_e32 v10, 2, v8
	v_add_co_u32_e32 v6, vcc, s0, v6
	v_add_u32_e32 v8, 4, v8
	v_mov_b32_e32 v11, v9
	v_addc_co_u32_e32 v7, vcc, v1, v7, vcc
	v_lshlrev_b64 v[8:9], 1, v[8:9]
	v_add_co_u32_e32 v8, vcc, s0, v8
	v_addc_co_u32_e32 v9, vcc, v1, v9, vcc
	global_load_ushort v17, v[6:7], off
	global_load_ushort v16, v[8:9], off
	global_load_ushort v13, v[4:5], off
	global_load_ushort v12, v[2:3], off
	v_lshlrev_b64 v[10:11], 1, v[10:11]
	v_add_co_u32_e32 v10, vcc, s0, v10
	v_addc_co_u32_e32 v11, vcc, v1, v11, vcc
	global_load_ushort v1, v[10:11], off
	s_mov_b32 s0, 0x7f800000
                                        ; implicit-def: $vgpr18
	s_waitcnt vmcnt(2)
	v_lshlrev_b32_e32 v13, 16, v13
	s_waitcnt vmcnt(1)
	v_lshlrev_b32_e32 v12, 16, v12
	v_mov_b32_e32 v14, v13
	v_pk_add_f32 v[14:15], v[14:15], v[12:13] op_sel_hi:[0,1]
	v_and_b32_e32 v15, 0x7f800000, v14
	v_cmp_ne_u32_e32 vcc, s0, v15
	s_and_saveexec_b64 s[0:1], vcc
	s_xor_b64 s[0:1], exec, s[0:1]
; %bb.1:
	v_bfe_u32 v15, v14, 16, 1
	s_movk_i32 s7, 0x7fff
	v_add3_u32 v18, v14, v15, s7
                                        ; implicit-def: $vgpr14_vgpr15
; %bb.2:
	s_andn2_saveexec_b64 s[0:1], s[0:1]
; %bb.3:
	v_mov_b32_e32 v15, 0
	v_or_b32_e32 v18, 0x10000, v14
	v_cmp_eq_u32_sdwa vcc, v14, v15 src0_sel:WORD_0 src1_sel:DWORD
	v_cndmask_b32_e32 v18, v18, v14, vcc
; %bb.4:
	s_or_b64 exec, exec, s[0:1]
	v_and_b32_e32 v14, 0xffff0000, v18
	s_waitcnt vmcnt(0)
	v_lshlrev_b32_e32 v1, 16, v1
	v_add_f32_e32 v14, v14, v1
	s_mov_b32 s0, 0x7f800000
	v_and_b32_e32 v15, 0x7f800000, v14
	v_cmp_ne_u32_e32 vcc, s0, v15
                                        ; implicit-def: $vgpr15
	s_and_saveexec_b64 s[0:1], vcc
	s_xor_b64 s[0:1], exec, s[0:1]
; %bb.5:
	v_bfe_u32 v15, v14, 16, 1
	s_movk_i32 s7, 0x7fff
	v_add3_u32 v15, v14, v15, s7
                                        ; implicit-def: $vgpr14
; %bb.6:
	s_andn2_saveexec_b64 s[0:1], s[0:1]
; %bb.7:
	v_mov_b32_e32 v15, 0
	v_or_b32_e32 v18, 0x10000, v14
	v_cmp_eq_u32_sdwa vcc, v14, v15 src0_sel:WORD_0 src1_sel:DWORD
	v_cndmask_b32_e32 v15, v18, v14, vcc
; %bb.8:
	s_or_b64 exec, exec, s[0:1]
	v_and_b32_e32 v15, 0xffff0000, v15
	v_lshlrev_b32_e32 v14, 16, v17
	v_add_f32_e32 v15, v15, v14
	s_mov_b32 s0, 0x7f800000
	v_and_b32_e32 v17, 0x7f800000, v15
	v_cmp_ne_u32_e32 vcc, s0, v17
                                        ; implicit-def: $vgpr17
	s_and_saveexec_b64 s[0:1], vcc
	s_xor_b64 s[0:1], exec, s[0:1]
; %bb.9:
	v_bfe_u32 v17, v15, 16, 1
	s_movk_i32 s7, 0x7fff
	v_add3_u32 v17, v15, v17, s7
                                        ; implicit-def: $vgpr15
; %bb.10:
	s_andn2_saveexec_b64 s[0:1], s[0:1]
; %bb.11:
	v_mov_b32_e32 v17, 0
	v_or_b32_e32 v18, 0x10000, v15
	v_cmp_eq_u32_sdwa vcc, v15, v17 src0_sel:WORD_0 src1_sel:DWORD
	v_cndmask_b32_e32 v17, v18, v15, vcc
; %bb.12:
	s_or_b64 exec, exec, s[0:1]
	v_and_b32_e32 v17, 0xffff0000, v17
	v_lshlrev_b32_e32 v15, 16, v16
	v_add_f32_e32 v16, v17, v15
	s_mov_b32 s0, 0x7f800000
	v_and_b32_e32 v17, 0x7f800000, v16
	v_cmp_ne_u32_e32 vcc, s0, v17
                                        ; implicit-def: $vgpr17
	s_and_saveexec_b64 s[0:1], vcc
	s_xor_b64 s[0:1], exec, s[0:1]
; %bb.13:
	v_bfe_u32 v17, v16, 16, 1
	s_movk_i32 s7, 0x7fff
	v_add3_u32 v17, v16, v17, s7
                                        ; implicit-def: $vgpr16
; %bb.14:
	s_andn2_saveexec_b64 s[0:1], s[0:1]
; %bb.15:
	v_mov_b32_e32 v17, 0
	v_or_b32_e32 v18, 0x10000, v16
	v_cmp_eq_u32_sdwa vcc, v16, v17 src0_sel:WORD_0 src1_sel:DWORD
	v_cndmask_b32_e32 v17, v18, v16, vcc
; %bb.16:
	s_or_b64 exec, exec, s[0:1]
	v_lshrrev_b32_e32 v18, 16, v17
	v_and_b32_e32 v19, 0xffff0000, v17
	s_mov_b32 s0, 0x7f800000
	v_mov_b32_dpp v16, v18 row_shr:1 row_mask:0xf bank_mask:0xf
	v_lshlrev_b32_e32 v16, 16, v16
	v_add_f32_e32 v16, v19, v16
	v_and_b32_e32 v17, 0x7f800000, v16
	v_cmp_ne_u32_e32 vcc, s0, v17
                                        ; implicit-def: $vgpr20
	s_and_saveexec_b64 s[0:1], vcc
	s_xor_b64 s[0:1], exec, s[0:1]
; %bb.17:
	v_bfe_u32 v17, v16, 16, 1
	s_movk_i32 s7, 0x7fff
	v_add3_u32 v20, v16, v17, s7
                                        ; implicit-def: $vgpr16
; %bb.18:
	s_andn2_saveexec_b64 s[0:1], s[0:1]
; %bb.19:
	v_mov_b32_e32 v17, 0
	v_or_b32_e32 v20, 0x10000, v16
	v_cmp_eq_u32_sdwa vcc, v16, v17 src0_sel:WORD_0 src1_sel:DWORD
	v_cndmask_b32_e32 v20, v20, v16, vcc
; %bb.20:
	s_or_b64 exec, exec, s[0:1]
	v_mbcnt_lo_u32_b32 v16, -1, 0
	v_mbcnt_hi_u32_b32 v16, -1, v16
	v_and_b32_e32 v17, 15, v16
	v_lshrrev_b32_e32 v21, 16, v20
	v_cmp_eq_u32_e32 vcc, 0, v17
	v_and_b32_e32 v20, 0xffff0000, v20
	v_cndmask_b32_e32 v18, v21, v18, vcc
	v_cndmask_b32_e32 v19, v20, v19, vcc
	s_mov_b32 s0, 0x7f800000
	v_mov_b32_dpp v20, v18 row_shr:2 row_mask:0xf bank_mask:0xf
	v_lshlrev_b32_e32 v20, 16, v20
	v_add_f32_e32 v20, v19, v20
	v_and_b32_e32 v21, 0x7f800000, v20
	v_cmp_ne_u32_e32 vcc, s0, v21
                                        ; implicit-def: $vgpr21
	s_and_saveexec_b64 s[0:1], vcc
	s_xor_b64 s[0:1], exec, s[0:1]
; %bb.21:
	v_bfe_u32 v21, v20, 16, 1
	s_movk_i32 s7, 0x7fff
	v_add3_u32 v21, v20, v21, s7
                                        ; implicit-def: $vgpr20
; %bb.22:
	s_andn2_saveexec_b64 s[0:1], s[0:1]
; %bb.23:
	v_mov_b32_e32 v21, 0
	v_or_b32_e32 v22, 0x10000, v20
	v_cmp_eq_u32_sdwa vcc, v20, v21 src0_sel:WORD_0 src1_sel:DWORD
	v_cndmask_b32_e32 v21, v22, v20, vcc
; %bb.24:
	s_or_b64 exec, exec, s[0:1]
	v_lshrrev_b32_e32 v20, 16, v21
	v_cmp_lt_u32_e32 vcc, 1, v17
	v_cndmask_b32_e32 v18, v18, v20, vcc
	v_and_b32_e32 v21, 0xffff0000, v21
	v_cndmask_b32_e32 v19, v19, v21, vcc
	v_mov_b32_dpp v20, v18 row_shr:4 row_mask:0xf bank_mask:0xf
	v_lshlrev_b32_e32 v20, 16, v20
	v_add_f32_e32 v20, v19, v20
	s_mov_b32 s0, 0x7f800000
	v_and_b32_e32 v21, 0x7f800000, v20
	v_cmp_ne_u32_e32 vcc, s0, v21
                                        ; implicit-def: $vgpr21
	s_and_saveexec_b64 s[0:1], vcc
	s_xor_b64 s[0:1], exec, s[0:1]
; %bb.25:
	v_bfe_u32 v21, v20, 16, 1
	s_movk_i32 s7, 0x7fff
	v_add3_u32 v21, v20, v21, s7
                                        ; implicit-def: $vgpr20
; %bb.26:
	s_andn2_saveexec_b64 s[0:1], s[0:1]
; %bb.27:
	v_mov_b32_e32 v21, 0
	v_or_b32_e32 v22, 0x10000, v20
	v_cmp_eq_u32_sdwa vcc, v20, v21 src0_sel:WORD_0 src1_sel:DWORD
	v_cndmask_b32_e32 v21, v22, v20, vcc
; %bb.28:
	s_or_b64 exec, exec, s[0:1]
	v_lshrrev_b32_e32 v20, 16, v21
	v_cmp_lt_u32_e32 vcc, 3, v17
	v_cndmask_b32_e32 v18, v18, v20, vcc
	v_and_b32_e32 v21, 0xffff0000, v21
	v_cndmask_b32_e32 v19, v19, v21, vcc
	v_mov_b32_dpp v20, v18 row_shr:8 row_mask:0xf bank_mask:0xf
	v_lshlrev_b32_e32 v20, 16, v20
	v_add_f32_e32 v19, v19, v20
	s_mov_b32 s0, 0x7f800000
	v_and_b32_e32 v20, 0x7f800000, v19
	v_cmp_ne_u32_e32 vcc, s0, v20
                                        ; implicit-def: $vgpr20
	s_and_saveexec_b64 s[0:1], vcc
	s_xor_b64 s[0:1], exec, s[0:1]
; %bb.29:
	v_bfe_u32 v20, v19, 16, 1
	s_movk_i32 s7, 0x7fff
	v_add3_u32 v20, v19, v20, s7
                                        ; implicit-def: $vgpr19
; %bb.30:
	s_andn2_saveexec_b64 s[0:1], s[0:1]
; %bb.31:
	v_mov_b32_e32 v20, 0
	v_or_b32_e32 v21, 0x10000, v19
	v_cmp_eq_u32_sdwa vcc, v19, v20 src0_sel:WORD_0 src1_sel:DWORD
	v_cndmask_b32_e32 v20, v21, v19, vcc
; %bb.32:
	s_or_b64 exec, exec, s[0:1]
	v_lshrrev_b32_e32 v19, 16, v20
	v_cmp_lt_u32_e32 vcc, 7, v17
	v_cndmask_b32_e32 v17, v18, v19, vcc
	v_cmp_eq_u32_e32 vcc, 15, v0
	s_and_saveexec_b64 s[0:1], vcc
	s_cbranch_execz .LBB208_34
; %bb.33:
	v_mov_b32_e32 v18, 0
	ds_write_b16 v18, v17
.LBB208_34:
	s_or_b64 exec, exec, s[0:1]
	v_add_u32_e32 v18, -1, v16
	v_and_b32_e32 v19, 0x70, v16
	v_cmp_lt_i32_e32 vcc, v18, v19
	v_cndmask_b32_e32 v16, v18, v16, vcc
	s_load_dword s7, s[4:5], 0x10
	v_lshlrev_b32_e32 v16, 2, v16
	ds_bpermute_b32 v17, v16, v17
	v_cmp_gt_u32_e32 vcc, 64, v0
	s_waitcnt lgkmcnt(0)
	v_mov_b32_e32 v16, s7
	; wave barrier
	s_and_saveexec_b64 s[0:1], vcc
	s_cbranch_execz .LBB208_42
; %bb.35:
	v_mov_b32_e32 v16, 0
	ds_read_u16 v16, v16
	s_lshl_b32 s4, s7, 16
	s_waitcnt lgkmcnt(0)
	v_lshlrev_b32_e32 v16, 16, v16
	v_pk_add_f32 v[18:19], v[16:17], s[4:5] op_sel_hi:[0,1]
	v_readfirstlane_b32 s8, v18
	s_and_b32 s4, s8, 0x7f800000
	s_cmp_eq_u32 s4, 0x7f800000
	s_cbranch_scc1 .LBB208_37
; %bb.36:
	s_bfe_u32 s4, s8, 0x10010
	s_add_i32 s4, s8, s4
	s_add_i32 s9, s4, 0x7fff
	s_cbranch_execz .LBB208_38
	s_branch .LBB208_39
.LBB208_37:
                                        ; implicit-def: $sgpr9
.LBB208_38:
	s_and_b32 s4, s8, 0xffff
	s_or_b32 s5, s8, 0x10000
	s_cmp_eq_u32 s4, 0
	s_cselect_b32 s9, s8, s5
.LBB208_39:
	s_lshr_b32 s8, s9, 16
	v_cmp_eq_u32_e32 vcc, 0, v0
	s_and_saveexec_b64 s[4:5], vcc
	s_cbranch_execz .LBB208_41
; %bb.40:
	v_mov_b32_e32 v16, 0
	v_mov_b32_e32 v18, s7
	ds_write_b16 v16, v18
.LBB208_41:
	s_or_b64 exec, exec, s[4:5]
	v_mov_b32_e32 v16, s8
.LBB208_42:
	s_or_b64 exec, exec, s[0:1]
	v_mov_b32_e32 v18, 0
	s_waitcnt lgkmcnt(0)
	; wave barrier
	s_waitcnt lgkmcnt(0)
	ds_read_u16 v18, v18
	v_cmp_eq_u32_e32 vcc, 0, v0
	v_cmp_ne_u32_e64 s[0:1], 0, v0
	s_and_saveexec_b64 s[4:5], s[0:1]
	s_cbranch_execz .LBB208_48
; %bb.43:
	v_lshlrev_b32_e32 v0, 16, v17
	v_add_f32_e32 v0, v12, v0
	s_mov_b32 s0, 0x7f800000
	v_and_b32_e32 v12, 0x7f800000, v0
	v_cmp_ne_u32_e64 s[0:1], s0, v12
                                        ; implicit-def: $vgpr12
	s_and_saveexec_b64 s[8:9], s[0:1]
	s_xor_b64 s[0:1], exec, s[8:9]
; %bb.44:
	v_bfe_u32 v12, v0, 16, 1
	s_movk_i32 s7, 0x7fff
	v_add3_u32 v12, v0, v12, s7
                                        ; implicit-def: $vgpr0
; %bb.45:
	s_andn2_saveexec_b64 s[8:9], s[0:1]
; %bb.46:
	v_mov_b32_e32 v12, 0
	v_or_b32_e32 v17, 0x10000, v0
	v_cmp_eq_u32_sdwa s[0:1], v0, v12 src0_sel:WORD_0 src1_sel:DWORD
	v_cndmask_b32_e64 v12, v17, v0, s[0:1]
; %bb.47:
	s_or_b64 exec, exec, s[8:9]
	v_and_b32_e32 v12, 0xffff0000, v12
.LBB208_48:
	s_or_b64 exec, exec, s[4:5]
	s_waitcnt lgkmcnt(0)
	v_lshlrev_b32_e32 v0, 16, v18
	v_add_f32_e32 v12, v12, v0
	s_mov_b32 s0, 0x7f800000
	v_and_b32_e32 v0, 0x7f800000, v12
	v_cmp_ne_u32_e64 s[0:1], s0, v0
                                        ; implicit-def: $vgpr0
	s_and_saveexec_b64 s[4:5], s[0:1]
	s_xor_b64 s[0:1], exec, s[4:5]
; %bb.49:
	v_bfe_u32 v0, v12, 16, 1
	s_movk_i32 s4, 0x7fff
	v_add3_u32 v0, v12, v0, s4
                                        ; implicit-def: $vgpr12
; %bb.50:
	s_andn2_saveexec_b64 s[4:5], s[0:1]
; %bb.51:
	v_mov_b32_e32 v0, 0
	v_or_b32_e32 v17, 0x10000, v12
	v_cmp_eq_u32_sdwa s[0:1], v12, v0 src0_sel:WORD_0 src1_sel:DWORD
	v_cndmask_b32_e64 v0, v17, v12, s[0:1]
; %bb.52:
	s_or_b64 exec, exec, s[4:5]
	v_and_b32_e32 v12, 0xffff0000, v0
	v_add_f32_e32 v13, v13, v12
	s_mov_b32 s0, 0x7f800000
	v_and_b32_e32 v12, 0x7f800000, v13
	v_cmp_ne_u32_e64 s[0:1], s0, v12
                                        ; implicit-def: $vgpr12
	s_and_saveexec_b64 s[4:5], s[0:1]
	s_xor_b64 s[0:1], exec, s[4:5]
; %bb.53:
	v_bfe_u32 v12, v13, 16, 1
	s_movk_i32 s4, 0x7fff
	v_add3_u32 v12, v13, v12, s4
                                        ; implicit-def: $vgpr13
; %bb.54:
	s_andn2_saveexec_b64 s[4:5], s[0:1]
; %bb.55:
	v_mov_b32_e32 v12, 0
	v_or_b32_e32 v17, 0x10000, v13
	v_cmp_eq_u32_sdwa s[0:1], v13, v12 src0_sel:WORD_0 src1_sel:DWORD
	v_cndmask_b32_e64 v12, v17, v13, s[0:1]
; %bb.56:
	s_or_b64 exec, exec, s[4:5]
	v_and_b32_e32 v13, 0xffff0000, v12
	v_add_f32_e32 v13, v13, v1
	s_mov_b32 s0, 0x7f800000
	v_and_b32_e32 v1, 0x7f800000, v13
	v_cmp_ne_u32_e64 s[0:1], s0, v1
                                        ; implicit-def: $vgpr1
	s_and_saveexec_b64 s[4:5], s[0:1]
	s_xor_b64 s[0:1], exec, s[4:5]
; %bb.57:
	v_bfe_u32 v1, v13, 16, 1
	s_movk_i32 s4, 0x7fff
	v_add3_u32 v1, v13, v1, s4
                                        ; implicit-def: $vgpr13
; %bb.58:
	s_andn2_saveexec_b64 s[4:5], s[0:1]
; %bb.59:
	v_mov_b32_e32 v1, 0
	v_or_b32_e32 v17, 0x10000, v13
	v_cmp_eq_u32_sdwa s[0:1], v13, v1 src0_sel:WORD_0 src1_sel:DWORD
	v_cndmask_b32_e64 v1, v17, v13, s[0:1]
; %bb.60:
	s_or_b64 exec, exec, s[4:5]
	v_and_b32_e32 v13, 0xffff0000, v1
	v_add_f32_e32 v14, v13, v14
	s_mov_b32 s0, 0x7f800000
	v_and_b32_e32 v13, 0x7f800000, v14
	v_cmp_ne_u32_e64 s[0:1], s0, v13
                                        ; implicit-def: $vgpr13
	s_and_saveexec_b64 s[4:5], s[0:1]
	s_xor_b64 s[0:1], exec, s[4:5]
; %bb.61:
	v_bfe_u32 v13, v14, 16, 1
	s_movk_i32 s4, 0x7fff
	v_add3_u32 v13, v14, v13, s4
                                        ; implicit-def: $vgpr14
; %bb.62:
	s_andn2_saveexec_b64 s[4:5], s[0:1]
; %bb.63:
	v_mov_b32_e32 v13, 0
	v_or_b32_e32 v17, 0x10000, v14
	v_cmp_eq_u32_sdwa s[0:1], v14, v13 src0_sel:WORD_0 src1_sel:DWORD
	v_cndmask_b32_e64 v13, v17, v14, s[0:1]
; %bb.64:
	s_or_b64 exec, exec, s[4:5]
	v_and_b32_e32 v14, 0xffff0000, v13
	v_add_f32_e32 v14, v14, v15
	s_mov_b32 s0, 0x7f800000
	v_and_b32_e32 v15, 0x7f800000, v14
	v_cmp_ne_u32_e64 s[0:1], s0, v15
                                        ; implicit-def: $vgpr15
	s_and_saveexec_b64 s[4:5], s[0:1]
	s_xor_b64 s[0:1], exec, s[4:5]
; %bb.65:
	v_bfe_u32 v15, v14, 16, 1
	s_movk_i32 s4, 0x7fff
	v_add3_u32 v15, v14, v15, s4
                                        ; implicit-def: $vgpr14
; %bb.66:
	s_andn2_saveexec_b64 s[4:5], s[0:1]
; %bb.67:
	v_mov_b32_e32 v15, 0
	v_or_b32_e32 v17, 0x10000, v14
	v_cmp_eq_u32_sdwa s[0:1], v14, v15 src0_sel:WORD_0 src1_sel:DWORD
	v_cndmask_b32_e64 v15, v17, v14, s[0:1]
; %bb.68:
	s_or_b64 exec, exec, s[4:5]
	global_store_short_d16_hi v[2:3], v0, off
	global_store_short_d16_hi v[4:5], v12, off
	;; [unrolled: 1-line block ×5, first 2 shown]
	s_and_saveexec_b64 s[0:1], vcc
	s_cbranch_execz .LBB208_70
; %bb.69:
	s_mov_b32 s7, 0
	s_lshl_b64 s[0:1], s[6:7], 1
	s_add_u32 s0, s2, s0
	s_addc_u32 s1, s3, s1
	v_mov_b32_e32 v0, 0
	global_store_short v0, v16, s[0:1]
.LBB208_70:
	s_endpgm
	.section	.rodata,"a",@progbits
	.p2align	6, 0x0
	.amdhsa_kernel _Z43inclusive_scan_array_prefix_callback_kernelILj16ELj5ELN6hipcub18BlockScanAlgorithmE1E12hip_bfloat16EvPT2_S4_S3_
		.amdhsa_group_segment_fixed_size 2
		.amdhsa_private_segment_fixed_size 0
		.amdhsa_kernarg_size 20
		.amdhsa_user_sgpr_count 6
		.amdhsa_user_sgpr_private_segment_buffer 1
		.amdhsa_user_sgpr_dispatch_ptr 0
		.amdhsa_user_sgpr_queue_ptr 0
		.amdhsa_user_sgpr_kernarg_segment_ptr 1
		.amdhsa_user_sgpr_dispatch_id 0
		.amdhsa_user_sgpr_flat_scratch_init 0
		.amdhsa_user_sgpr_kernarg_preload_length 0
		.amdhsa_user_sgpr_kernarg_preload_offset 0
		.amdhsa_user_sgpr_private_segment_size 0
		.amdhsa_uses_dynamic_stack 0
		.amdhsa_system_sgpr_private_segment_wavefront_offset 0
		.amdhsa_system_sgpr_workgroup_id_x 1
		.amdhsa_system_sgpr_workgroup_id_y 0
		.amdhsa_system_sgpr_workgroup_id_z 0
		.amdhsa_system_sgpr_workgroup_info 0
		.amdhsa_system_vgpr_workitem_id 0
		.amdhsa_next_free_vgpr 23
		.amdhsa_next_free_sgpr 10
		.amdhsa_accum_offset 24
		.amdhsa_reserve_vcc 1
		.amdhsa_reserve_flat_scratch 0
		.amdhsa_float_round_mode_32 0
		.amdhsa_float_round_mode_16_64 0
		.amdhsa_float_denorm_mode_32 3
		.amdhsa_float_denorm_mode_16_64 3
		.amdhsa_dx10_clamp 1
		.amdhsa_ieee_mode 1
		.amdhsa_fp16_overflow 0
		.amdhsa_tg_split 0
		.amdhsa_exception_fp_ieee_invalid_op 0
		.amdhsa_exception_fp_denorm_src 0
		.amdhsa_exception_fp_ieee_div_zero 0
		.amdhsa_exception_fp_ieee_overflow 0
		.amdhsa_exception_fp_ieee_underflow 0
		.amdhsa_exception_fp_ieee_inexact 0
		.amdhsa_exception_int_div_zero 0
	.end_amdhsa_kernel
	.section	.text._Z43inclusive_scan_array_prefix_callback_kernelILj16ELj5ELN6hipcub18BlockScanAlgorithmE1E12hip_bfloat16EvPT2_S4_S3_,"axG",@progbits,_Z43inclusive_scan_array_prefix_callback_kernelILj16ELj5ELN6hipcub18BlockScanAlgorithmE1E12hip_bfloat16EvPT2_S4_S3_,comdat
.Lfunc_end208:
	.size	_Z43inclusive_scan_array_prefix_callback_kernelILj16ELj5ELN6hipcub18BlockScanAlgorithmE1E12hip_bfloat16EvPT2_S4_S3_, .Lfunc_end208-_Z43inclusive_scan_array_prefix_callback_kernelILj16ELj5ELN6hipcub18BlockScanAlgorithmE1E12hip_bfloat16EvPT2_S4_S3_
                                        ; -- End function
	.section	.AMDGPU.csdata,"",@progbits
; Kernel info:
; codeLenInByte = 2052
; NumSgprs: 14
; NumVgprs: 23
; NumAgprs: 0
; TotalNumVgprs: 23
; ScratchSize: 0
; MemoryBound: 0
; FloatMode: 240
; IeeeMode: 1
; LDSByteSize: 2 bytes/workgroup (compile time only)
; SGPRBlocks: 1
; VGPRBlocks: 2
; NumSGPRsForWavesPerEU: 14
; NumVGPRsForWavesPerEU: 23
; AccumOffset: 24
; Occupancy: 8
; WaveLimiterHint : 0
; COMPUTE_PGM_RSRC2:SCRATCH_EN: 0
; COMPUTE_PGM_RSRC2:USER_SGPR: 6
; COMPUTE_PGM_RSRC2:TRAP_HANDLER: 0
; COMPUTE_PGM_RSRC2:TGID_X_EN: 1
; COMPUTE_PGM_RSRC2:TGID_Y_EN: 0
; COMPUTE_PGM_RSRC2:TGID_Z_EN: 0
; COMPUTE_PGM_RSRC2:TIDIG_COMP_CNT: 0
; COMPUTE_PGM_RSRC3_GFX90A:ACCUM_OFFSET: 5
; COMPUTE_PGM_RSRC3_GFX90A:TG_SPLIT: 0
	.section	.text._Z43inclusive_scan_array_prefix_callback_kernelILj65ELj5ELN6hipcub18BlockScanAlgorithmE1E6__halfEvPT2_S4_S3_,"axG",@progbits,_Z43inclusive_scan_array_prefix_callback_kernelILj65ELj5ELN6hipcub18BlockScanAlgorithmE1E6__halfEvPT2_S4_S3_,comdat
	.protected	_Z43inclusive_scan_array_prefix_callback_kernelILj65ELj5ELN6hipcub18BlockScanAlgorithmE1E6__halfEvPT2_S4_S3_ ; -- Begin function _Z43inclusive_scan_array_prefix_callback_kernelILj65ELj5ELN6hipcub18BlockScanAlgorithmE1E6__halfEvPT2_S4_S3_
	.globl	_Z43inclusive_scan_array_prefix_callback_kernelILj65ELj5ELN6hipcub18BlockScanAlgorithmE1E6__halfEvPT2_S4_S3_
	.p2align	8
	.type	_Z43inclusive_scan_array_prefix_callback_kernelILj65ELj5ELN6hipcub18BlockScanAlgorithmE1E6__halfEvPT2_S4_S3_,@function
_Z43inclusive_scan_array_prefix_callback_kernelILj65ELj5ELN6hipcub18BlockScanAlgorithmE1E6__halfEvPT2_S4_S3_: ; @_Z43inclusive_scan_array_prefix_callback_kernelILj65ELj5ELN6hipcub18BlockScanAlgorithmE1E6__halfEvPT2_S4_S3_
; %bb.0:
	s_load_dwordx4 s[8:11], s[4:5], 0x0
	s_load_dword s7, s[4:5], 0x10
	s_mul_i32 s0, s6, 0x41
	v_add_u32_e32 v1, s0, v0
	v_lshl_add_u32 v10, v1, 2, v1
	v_mov_b32_e32 v11, 0
	v_lshlrev_b64 v[2:3], 1, v[10:11]
	s_waitcnt lgkmcnt(0)
	v_mov_b32_e32 v1, s9
	v_add_co_u32_e32 v2, vcc, s8, v2
	v_add_u32_e32 v4, 1, v10
	v_mov_b32_e32 v5, v11
	v_addc_co_u32_e32 v3, vcc, v1, v3, vcc
	v_lshlrev_b64 v[4:5], 1, v[4:5]
	v_add_co_u32_e32 v4, vcc, s8, v4
	v_add_u32_e32 v6, 2, v10
	v_mov_b32_e32 v7, v11
	v_addc_co_u32_e32 v5, vcc, v1, v5, vcc
	v_lshlrev_b64 v[6:7], 1, v[6:7]
	;; [unrolled: 5-line block ×3, first 2 shown]
	v_add_co_u32_e32 v8, vcc, s8, v8
	v_add_u32_e32 v10, 4, v10
	v_addc_co_u32_e32 v9, vcc, v1, v9, vcc
	v_lshlrev_b64 v[10:11], 1, v[10:11]
	v_add_co_u32_e32 v10, vcc, s8, v10
	v_addc_co_u32_e32 v11, vcc, v1, v11, vcc
	global_load_ushort v14, v[2:3], off
	global_load_ushort v1, v[4:5], off
	;; [unrolled: 1-line block ×5, first 2 shown]
	v_lshrrev_b32_e32 v16, 5, v0
	v_add_lshl_u32 v17, v16, v0, 1
	v_cmp_gt_u32_e32 vcc, 64, v0
	s_waitcnt vmcnt(3)
	v_add_f16_e32 v16, v14, v1
	s_waitcnt vmcnt(2)
	v_add_f16_e32 v16, v16, v12
	;; [unrolled: 2-line block ×4, first 2 shown]
	ds_write_b16 v17, v16
	s_waitcnt lgkmcnt(0)
	s_barrier
	s_and_saveexec_b64 s[2:3], vcc
	s_cbranch_execz .LBB209_2
; %bb.1:
	v_lshlrev_b32_e32 v17, 1, v0
	v_lshrrev_b32_e32 v18, 4, v0
	v_add_lshl_u32 v17, v18, v17, 1
	ds_read_u16 v18, v17
	ds_read_u16 v19, v17 offset:2
	v_mbcnt_lo_u32_b32 v20, -1, 0
	v_mbcnt_hi_u32_b32 v20, -1, v20
	v_and_b32_e32 v22, 15, v20
	v_cmp_eq_u32_e64 s[0:1], 0, v22
	s_waitcnt lgkmcnt(0)
	v_add_f16_e32 v21, v18, v19
	s_nop 1
	v_mov_b32_dpp v23, v21 row_shr:1 row_mask:0xf bank_mask:0xf
	v_add_f16_e32 v23, v21, v23
	v_cndmask_b32_e64 v21, v23, v21, s[0:1]
	v_and_b32_e32 v23, 0xffff, v21
	v_cmp_lt_u32_e64 s[0:1], 1, v22
	s_nop 0
	v_mov_b32_dpp v23, v23 row_shr:2 row_mask:0xf bank_mask:0xf
	v_add_f16_e32 v23, v21, v23
	v_cndmask_b32_e64 v21, v21, v23, s[0:1]
	v_and_b32_e32 v23, 0xffff, v21
	v_cmp_lt_u32_e64 s[0:1], 3, v22
	s_nop 0
	v_mov_b32_dpp v23, v23 row_shr:4 row_mask:0xf bank_mask:0xf
	v_add_f16_e32 v23, v21, v23
	v_cndmask_b32_e64 v21, v21, v23, s[0:1]
	v_and_b32_e32 v23, 0xffff, v21
	v_cmp_lt_u32_e64 s[0:1], 7, v22
	s_nop 0
	v_mov_b32_dpp v23, v23 row_shr:8 row_mask:0xf bank_mask:0xf
	v_add_f16_e32 v23, v21, v23
	v_cndmask_b32_e64 v21, v21, v23, s[0:1]
	v_and_b32_e32 v22, 0xffff, v21
	v_and_b32_e32 v23, 16, v20
	v_cmp_eq_u32_e64 s[0:1], 0, v23
	v_mov_b32_dpp v22, v22 row_bcast:15 row_mask:0xf bank_mask:0xf
	v_add_f16_e32 v22, v21, v22
	v_cndmask_b32_e64 v21, v22, v21, s[0:1]
	v_and_b32_e32 v22, 0xffff, v21
	v_cmp_lt_u32_e64 s[0:1], 31, v20
	v_and_b32_e32 v23, 64, v20
	v_mov_b32_dpp v22, v22 row_bcast:31 row_mask:0xf bank_mask:0xf
	v_add_f16_e32 v22, v21, v22
	v_cndmask_b32_e64 v21, v21, v22, s[0:1]
	v_add_u32_e32 v22, -1, v20
	v_cmp_lt_i32_e64 s[0:1], v22, v23
	v_cndmask_b32_e64 v20, v22, v20, s[0:1]
	v_and_b32_e32 v21, 0xffff, v21
	v_lshlrev_b32_e32 v20, 2, v20
	ds_bpermute_b32 v20, v20, v21
	v_cmp_eq_u32_e64 s[0:1], 0, v0
	s_waitcnt lgkmcnt(0)
	v_add_f16_e32 v18, v18, v20
	v_cndmask_b32_e64 v18, v18, v16, s[0:1]
	ds_write_b16 v17, v18
	v_add_f16_e32 v18, v19, v18
	ds_write_b16 v17, v18 offset:2
.LBB209_2:
	s_or_b64 exec, exec, s[2:3]
	v_cmp_eq_u32_e64 s[0:1], 0, v0
	v_cmp_ne_u32_e64 s[2:3], 0, v0
	s_waitcnt lgkmcnt(0)
	s_barrier
	s_and_saveexec_b64 s[4:5], s[2:3]
	s_cbranch_execz .LBB209_4
; %bb.3:
	v_add_u32_e32 v0, -1, v0
	v_lshrrev_b32_e32 v16, 5, v0
	v_add_lshl_u32 v0, v16, v0, 1
	ds_read_u16 v16, v0
.LBB209_4:
	s_or_b64 exec, exec, s[4:5]
	v_mov_b32_e32 v0, s7
	s_and_saveexec_b64 s[2:3], vcc
	s_cbranch_execz .LBB209_8
; %bb.5:
	v_mov_b32_e32 v17, 0
	ds_read_u16 v0, v17 offset:132
	s_and_saveexec_b64 s[4:5], s[0:1]
	s_cbranch_execz .LBB209_7
; %bb.6:
	v_mov_b32_e32 v18, s7
	ds_write_b16 v17, v18
.LBB209_7:
	s_or_b64 exec, exec, s[4:5]
	s_waitcnt lgkmcnt(0)
	v_add_f16_e32 v0, s7, v0
.LBB209_8:
	s_or_b64 exec, exec, s[2:3]
	v_mov_b32_e32 v17, 0
	s_waitcnt lgkmcnt(0)
	s_barrier
	ds_read_u16 v18, v17
	v_add_f16_e32 v16, v16, v14
	v_cndmask_b32_e64 v14, v16, v14, s[0:1]
	s_waitcnt lgkmcnt(0)
	v_add_f16_e32 v14, v18, v14
	v_add_f16_e32 v1, v1, v14
	;; [unrolled: 1-line block ×5, first 2 shown]
	global_store_short v[2:3], v14, off
	global_store_short v[4:5], v1, off
	;; [unrolled: 1-line block ×5, first 2 shown]
	s_and_saveexec_b64 s[2:3], s[0:1]
	s_cbranch_execz .LBB209_10
; %bb.9:
	s_mov_b32 s7, 0
	s_lshl_b64 s[0:1], s[6:7], 1
	s_add_u32 s0, s10, s0
	s_addc_u32 s1, s11, s1
	global_store_short v17, v0, s[0:1]
.LBB209_10:
	s_endpgm
	.section	.rodata,"a",@progbits
	.p2align	6, 0x0
	.amdhsa_kernel _Z43inclusive_scan_array_prefix_callback_kernelILj65ELj5ELN6hipcub18BlockScanAlgorithmE1E6__halfEvPT2_S4_S3_
		.amdhsa_group_segment_fixed_size 264
		.amdhsa_private_segment_fixed_size 0
		.amdhsa_kernarg_size 20
		.amdhsa_user_sgpr_count 6
		.amdhsa_user_sgpr_private_segment_buffer 1
		.amdhsa_user_sgpr_dispatch_ptr 0
		.amdhsa_user_sgpr_queue_ptr 0
		.amdhsa_user_sgpr_kernarg_segment_ptr 1
		.amdhsa_user_sgpr_dispatch_id 0
		.amdhsa_user_sgpr_flat_scratch_init 0
		.amdhsa_user_sgpr_kernarg_preload_length 0
		.amdhsa_user_sgpr_kernarg_preload_offset 0
		.amdhsa_user_sgpr_private_segment_size 0
		.amdhsa_uses_dynamic_stack 0
		.amdhsa_system_sgpr_private_segment_wavefront_offset 0
		.amdhsa_system_sgpr_workgroup_id_x 1
		.amdhsa_system_sgpr_workgroup_id_y 0
		.amdhsa_system_sgpr_workgroup_id_z 0
		.amdhsa_system_sgpr_workgroup_info 0
		.amdhsa_system_vgpr_workitem_id 0
		.amdhsa_next_free_vgpr 24
		.amdhsa_next_free_sgpr 12
		.amdhsa_accum_offset 24
		.amdhsa_reserve_vcc 1
		.amdhsa_reserve_flat_scratch 0
		.amdhsa_float_round_mode_32 0
		.amdhsa_float_round_mode_16_64 0
		.amdhsa_float_denorm_mode_32 3
		.amdhsa_float_denorm_mode_16_64 3
		.amdhsa_dx10_clamp 1
		.amdhsa_ieee_mode 1
		.amdhsa_fp16_overflow 0
		.amdhsa_tg_split 0
		.amdhsa_exception_fp_ieee_invalid_op 0
		.amdhsa_exception_fp_denorm_src 0
		.amdhsa_exception_fp_ieee_div_zero 0
		.amdhsa_exception_fp_ieee_overflow 0
		.amdhsa_exception_fp_ieee_underflow 0
		.amdhsa_exception_fp_ieee_inexact 0
		.amdhsa_exception_int_div_zero 0
	.end_amdhsa_kernel
	.section	.text._Z43inclusive_scan_array_prefix_callback_kernelILj65ELj5ELN6hipcub18BlockScanAlgorithmE1E6__halfEvPT2_S4_S3_,"axG",@progbits,_Z43inclusive_scan_array_prefix_callback_kernelILj65ELj5ELN6hipcub18BlockScanAlgorithmE1E6__halfEvPT2_S4_S3_,comdat
.Lfunc_end209:
	.size	_Z43inclusive_scan_array_prefix_callback_kernelILj65ELj5ELN6hipcub18BlockScanAlgorithmE1E6__halfEvPT2_S4_S3_, .Lfunc_end209-_Z43inclusive_scan_array_prefix_callback_kernelILj65ELj5ELN6hipcub18BlockScanAlgorithmE1E6__halfEvPT2_S4_S3_
                                        ; -- End function
	.section	.AMDGPU.csdata,"",@progbits
; Kernel info:
; codeLenInByte = 900
; NumSgprs: 16
; NumVgprs: 24
; NumAgprs: 0
; TotalNumVgprs: 24
; ScratchSize: 0
; MemoryBound: 0
; FloatMode: 240
; IeeeMode: 1
; LDSByteSize: 264 bytes/workgroup (compile time only)
; SGPRBlocks: 1
; VGPRBlocks: 2
; NumSGPRsForWavesPerEU: 16
; NumVGPRsForWavesPerEU: 24
; AccumOffset: 24
; Occupancy: 8
; WaveLimiterHint : 0
; COMPUTE_PGM_RSRC2:SCRATCH_EN: 0
; COMPUTE_PGM_RSRC2:USER_SGPR: 6
; COMPUTE_PGM_RSRC2:TRAP_HANDLER: 0
; COMPUTE_PGM_RSRC2:TGID_X_EN: 1
; COMPUTE_PGM_RSRC2:TGID_Y_EN: 0
; COMPUTE_PGM_RSRC2:TGID_Z_EN: 0
; COMPUTE_PGM_RSRC2:TIDIG_COMP_CNT: 0
; COMPUTE_PGM_RSRC3_GFX90A:ACCUM_OFFSET: 5
; COMPUTE_PGM_RSRC3_GFX90A:TG_SPLIT: 0
	.section	.text._Z43inclusive_scan_array_prefix_callback_kernelILj255ELj15ELN6hipcub18BlockScanAlgorithmE1EfEvPT2_S3_S2_,"axG",@progbits,_Z43inclusive_scan_array_prefix_callback_kernelILj255ELj15ELN6hipcub18BlockScanAlgorithmE1EfEvPT2_S3_S2_,comdat
	.protected	_Z43inclusive_scan_array_prefix_callback_kernelILj255ELj15ELN6hipcub18BlockScanAlgorithmE1EfEvPT2_S3_S2_ ; -- Begin function _Z43inclusive_scan_array_prefix_callback_kernelILj255ELj15ELN6hipcub18BlockScanAlgorithmE1EfEvPT2_S3_S2_
	.globl	_Z43inclusive_scan_array_prefix_callback_kernelILj255ELj15ELN6hipcub18BlockScanAlgorithmE1EfEvPT2_S3_S2_
	.p2align	8
	.type	_Z43inclusive_scan_array_prefix_callback_kernelILj255ELj15ELN6hipcub18BlockScanAlgorithmE1EfEvPT2_S3_S2_,@function
_Z43inclusive_scan_array_prefix_callback_kernelILj255ELj15ELN6hipcub18BlockScanAlgorithmE1EfEvPT2_S3_S2_: ; @_Z43inclusive_scan_array_prefix_callback_kernelILj255ELj15ELN6hipcub18BlockScanAlgorithmE1EfEvPT2_S3_S2_
; %bb.0:
	s_load_dwordx4 s[8:11], s[4:5], 0x0
	s_mul_i32 s0, s6, 0xff
	v_add_u32_e32 v1, s0, v0
	v_mul_lo_u32 v30, v1, 15
	v_mov_b32_e32 v31, 0
	v_lshlrev_b64 v[2:3], 2, v[30:31]
	s_waitcnt lgkmcnt(0)
	v_mov_b32_e32 v1, s9
	v_add_co_u32_e32 v2, vcc, s8, v2
	v_add_u32_e32 v4, 1, v30
	v_mov_b32_e32 v5, v31
	v_addc_co_u32_e32 v3, vcc, v1, v3, vcc
	v_lshlrev_b64 v[4:5], 2, v[4:5]
	v_add_co_u32_e32 v4, vcc, s8, v4
	v_add_u32_e32 v6, 2, v30
	v_mov_b32_e32 v7, v31
	v_addc_co_u32_e32 v5, vcc, v1, v5, vcc
	v_lshlrev_b64 v[6:7], 2, v[6:7]
	;; [unrolled: 5-line block ×8, first 2 shown]
	v_mov_b32_e32 v20, s9
	v_add_co_u32_e32 v18, vcc, s8, v18
	v_addc_co_u32_e32 v19, vcc, v20, v19, vcc
	v_add_u32_e32 v20, 9, v30
	v_mov_b32_e32 v21, v31
	v_lshlrev_b64 v[20:21], 2, v[20:21]
	v_mov_b32_e32 v22, s9
	v_add_co_u32_e32 v20, vcc, s8, v20
	v_addc_co_u32_e32 v21, vcc, v22, v21, vcc
	v_add_u32_e32 v22, 10, v30
	v_mov_b32_e32 v23, v31
	v_lshlrev_b64 v[22:23], 2, v[22:23]
	;; [unrolled: 6-line block ×3, first 2 shown]
	v_mov_b32_e32 v26, s9
	v_add_co_u32_e32 v24, vcc, s8, v24
	v_addc_co_u32_e32 v25, vcc, v26, v25, vcc
	v_add_u32_e32 v26, 12, v30
	v_mov_b32_e32 v27, v31
	global_load_dword v37, v[2:3], off
	global_load_dword v1, v[4:5], off
	;; [unrolled: 1-line block ×8, first 2 shown]
	v_lshlrev_b64 v[26:27], 2, v[26:27]
	v_mov_b32_e32 v28, s9
	v_add_co_u32_e32 v26, vcc, s8, v26
	v_addc_co_u32_e32 v27, vcc, v28, v27, vcc
	v_add_u32_e32 v28, 13, v30
	v_mov_b32_e32 v29, v31
	v_lshlrev_b64 v[28:29], 2, v[28:29]
	v_mov_b32_e32 v39, s9
	v_add_co_u32_e32 v28, vcc, s8, v28
	v_add_u32_e32 v30, 14, v30
	v_addc_co_u32_e32 v29, vcc, v39, v29, vcc
	v_lshlrev_b64 v[30:31], 2, v[30:31]
	v_add_co_u32_e32 v30, vcc, s8, v30
	v_addc_co_u32_e32 v31, vcc, v39, v31, vcc
	global_load_dword v39, v[18:19], off
	global_load_dword v40, v[20:21], off
	;; [unrolled: 1-line block ×7, first 2 shown]
	v_lshrrev_b32_e32 v47, 5, v0
	v_add_lshl_u32 v47, v47, v0, 2
	v_cmp_gt_u32_e32 vcc, 64, v0
	s_waitcnt vmcnt(13)
	v_add_f32_e32 v46, v37, v1
	s_waitcnt vmcnt(12)
	v_add_f32_e32 v46, v32, v46
	;; [unrolled: 2-line block ×14, first 2 shown]
	ds_write_b32 v47, v46
	s_waitcnt lgkmcnt(0)
	s_barrier
	s_and_saveexec_b64 s[2:3], vcc
	s_cbranch_execz .LBB210_2
; %bb.1:
	v_lshlrev_b32_e32 v47, 2, v0
	v_lshrrev_b32_e32 v48, 3, v0
	v_add_lshl_u32 v47, v48, v47, 2
	ds_read2_b32 v[48:49], v47 offset1:1
	ds_read2_b32 v[50:51], v47 offset0:2 offset1:3
	v_mbcnt_lo_u32_b32 v52, -1, 0
	v_mbcnt_hi_u32_b32 v52, -1, v52
	v_and_b32_e32 v54, 15, v52
	s_waitcnt lgkmcnt(1)
	v_add_f32_e32 v53, v48, v49
	s_waitcnt lgkmcnt(0)
	v_add_f32_e32 v53, v53, v50
	v_add_f32_e32 v53, v53, v51
	v_cmp_eq_u32_e64 s[0:1], 0, v54
	s_nop 0
	v_mov_b32_dpp v55, v53 row_shr:1 row_mask:0xf bank_mask:0xf
	v_add_f32_e32 v55, v53, v55
	v_cndmask_b32_e64 v53, v55, v53, s[0:1]
	v_cmp_lt_u32_e64 s[0:1], 1, v54
	s_nop 0
	v_mov_b32_dpp v55, v53 row_shr:2 row_mask:0xf bank_mask:0xf
	v_add_f32_e32 v55, v53, v55
	v_cndmask_b32_e64 v53, v53, v55, s[0:1]
	v_cmp_lt_u32_e64 s[0:1], 3, v54
	;; [unrolled: 5-line block ×3, first 2 shown]
	s_nop 0
	v_mov_b32_dpp v55, v53 row_shr:8 row_mask:0xf bank_mask:0xf
	v_add_f32_e32 v55, v53, v55
	v_cndmask_b32_e64 v53, v53, v55, s[0:1]
	v_and_b32_e32 v55, 16, v52
	v_cmp_eq_u32_e64 s[0:1], 0, v55
	v_mov_b32_dpp v54, v53 row_bcast:15 row_mask:0xf bank_mask:0xf
	v_add_f32_e32 v54, v53, v54
	v_cndmask_b32_e64 v53, v54, v53, s[0:1]
	v_cmp_lt_u32_e64 s[0:1], 31, v52
	v_and_b32_e32 v55, 64, v52
	v_mov_b32_dpp v54, v53 row_bcast:31 row_mask:0xf bank_mask:0xf
	v_add_f32_e32 v54, v53, v54
	v_cndmask_b32_e64 v53, v53, v54, s[0:1]
	v_add_u32_e32 v54, -1, v52
	v_cmp_lt_i32_e64 s[0:1], v54, v55
	v_cndmask_b32_e64 v52, v54, v52, s[0:1]
	v_lshlrev_b32_e32 v52, 2, v52
	ds_bpermute_b32 v52, v52, v53
	v_cmp_eq_u32_e64 s[0:1], 0, v0
	s_waitcnt lgkmcnt(0)
	v_add_f32_e32 v48, v48, v52
	v_cndmask_b32_e64 v48, v48, v46, s[0:1]
	v_add_f32_e32 v49, v49, v48
	ds_write2_b32 v47, v48, v49 offset1:1
	v_add_f32_e32 v48, v50, v49
	v_add_f32_e32 v49, v51, v48
	ds_write2_b32 v47, v48, v49 offset0:2 offset1:3
.LBB210_2:
	s_or_b64 exec, exec, s[2:3]
	v_cmp_eq_u32_e64 s[0:1], 0, v0
	v_cmp_ne_u32_e64 s[2:3], 0, v0
	s_waitcnt lgkmcnt(0)
	s_barrier
	s_and_saveexec_b64 s[8:9], s[2:3]
	s_cbranch_execz .LBB210_4
; %bb.3:
	v_add_u32_e32 v0, -1, v0
	v_lshrrev_b32_e32 v46, 5, v0
	v_add_lshl_u32 v0, v46, v0, 2
	ds_read_b32 v46, v0
.LBB210_4:
	s_or_b64 exec, exec, s[8:9]
	s_load_dword s7, s[4:5], 0x10
	s_waitcnt lgkmcnt(0)
	v_mov_b32_e32 v0, s7
	s_and_saveexec_b64 s[2:3], vcc
	s_cbranch_execz .LBB210_8
; %bb.5:
	v_mov_b32_e32 v47, 0
	ds_read_b32 v0, v47 offset:1044
	s_and_saveexec_b64 s[4:5], s[0:1]
	s_cbranch_execz .LBB210_7
; %bb.6:
	v_mov_b32_e32 v48, s7
	ds_write_b32 v47, v48
.LBB210_7:
	s_or_b64 exec, exec, s[4:5]
	s_waitcnt lgkmcnt(0)
	v_add_f32_e32 v0, s7, v0
.LBB210_8:
	s_or_b64 exec, exec, s[2:3]
	v_mov_b32_e32 v47, 0
	s_barrier
	ds_read_b32 v48, v47
	v_add_f32_e32 v46, v37, v46
	v_cndmask_b32_e64 v37, v46, v37, s[0:1]
	s_waitcnt lgkmcnt(0)
	v_add_f32_e32 v37, v37, v48
	v_add_f32_e32 v1, v1, v37
	;; [unrolled: 1-line block ×15, first 2 shown]
	global_store_dword v[2:3], v37, off
	global_store_dword v[4:5], v1, off
	;; [unrolled: 1-line block ×15, first 2 shown]
	s_and_saveexec_b64 s[2:3], s[0:1]
	s_cbranch_execz .LBB210_10
; %bb.9:
	s_mov_b32 s7, 0
	s_lshl_b64 s[0:1], s[6:7], 2
	s_add_u32 s0, s10, s0
	s_addc_u32 s1, s11, s1
	global_store_dword v47, v0, s[0:1]
.LBB210_10:
	s_endpgm
	.section	.rodata,"a",@progbits
	.p2align	6, 0x0
	.amdhsa_kernel _Z43inclusive_scan_array_prefix_callback_kernelILj255ELj15ELN6hipcub18BlockScanAlgorithmE1EfEvPT2_S3_S2_
		.amdhsa_group_segment_fixed_size 1056
		.amdhsa_private_segment_fixed_size 0
		.amdhsa_kernarg_size 20
		.amdhsa_user_sgpr_count 6
		.amdhsa_user_sgpr_private_segment_buffer 1
		.amdhsa_user_sgpr_dispatch_ptr 0
		.amdhsa_user_sgpr_queue_ptr 0
		.amdhsa_user_sgpr_kernarg_segment_ptr 1
		.amdhsa_user_sgpr_dispatch_id 0
		.amdhsa_user_sgpr_flat_scratch_init 0
		.amdhsa_user_sgpr_kernarg_preload_length 0
		.amdhsa_user_sgpr_kernarg_preload_offset 0
		.amdhsa_user_sgpr_private_segment_size 0
		.amdhsa_uses_dynamic_stack 0
		.amdhsa_system_sgpr_private_segment_wavefront_offset 0
		.amdhsa_system_sgpr_workgroup_id_x 1
		.amdhsa_system_sgpr_workgroup_id_y 0
		.amdhsa_system_sgpr_workgroup_id_z 0
		.amdhsa_system_sgpr_workgroup_info 0
		.amdhsa_system_vgpr_workitem_id 0
		.amdhsa_next_free_vgpr 56
		.amdhsa_next_free_sgpr 12
		.amdhsa_accum_offset 56
		.amdhsa_reserve_vcc 1
		.amdhsa_reserve_flat_scratch 0
		.amdhsa_float_round_mode_32 0
		.amdhsa_float_round_mode_16_64 0
		.amdhsa_float_denorm_mode_32 3
		.amdhsa_float_denorm_mode_16_64 3
		.amdhsa_dx10_clamp 1
		.amdhsa_ieee_mode 1
		.amdhsa_fp16_overflow 0
		.amdhsa_tg_split 0
		.amdhsa_exception_fp_ieee_invalid_op 0
		.amdhsa_exception_fp_denorm_src 0
		.amdhsa_exception_fp_ieee_div_zero 0
		.amdhsa_exception_fp_ieee_overflow 0
		.amdhsa_exception_fp_ieee_underflow 0
		.amdhsa_exception_fp_ieee_inexact 0
		.amdhsa_exception_int_div_zero 0
	.end_amdhsa_kernel
	.section	.text._Z43inclusive_scan_array_prefix_callback_kernelILj255ELj15ELN6hipcub18BlockScanAlgorithmE1EfEvPT2_S3_S2_,"axG",@progbits,_Z43inclusive_scan_array_prefix_callback_kernelILj255ELj15ELN6hipcub18BlockScanAlgorithmE1EfEvPT2_S3_S2_,comdat
.Lfunc_end210:
	.size	_Z43inclusive_scan_array_prefix_callback_kernelILj255ELj15ELN6hipcub18BlockScanAlgorithmE1EfEvPT2_S3_S2_, .Lfunc_end210-_Z43inclusive_scan_array_prefix_callback_kernelILj255ELj15ELN6hipcub18BlockScanAlgorithmE1EfEvPT2_S3_S2_
                                        ; -- End function
	.section	.AMDGPU.csdata,"",@progbits
; Kernel info:
; codeLenInByte = 1416
; NumSgprs: 16
; NumVgprs: 56
; NumAgprs: 0
; TotalNumVgprs: 56
; ScratchSize: 0
; MemoryBound: 0
; FloatMode: 240
; IeeeMode: 1
; LDSByteSize: 1056 bytes/workgroup (compile time only)
; SGPRBlocks: 1
; VGPRBlocks: 6
; NumSGPRsForWavesPerEU: 16
; NumVGPRsForWavesPerEU: 56
; AccumOffset: 56
; Occupancy: 8
; WaveLimiterHint : 0
; COMPUTE_PGM_RSRC2:SCRATCH_EN: 0
; COMPUTE_PGM_RSRC2:USER_SGPR: 6
; COMPUTE_PGM_RSRC2:TRAP_HANDLER: 0
; COMPUTE_PGM_RSRC2:TGID_X_EN: 1
; COMPUTE_PGM_RSRC2:TGID_Y_EN: 0
; COMPUTE_PGM_RSRC2:TGID_Z_EN: 0
; COMPUTE_PGM_RSRC2:TIDIG_COMP_CNT: 0
; COMPUTE_PGM_RSRC3_GFX90A:ACCUM_OFFSET: 13
; COMPUTE_PGM_RSRC3_GFX90A:TG_SPLIT: 0
	.section	.text._Z43inclusive_scan_array_prefix_callback_kernelILj162ELj7ELN6hipcub18BlockScanAlgorithmE1EfEvPT2_S3_S2_,"axG",@progbits,_Z43inclusive_scan_array_prefix_callback_kernelILj162ELj7ELN6hipcub18BlockScanAlgorithmE1EfEvPT2_S3_S2_,comdat
	.protected	_Z43inclusive_scan_array_prefix_callback_kernelILj162ELj7ELN6hipcub18BlockScanAlgorithmE1EfEvPT2_S3_S2_ ; -- Begin function _Z43inclusive_scan_array_prefix_callback_kernelILj162ELj7ELN6hipcub18BlockScanAlgorithmE1EfEvPT2_S3_S2_
	.globl	_Z43inclusive_scan_array_prefix_callback_kernelILj162ELj7ELN6hipcub18BlockScanAlgorithmE1EfEvPT2_S3_S2_
	.p2align	8
	.type	_Z43inclusive_scan_array_prefix_callback_kernelILj162ELj7ELN6hipcub18BlockScanAlgorithmE1EfEvPT2_S3_S2_,@function
_Z43inclusive_scan_array_prefix_callback_kernelILj162ELj7ELN6hipcub18BlockScanAlgorithmE1EfEvPT2_S3_S2_: ; @_Z43inclusive_scan_array_prefix_callback_kernelILj162ELj7ELN6hipcub18BlockScanAlgorithmE1EfEvPT2_S3_S2_
; %bb.0:
	s_load_dwordx4 s[8:11], s[4:5], 0x0
	s_mul_i32 s0, s6, 0xa2
	v_add_u32_e32 v1, s0, v0
	v_mul_lo_u32 v14, v1, 7
	v_mov_b32_e32 v15, 0
	v_lshlrev_b64 v[2:3], 2, v[14:15]
	s_waitcnt lgkmcnt(0)
	v_mov_b32_e32 v1, s9
	v_add_co_u32_e32 v2, vcc, s8, v2
	v_add_u32_e32 v4, 1, v14
	v_mov_b32_e32 v5, v15
	v_addc_co_u32_e32 v3, vcc, v1, v3, vcc
	v_lshlrev_b64 v[4:5], 2, v[4:5]
	v_add_co_u32_e32 v4, vcc, s8, v4
	v_add_u32_e32 v6, 2, v14
	v_mov_b32_e32 v7, v15
	v_addc_co_u32_e32 v5, vcc, v1, v5, vcc
	v_lshlrev_b64 v[6:7], 2, v[6:7]
	v_add_co_u32_e32 v6, vcc, s8, v6
	v_add_u32_e32 v8, 3, v14
	v_mov_b32_e32 v9, v15
	v_addc_co_u32_e32 v7, vcc, v1, v7, vcc
	v_lshlrev_b64 v[8:9], 2, v[8:9]
	v_add_co_u32_e32 v8, vcc, s8, v8
	v_add_u32_e32 v10, 4, v14
	v_mov_b32_e32 v11, v15
	v_addc_co_u32_e32 v9, vcc, v1, v9, vcc
	v_lshlrev_b64 v[10:11], 2, v[10:11]
	v_add_co_u32_e32 v10, vcc, s8, v10
	v_add_u32_e32 v12, 5, v14
	v_mov_b32_e32 v13, v15
	v_addc_co_u32_e32 v11, vcc, v1, v11, vcc
	v_lshlrev_b64 v[12:13], 2, v[12:13]
	v_add_co_u32_e32 v12, vcc, s8, v12
	v_add_u32_e32 v14, 6, v14
	v_addc_co_u32_e32 v13, vcc, v1, v13, vcc
	v_lshlrev_b64 v[14:15], 2, v[14:15]
	v_add_co_u32_e32 v14, vcc, s8, v14
	v_addc_co_u32_e32 v15, vcc, v1, v15, vcc
	global_load_dword v20, v[2:3], off
	global_load_dword v1, v[4:5], off
	;; [unrolled: 1-line block ×7, first 2 shown]
	v_lshlrev_b32_e32 v23, 2, v0
	v_cmp_gt_u32_e32 vcc, 64, v0
	s_waitcnt vmcnt(5)
	v_add_f32_e32 v22, v20, v1
	s_waitcnt vmcnt(4)
	v_add_f32_e32 v22, v16, v22
	;; [unrolled: 2-line block ×6, first 2 shown]
	ds_write_b32 v23, v22
	s_waitcnt lgkmcnt(0)
	s_barrier
	s_and_saveexec_b64 s[2:3], vcc
	s_cbranch_execz .LBB211_2
; %bb.1:
	v_mul_u32_u24_e32 v24, 3, v0
	v_lshlrev_b32_e32 v26, 2, v24
	ds_read2_b32 v[24:25], v26 offset1:1
	ds_read_b32 v27, v26 offset:8
	v_mbcnt_lo_u32_b32 v28, -1, 0
	v_mbcnt_hi_u32_b32 v28, -1, v28
	v_and_b32_e32 v29, 15, v28
	s_waitcnt lgkmcnt(1)
	v_add_f32_e32 v30, v24, v25
	s_waitcnt lgkmcnt(0)
	v_add_f32_e32 v30, v30, v27
	v_cmp_eq_u32_e64 s[0:1], 0, v29
	s_nop 0
	v_mov_b32_dpp v31, v30 row_shr:1 row_mask:0xf bank_mask:0xf
	v_add_f32_e32 v31, v30, v31
	v_cndmask_b32_e64 v30, v31, v30, s[0:1]
	v_cmp_lt_u32_e64 s[0:1], 1, v29
	s_nop 0
	v_mov_b32_dpp v31, v30 row_shr:2 row_mask:0xf bank_mask:0xf
	v_add_f32_e32 v31, v30, v31
	v_cndmask_b32_e64 v30, v30, v31, s[0:1]
	v_cmp_lt_u32_e64 s[0:1], 3, v29
	;; [unrolled: 5-line block ×3, first 2 shown]
	s_nop 0
	v_mov_b32_dpp v31, v30 row_shr:8 row_mask:0xf bank_mask:0xf
	v_add_f32_e32 v31, v30, v31
	v_cndmask_b32_e64 v29, v30, v31, s[0:1]
	v_and_b32_e32 v31, 16, v28
	v_cmp_eq_u32_e64 s[0:1], 0, v31
	v_mov_b32_dpp v30, v29 row_bcast:15 row_mask:0xf bank_mask:0xf
	v_add_f32_e32 v30, v29, v30
	v_cndmask_b32_e64 v29, v30, v29, s[0:1]
	v_cmp_lt_u32_e64 s[0:1], 31, v28
	v_and_b32_e32 v31, 64, v28
	v_mov_b32_dpp v30, v29 row_bcast:31 row_mask:0xf bank_mask:0xf
	v_add_f32_e32 v30, v29, v30
	v_cndmask_b32_e64 v29, v29, v30, s[0:1]
	v_add_u32_e32 v30, -1, v28
	v_cmp_lt_i32_e64 s[0:1], v30, v31
	v_cndmask_b32_e64 v28, v30, v28, s[0:1]
	v_lshlrev_b32_e32 v28, 2, v28
	ds_bpermute_b32 v28, v28, v29
	v_cmp_eq_u32_e64 s[0:1], 0, v0
	s_waitcnt lgkmcnt(0)
	v_add_f32_e32 v24, v24, v28
	v_cndmask_b32_e64 v24, v24, v22, s[0:1]
	v_add_f32_e32 v25, v25, v24
	ds_write2_b32 v26, v24, v25 offset1:1
	v_add_f32_e32 v24, v27, v25
	ds_write_b32 v26, v24 offset:8
.LBB211_2:
	s_or_b64 exec, exec, s[2:3]
	v_cmp_eq_u32_e64 s[0:1], 0, v0
	v_cmp_ne_u32_e64 s[2:3], 0, v0
	s_waitcnt lgkmcnt(0)
	s_barrier
	s_and_saveexec_b64 s[8:9], s[2:3]
	s_cbranch_execz .LBB211_4
; %bb.3:
	v_add_u32_e32 v0, -4, v23
	ds_read_b32 v22, v0
.LBB211_4:
	s_or_b64 exec, exec, s[8:9]
	s_load_dword s7, s[4:5], 0x10
	s_waitcnt lgkmcnt(0)
	v_mov_b32_e32 v0, s7
	s_and_saveexec_b64 s[2:3], vcc
	s_cbranch_execz .LBB211_8
; %bb.5:
	v_mov_b32_e32 v23, 0
	ds_read_b32 v0, v23 offset:644
	s_and_saveexec_b64 s[4:5], s[0:1]
	s_cbranch_execz .LBB211_7
; %bb.6:
	v_mov_b32_e32 v24, s7
	ds_write_b32 v23, v24
.LBB211_7:
	s_or_b64 exec, exec, s[4:5]
	s_waitcnt lgkmcnt(0)
	v_add_f32_e32 v0, s7, v0
.LBB211_8:
	s_or_b64 exec, exec, s[2:3]
	v_mov_b32_e32 v23, 0
	s_barrier
	ds_read_b32 v24, v23
	v_add_f32_e32 v22, v20, v22
	v_cndmask_b32_e64 v20, v22, v20, s[0:1]
	s_waitcnt lgkmcnt(0)
	v_add_f32_e32 v20, v20, v24
	v_add_f32_e32 v1, v1, v20
	;; [unrolled: 1-line block ×7, first 2 shown]
	global_store_dword v[2:3], v20, off
	global_store_dword v[4:5], v1, off
	;; [unrolled: 1-line block ×7, first 2 shown]
	s_and_saveexec_b64 s[2:3], s[0:1]
	s_cbranch_execz .LBB211_10
; %bb.9:
	s_mov_b32 s7, 0
	s_lshl_b64 s[0:1], s[6:7], 2
	s_add_u32 s0, s10, s0
	s_addc_u32 s1, s11, s1
	global_store_dword v23, v0, s[0:1]
.LBB211_10:
	s_endpgm
	.section	.rodata,"a",@progbits
	.p2align	6, 0x0
	.amdhsa_kernel _Z43inclusive_scan_array_prefix_callback_kernelILj162ELj7ELN6hipcub18BlockScanAlgorithmE1EfEvPT2_S3_S2_
		.amdhsa_group_segment_fixed_size 768
		.amdhsa_private_segment_fixed_size 0
		.amdhsa_kernarg_size 20
		.amdhsa_user_sgpr_count 6
		.amdhsa_user_sgpr_private_segment_buffer 1
		.amdhsa_user_sgpr_dispatch_ptr 0
		.amdhsa_user_sgpr_queue_ptr 0
		.amdhsa_user_sgpr_kernarg_segment_ptr 1
		.amdhsa_user_sgpr_dispatch_id 0
		.amdhsa_user_sgpr_flat_scratch_init 0
		.amdhsa_user_sgpr_kernarg_preload_length 0
		.amdhsa_user_sgpr_kernarg_preload_offset 0
		.amdhsa_user_sgpr_private_segment_size 0
		.amdhsa_uses_dynamic_stack 0
		.amdhsa_system_sgpr_private_segment_wavefront_offset 0
		.amdhsa_system_sgpr_workgroup_id_x 1
		.amdhsa_system_sgpr_workgroup_id_y 0
		.amdhsa_system_sgpr_workgroup_id_z 0
		.amdhsa_system_sgpr_workgroup_info 0
		.amdhsa_system_vgpr_workitem_id 0
		.amdhsa_next_free_vgpr 32
		.amdhsa_next_free_sgpr 12
		.amdhsa_accum_offset 32
		.amdhsa_reserve_vcc 1
		.amdhsa_reserve_flat_scratch 0
		.amdhsa_float_round_mode_32 0
		.amdhsa_float_round_mode_16_64 0
		.amdhsa_float_denorm_mode_32 3
		.amdhsa_float_denorm_mode_16_64 3
		.amdhsa_dx10_clamp 1
		.amdhsa_ieee_mode 1
		.amdhsa_fp16_overflow 0
		.amdhsa_tg_split 0
		.amdhsa_exception_fp_ieee_invalid_op 0
		.amdhsa_exception_fp_denorm_src 0
		.amdhsa_exception_fp_ieee_div_zero 0
		.amdhsa_exception_fp_ieee_overflow 0
		.amdhsa_exception_fp_ieee_underflow 0
		.amdhsa_exception_fp_ieee_inexact 0
		.amdhsa_exception_int_div_zero 0
	.end_amdhsa_kernel
	.section	.text._Z43inclusive_scan_array_prefix_callback_kernelILj162ELj7ELN6hipcub18BlockScanAlgorithmE1EfEvPT2_S3_S2_,"axG",@progbits,_Z43inclusive_scan_array_prefix_callback_kernelILj162ELj7ELN6hipcub18BlockScanAlgorithmE1EfEvPT2_S3_S2_,comdat
.Lfunc_end211:
	.size	_Z43inclusive_scan_array_prefix_callback_kernelILj162ELj7ELN6hipcub18BlockScanAlgorithmE1EfEvPT2_S3_S2_, .Lfunc_end211-_Z43inclusive_scan_array_prefix_callback_kernelILj162ELj7ELN6hipcub18BlockScanAlgorithmE1EfEvPT2_S3_S2_
                                        ; -- End function
	.section	.AMDGPU.csdata,"",@progbits
; Kernel info:
; codeLenInByte = 940
; NumSgprs: 16
; NumVgprs: 32
; NumAgprs: 0
; TotalNumVgprs: 32
; ScratchSize: 0
; MemoryBound: 0
; FloatMode: 240
; IeeeMode: 1
; LDSByteSize: 768 bytes/workgroup (compile time only)
; SGPRBlocks: 1
; VGPRBlocks: 3
; NumSGPRsForWavesPerEU: 16
; NumVGPRsForWavesPerEU: 32
; AccumOffset: 32
; Occupancy: 8
; WaveLimiterHint : 0
; COMPUTE_PGM_RSRC2:SCRATCH_EN: 0
; COMPUTE_PGM_RSRC2:USER_SGPR: 6
; COMPUTE_PGM_RSRC2:TRAP_HANDLER: 0
; COMPUTE_PGM_RSRC2:TGID_X_EN: 1
; COMPUTE_PGM_RSRC2:TGID_Y_EN: 0
; COMPUTE_PGM_RSRC2:TGID_Z_EN: 0
; COMPUTE_PGM_RSRC2:TIDIG_COMP_CNT: 0
; COMPUTE_PGM_RSRC3_GFX90A:ACCUM_OFFSET: 7
; COMPUTE_PGM_RSRC3_GFX90A:TG_SPLIT: 0
	.section	.text._Z43inclusive_scan_array_prefix_callback_kernelILj65ELj5ELN6hipcub18BlockScanAlgorithmE1EfEvPT2_S3_S2_,"axG",@progbits,_Z43inclusive_scan_array_prefix_callback_kernelILj65ELj5ELN6hipcub18BlockScanAlgorithmE1EfEvPT2_S3_S2_,comdat
	.protected	_Z43inclusive_scan_array_prefix_callback_kernelILj65ELj5ELN6hipcub18BlockScanAlgorithmE1EfEvPT2_S3_S2_ ; -- Begin function _Z43inclusive_scan_array_prefix_callback_kernelILj65ELj5ELN6hipcub18BlockScanAlgorithmE1EfEvPT2_S3_S2_
	.globl	_Z43inclusive_scan_array_prefix_callback_kernelILj65ELj5ELN6hipcub18BlockScanAlgorithmE1EfEvPT2_S3_S2_
	.p2align	8
	.type	_Z43inclusive_scan_array_prefix_callback_kernelILj65ELj5ELN6hipcub18BlockScanAlgorithmE1EfEvPT2_S3_S2_,@function
_Z43inclusive_scan_array_prefix_callback_kernelILj65ELj5ELN6hipcub18BlockScanAlgorithmE1EfEvPT2_S3_S2_: ; @_Z43inclusive_scan_array_prefix_callback_kernelILj65ELj5ELN6hipcub18BlockScanAlgorithmE1EfEvPT2_S3_S2_
; %bb.0:
	s_load_dwordx4 s[8:11], s[4:5], 0x0
	s_mul_i32 s0, s6, 0x41
	v_add_u32_e32 v1, s0, v0
	v_lshl_add_u32 v10, v1, 2, v1
	v_mov_b32_e32 v11, 0
	v_lshlrev_b64 v[2:3], 2, v[10:11]
	s_waitcnt lgkmcnt(0)
	v_mov_b32_e32 v1, s9
	v_add_co_u32_e32 v2, vcc, s8, v2
	v_add_u32_e32 v4, 1, v10
	v_mov_b32_e32 v5, v11
	v_addc_co_u32_e32 v3, vcc, v1, v3, vcc
	v_lshlrev_b64 v[4:5], 2, v[4:5]
	v_add_co_u32_e32 v4, vcc, s8, v4
	v_add_u32_e32 v6, 2, v10
	v_mov_b32_e32 v7, v11
	v_addc_co_u32_e32 v5, vcc, v1, v5, vcc
	v_lshlrev_b64 v[6:7], 2, v[6:7]
	;; [unrolled: 5-line block ×3, first 2 shown]
	v_add_co_u32_e32 v8, vcc, s8, v8
	v_add_u32_e32 v10, 4, v10
	v_addc_co_u32_e32 v9, vcc, v1, v9, vcc
	v_lshlrev_b64 v[10:11], 2, v[10:11]
	v_add_co_u32_e32 v10, vcc, s8, v10
	v_addc_co_u32_e32 v11, vcc, v1, v11, vcc
	global_load_dword v14, v[2:3], off
	global_load_dword v1, v[4:5], off
	;; [unrolled: 1-line block ×5, first 2 shown]
	v_lshrrev_b32_e32 v16, 5, v0
	v_add_lshl_u32 v17, v16, v0, 2
	v_cmp_gt_u32_e32 vcc, 64, v0
	s_waitcnt vmcnt(3)
	v_add_f32_e32 v16, v14, v1
	s_waitcnt vmcnt(2)
	v_add_f32_e32 v16, v12, v16
	;; [unrolled: 2-line block ×4, first 2 shown]
	ds_write_b32 v17, v16
	s_waitcnt lgkmcnt(0)
	s_barrier
	s_and_saveexec_b64 s[2:3], vcc
	s_cbranch_execz .LBB212_2
; %bb.1:
	v_lshlrev_b32_e32 v17, 1, v0
	v_lshrrev_b32_e32 v18, 4, v0
	v_add_lshl_u32 v17, v18, v17, 2
	ds_read2_b32 v[18:19], v17 offset1:1
	v_mbcnt_lo_u32_b32 v20, -1, 0
	v_mbcnt_hi_u32_b32 v20, -1, v20
	v_and_b32_e32 v21, 15, v20
	v_cmp_eq_u32_e64 s[0:1], 0, v21
	s_waitcnt lgkmcnt(0)
	v_add_f32_e32 v22, v18, v19
	s_nop 1
	v_mov_b32_dpp v23, v22 row_shr:1 row_mask:0xf bank_mask:0xf
	v_add_f32_e32 v23, v22, v23
	v_cndmask_b32_e64 v22, v23, v22, s[0:1]
	v_cmp_lt_u32_e64 s[0:1], 1, v21
	s_nop 0
	v_mov_b32_dpp v23, v22 row_shr:2 row_mask:0xf bank_mask:0xf
	v_add_f32_e32 v23, v22, v23
	v_cndmask_b32_e64 v22, v22, v23, s[0:1]
	v_cmp_lt_u32_e64 s[0:1], 3, v21
	;; [unrolled: 5-line block ×3, first 2 shown]
	s_nop 0
	v_mov_b32_dpp v23, v22 row_shr:8 row_mask:0xf bank_mask:0xf
	v_add_f32_e32 v23, v22, v23
	v_cndmask_b32_e64 v21, v22, v23, s[0:1]
	v_and_b32_e32 v23, 16, v20
	v_cmp_eq_u32_e64 s[0:1], 0, v23
	v_mov_b32_dpp v22, v21 row_bcast:15 row_mask:0xf bank_mask:0xf
	v_add_f32_e32 v22, v21, v22
	v_cndmask_b32_e64 v21, v22, v21, s[0:1]
	v_cmp_lt_u32_e64 s[0:1], 31, v20
	v_and_b32_e32 v23, 64, v20
	v_mov_b32_dpp v22, v21 row_bcast:31 row_mask:0xf bank_mask:0xf
	v_add_f32_e32 v22, v21, v22
	v_cndmask_b32_e64 v21, v21, v22, s[0:1]
	v_add_u32_e32 v22, -1, v20
	v_cmp_lt_i32_e64 s[0:1], v22, v23
	v_cndmask_b32_e64 v20, v22, v20, s[0:1]
	v_lshlrev_b32_e32 v20, 2, v20
	ds_bpermute_b32 v20, v20, v21
	v_cmp_eq_u32_e64 s[0:1], 0, v0
	s_waitcnt lgkmcnt(0)
	v_add_f32_e32 v18, v18, v20
	v_cndmask_b32_e64 v18, v18, v16, s[0:1]
	v_add_f32_e32 v19, v19, v18
	ds_write2_b32 v17, v18, v19 offset1:1
.LBB212_2:
	s_or_b64 exec, exec, s[2:3]
	v_cmp_eq_u32_e64 s[0:1], 0, v0
	v_cmp_ne_u32_e64 s[2:3], 0, v0
	s_waitcnt lgkmcnt(0)
	s_barrier
	s_and_saveexec_b64 s[8:9], s[2:3]
	s_cbranch_execz .LBB212_4
; %bb.3:
	v_add_u32_e32 v0, -1, v0
	v_lshrrev_b32_e32 v16, 5, v0
	v_add_lshl_u32 v0, v16, v0, 2
	ds_read_b32 v16, v0
.LBB212_4:
	s_or_b64 exec, exec, s[8:9]
	s_load_dword s7, s[4:5], 0x10
	s_waitcnt lgkmcnt(0)
	v_mov_b32_e32 v0, s7
	s_and_saveexec_b64 s[2:3], vcc
	s_cbranch_execz .LBB212_8
; %bb.5:
	v_mov_b32_e32 v17, 0
	ds_read_b32 v0, v17 offset:264
	s_and_saveexec_b64 s[4:5], s[0:1]
	s_cbranch_execz .LBB212_7
; %bb.6:
	v_mov_b32_e32 v18, s7
	ds_write_b32 v17, v18
.LBB212_7:
	s_or_b64 exec, exec, s[4:5]
	s_waitcnt lgkmcnt(0)
	v_add_f32_e32 v0, s7, v0
.LBB212_8:
	s_or_b64 exec, exec, s[2:3]
	v_mov_b32_e32 v17, 0
	s_barrier
	ds_read_b32 v18, v17
	v_add_f32_e32 v16, v14, v16
	v_cndmask_b32_e64 v14, v16, v14, s[0:1]
	s_waitcnt lgkmcnt(0)
	v_add_f32_e32 v14, v14, v18
	v_add_f32_e32 v1, v1, v14
	v_add_f32_e32 v12, v12, v1
	v_add_f32_e32 v13, v13, v12
	v_add_f32_e32 v15, v15, v13
	global_store_dword v[2:3], v14, off
	global_store_dword v[4:5], v1, off
	;; [unrolled: 1-line block ×5, first 2 shown]
	s_and_saveexec_b64 s[2:3], s[0:1]
	s_cbranch_execz .LBB212_10
; %bb.9:
	s_mov_b32 s7, 0
	s_lshl_b64 s[0:1], s[6:7], 2
	s_add_u32 s0, s10, s0
	s_addc_u32 s1, s11, s1
	global_store_dword v17, v0, s[0:1]
.LBB212_10:
	s_endpgm
	.section	.rodata,"a",@progbits
	.p2align	6, 0x0
	.amdhsa_kernel _Z43inclusive_scan_array_prefix_callback_kernelILj65ELj5ELN6hipcub18BlockScanAlgorithmE1EfEvPT2_S3_S2_
		.amdhsa_group_segment_fixed_size 528
		.amdhsa_private_segment_fixed_size 0
		.amdhsa_kernarg_size 20
		.amdhsa_user_sgpr_count 6
		.amdhsa_user_sgpr_private_segment_buffer 1
		.amdhsa_user_sgpr_dispatch_ptr 0
		.amdhsa_user_sgpr_queue_ptr 0
		.amdhsa_user_sgpr_kernarg_segment_ptr 1
		.amdhsa_user_sgpr_dispatch_id 0
		.amdhsa_user_sgpr_flat_scratch_init 0
		.amdhsa_user_sgpr_kernarg_preload_length 0
		.amdhsa_user_sgpr_kernarg_preload_offset 0
		.amdhsa_user_sgpr_private_segment_size 0
		.amdhsa_uses_dynamic_stack 0
		.amdhsa_system_sgpr_private_segment_wavefront_offset 0
		.amdhsa_system_sgpr_workgroup_id_x 1
		.amdhsa_system_sgpr_workgroup_id_y 0
		.amdhsa_system_sgpr_workgroup_id_z 0
		.amdhsa_system_sgpr_workgroup_info 0
		.amdhsa_system_vgpr_workitem_id 0
		.amdhsa_next_free_vgpr 24
		.amdhsa_next_free_sgpr 12
		.amdhsa_accum_offset 24
		.amdhsa_reserve_vcc 1
		.amdhsa_reserve_flat_scratch 0
		.amdhsa_float_round_mode_32 0
		.amdhsa_float_round_mode_16_64 0
		.amdhsa_float_denorm_mode_32 3
		.amdhsa_float_denorm_mode_16_64 3
		.amdhsa_dx10_clamp 1
		.amdhsa_ieee_mode 1
		.amdhsa_fp16_overflow 0
		.amdhsa_tg_split 0
		.amdhsa_exception_fp_ieee_invalid_op 0
		.amdhsa_exception_fp_denorm_src 0
		.amdhsa_exception_fp_ieee_div_zero 0
		.amdhsa_exception_fp_ieee_overflow 0
		.amdhsa_exception_fp_ieee_underflow 0
		.amdhsa_exception_fp_ieee_inexact 0
		.amdhsa_exception_int_div_zero 0
	.end_amdhsa_kernel
	.section	.text._Z43inclusive_scan_array_prefix_callback_kernelILj65ELj5ELN6hipcub18BlockScanAlgorithmE1EfEvPT2_S3_S2_,"axG",@progbits,_Z43inclusive_scan_array_prefix_callback_kernelILj65ELj5ELN6hipcub18BlockScanAlgorithmE1EfEvPT2_S3_S2_,comdat
.Lfunc_end212:
	.size	_Z43inclusive_scan_array_prefix_callback_kernelILj65ELj5ELN6hipcub18BlockScanAlgorithmE1EfEvPT2_S3_S2_, .Lfunc_end212-_Z43inclusive_scan_array_prefix_callback_kernelILj65ELj5ELN6hipcub18BlockScanAlgorithmE1EfEvPT2_S3_S2_
                                        ; -- End function
	.section	.AMDGPU.csdata,"",@progbits
; Kernel info:
; codeLenInByte = 836
; NumSgprs: 16
; NumVgprs: 24
; NumAgprs: 0
; TotalNumVgprs: 24
; ScratchSize: 0
; MemoryBound: 0
; FloatMode: 240
; IeeeMode: 1
; LDSByteSize: 528 bytes/workgroup (compile time only)
; SGPRBlocks: 1
; VGPRBlocks: 2
; NumSGPRsForWavesPerEU: 16
; NumVGPRsForWavesPerEU: 24
; AccumOffset: 24
; Occupancy: 8
; WaveLimiterHint : 0
; COMPUTE_PGM_RSRC2:SCRATCH_EN: 0
; COMPUTE_PGM_RSRC2:USER_SGPR: 6
; COMPUTE_PGM_RSRC2:TRAP_HANDLER: 0
; COMPUTE_PGM_RSRC2:TGID_X_EN: 1
; COMPUTE_PGM_RSRC2:TGID_Y_EN: 0
; COMPUTE_PGM_RSRC2:TGID_Z_EN: 0
; COMPUTE_PGM_RSRC2:TIDIG_COMP_CNT: 0
; COMPUTE_PGM_RSRC3_GFX90A:ACCUM_OFFSET: 5
; COMPUTE_PGM_RSRC3_GFX90A:TG_SPLIT: 0
	.section	.text._Z43inclusive_scan_array_prefix_callback_kernelILj37ELj2ELN6hipcub18BlockScanAlgorithmE1EfEvPT2_S3_S2_,"axG",@progbits,_Z43inclusive_scan_array_prefix_callback_kernelILj37ELj2ELN6hipcub18BlockScanAlgorithmE1EfEvPT2_S3_S2_,comdat
	.protected	_Z43inclusive_scan_array_prefix_callback_kernelILj37ELj2ELN6hipcub18BlockScanAlgorithmE1EfEvPT2_S3_S2_ ; -- Begin function _Z43inclusive_scan_array_prefix_callback_kernelILj37ELj2ELN6hipcub18BlockScanAlgorithmE1EfEvPT2_S3_S2_
	.globl	_Z43inclusive_scan_array_prefix_callback_kernelILj37ELj2ELN6hipcub18BlockScanAlgorithmE1EfEvPT2_S3_S2_
	.p2align	8
	.type	_Z43inclusive_scan_array_prefix_callback_kernelILj37ELj2ELN6hipcub18BlockScanAlgorithmE1EfEvPT2_S3_S2_,@function
_Z43inclusive_scan_array_prefix_callback_kernelILj37ELj2ELN6hipcub18BlockScanAlgorithmE1EfEvPT2_S3_S2_: ; @_Z43inclusive_scan_array_prefix_callback_kernelILj37ELj2ELN6hipcub18BlockScanAlgorithmE1EfEvPT2_S3_S2_
; %bb.0:
	s_load_dwordx4 s[0:3], s[4:5], 0x0
	s_mul_i32 s7, s6, 37
	v_add_lshl_u32 v6, s7, v0, 1
	v_mov_b32_e32 v7, 0
	v_lshlrev_b64 v[2:3], 2, v[6:7]
	s_waitcnt lgkmcnt(0)
	v_mov_b32_e32 v1, s1
	v_add_co_u32_e32 v2, vcc, s0, v2
	v_addc_co_u32_e32 v3, vcc, v1, v3, vcc
	global_load_dwordx2 v[4:5], v[2:3], off
	v_mbcnt_lo_u32_b32 v1, -1, 0
	v_mbcnt_hi_u32_b32 v1, -1, v1
	v_and_b32_e32 v6, 15, v1
	v_cmp_eq_u32_e32 vcc, 0, v6
	v_and_b32_e32 v8, 16, v1
	s_waitcnt vmcnt(0)
	v_add_f32_e32 v9, v4, v5
	s_nop 1
	v_mov_b32_dpp v10, v9 row_shr:1 row_mask:0xf bank_mask:0xf
	v_add_f32_e32 v10, v9, v10
	v_cndmask_b32_e32 v9, v10, v9, vcc
	v_cmp_lt_u32_e32 vcc, 1, v6
	s_nop 0
	v_mov_b32_dpp v10, v9 row_shr:2 row_mask:0xf bank_mask:0xf
	v_add_f32_e32 v10, v9, v10
	v_cndmask_b32_e32 v9, v9, v10, vcc
	v_cmp_lt_u32_e32 vcc, 3, v6
	;; [unrolled: 5-line block ×3, first 2 shown]
	s_nop 0
	v_mov_b32_dpp v10, v9 row_shr:8 row_mask:0xf bank_mask:0xf
	v_add_f32_e32 v10, v9, v10
	v_cndmask_b32_e32 v6, v9, v10, vcc
	v_cmp_eq_u32_e32 vcc, 0, v8
	s_nop 0
	v_mov_b32_dpp v9, v6 row_bcast:15 row_mask:0xf bank_mask:0xf
	v_add_f32_e32 v9, v6, v9
	v_cndmask_b32_e32 v6, v9, v6, vcc
	v_cmp_lt_u32_e32 vcc, 31, v1
	s_nop 0
	v_mov_b32_dpp v8, v6 row_bcast:31 row_mask:0xf bank_mask:0xf
	v_add_f32_e32 v8, v6, v8
	v_cndmask_b32_e32 v6, v6, v8, vcc
	v_cmp_eq_u32_e32 vcc, 36, v0
	s_and_saveexec_b64 s[0:1], vcc
	s_cbranch_execz .LBB213_2
; %bb.1:
	ds_write_b32 v7, v6
.LBB213_2:
	s_or_b64 exec, exec, s[0:1]
	v_add_u32_e32 v7, -1, v1
	v_and_b32_e32 v8, 64, v1
	v_cmp_lt_i32_e32 vcc, v7, v8
	v_cndmask_b32_e32 v1, v7, v1, vcc
	s_load_dword s7, s[4:5], 0x10
	v_lshlrev_b32_e32 v1, 2, v1
	ds_bpermute_b32 v6, v1, v6
	v_cmp_gt_u32_e32 vcc, 64, v0
	s_waitcnt lgkmcnt(0)
	v_mov_b32_e32 v1, s7
	; wave barrier
	s_and_saveexec_b64 s[0:1], vcc
	s_cbranch_execz .LBB213_6
; %bb.3:
	v_mov_b32_e32 v7, 0
	ds_read_b32 v1, v7
	v_cmp_eq_u32_e32 vcc, 0, v0
	s_and_saveexec_b64 s[4:5], vcc
	s_cbranch_execz .LBB213_5
; %bb.4:
	v_mov_b32_e32 v8, s7
	ds_write_b32 v7, v8
.LBB213_5:
	s_or_b64 exec, exec, s[4:5]
	s_waitcnt lgkmcnt(0)
	v_add_f32_e32 v1, s7, v1
.LBB213_6:
	s_or_b64 exec, exec, s[0:1]
	v_mov_b32_e32 v7, 0
	s_waitcnt lgkmcnt(0)
	; wave barrier
	ds_read_b32 v8, v7
	v_add_f32_e32 v6, v4, v6
	v_cmp_eq_u32_e32 vcc, 0, v0
	v_cndmask_b32_e32 v0, v6, v4, vcc
	s_mov_b32 s7, 0
	s_waitcnt lgkmcnt(0)
	v_add_f32_e32 v4, v0, v8
	v_add_f32_e32 v5, v5, v4
	global_store_dwordx2 v[2:3], v[4:5], off
	s_and_saveexec_b64 s[0:1], vcc
	s_cbranch_execz .LBB213_8
; %bb.7:
	s_lshl_b64 s[0:1], s[6:7], 2
	s_add_u32 s0, s2, s0
	s_addc_u32 s1, s3, s1
	global_store_dword v7, v1, s[0:1]
.LBB213_8:
	s_endpgm
	.section	.rodata,"a",@progbits
	.p2align	6, 0x0
	.amdhsa_kernel _Z43inclusive_scan_array_prefix_callback_kernelILj37ELj2ELN6hipcub18BlockScanAlgorithmE1EfEvPT2_S3_S2_
		.amdhsa_group_segment_fixed_size 4
		.amdhsa_private_segment_fixed_size 0
		.amdhsa_kernarg_size 20
		.amdhsa_user_sgpr_count 6
		.amdhsa_user_sgpr_private_segment_buffer 1
		.amdhsa_user_sgpr_dispatch_ptr 0
		.amdhsa_user_sgpr_queue_ptr 0
		.amdhsa_user_sgpr_kernarg_segment_ptr 1
		.amdhsa_user_sgpr_dispatch_id 0
		.amdhsa_user_sgpr_flat_scratch_init 0
		.amdhsa_user_sgpr_kernarg_preload_length 0
		.amdhsa_user_sgpr_kernarg_preload_offset 0
		.amdhsa_user_sgpr_private_segment_size 0
		.amdhsa_uses_dynamic_stack 0
		.amdhsa_system_sgpr_private_segment_wavefront_offset 0
		.amdhsa_system_sgpr_workgroup_id_x 1
		.amdhsa_system_sgpr_workgroup_id_y 0
		.amdhsa_system_sgpr_workgroup_id_z 0
		.amdhsa_system_sgpr_workgroup_info 0
		.amdhsa_system_vgpr_workitem_id 0
		.amdhsa_next_free_vgpr 11
		.amdhsa_next_free_sgpr 8
		.amdhsa_accum_offset 12
		.amdhsa_reserve_vcc 1
		.amdhsa_reserve_flat_scratch 0
		.amdhsa_float_round_mode_32 0
		.amdhsa_float_round_mode_16_64 0
		.amdhsa_float_denorm_mode_32 3
		.amdhsa_float_denorm_mode_16_64 3
		.amdhsa_dx10_clamp 1
		.amdhsa_ieee_mode 1
		.amdhsa_fp16_overflow 0
		.amdhsa_tg_split 0
		.amdhsa_exception_fp_ieee_invalid_op 0
		.amdhsa_exception_fp_denorm_src 0
		.amdhsa_exception_fp_ieee_div_zero 0
		.amdhsa_exception_fp_ieee_overflow 0
		.amdhsa_exception_fp_ieee_underflow 0
		.amdhsa_exception_fp_ieee_inexact 0
		.amdhsa_exception_int_div_zero 0
	.end_amdhsa_kernel
	.section	.text._Z43inclusive_scan_array_prefix_callback_kernelILj37ELj2ELN6hipcub18BlockScanAlgorithmE1EfEvPT2_S3_S2_,"axG",@progbits,_Z43inclusive_scan_array_prefix_callback_kernelILj37ELj2ELN6hipcub18BlockScanAlgorithmE1EfEvPT2_S3_S2_,comdat
.Lfunc_end213:
	.size	_Z43inclusive_scan_array_prefix_callback_kernelILj37ELj2ELN6hipcub18BlockScanAlgorithmE1EfEvPT2_S3_S2_, .Lfunc_end213-_Z43inclusive_scan_array_prefix_callback_kernelILj37ELj2ELN6hipcub18BlockScanAlgorithmE1EfEvPT2_S3_S2_
                                        ; -- End function
	.section	.AMDGPU.csdata,"",@progbits
; Kernel info:
; codeLenInByte = 448
; NumSgprs: 12
; NumVgprs: 11
; NumAgprs: 0
; TotalNumVgprs: 11
; ScratchSize: 0
; MemoryBound: 0
; FloatMode: 240
; IeeeMode: 1
; LDSByteSize: 4 bytes/workgroup (compile time only)
; SGPRBlocks: 1
; VGPRBlocks: 1
; NumSGPRsForWavesPerEU: 12
; NumVGPRsForWavesPerEU: 11
; AccumOffset: 12
; Occupancy: 8
; WaveLimiterHint : 0
; COMPUTE_PGM_RSRC2:SCRATCH_EN: 0
; COMPUTE_PGM_RSRC2:USER_SGPR: 6
; COMPUTE_PGM_RSRC2:TRAP_HANDLER: 0
; COMPUTE_PGM_RSRC2:TGID_X_EN: 1
; COMPUTE_PGM_RSRC2:TGID_Y_EN: 0
; COMPUTE_PGM_RSRC2:TGID_Z_EN: 0
; COMPUTE_PGM_RSRC2:TIDIG_COMP_CNT: 0
; COMPUTE_PGM_RSRC3_GFX90A:ACCUM_OFFSET: 2
; COMPUTE_PGM_RSRC3_GFX90A:TG_SPLIT: 0
	.section	.text._Z43inclusive_scan_array_prefix_callback_kernelILj512ELj4ELN6hipcub18BlockScanAlgorithmE1EjEvPT2_S3_S2_,"axG",@progbits,_Z43inclusive_scan_array_prefix_callback_kernelILj512ELj4ELN6hipcub18BlockScanAlgorithmE1EjEvPT2_S3_S2_,comdat
	.protected	_Z43inclusive_scan_array_prefix_callback_kernelILj512ELj4ELN6hipcub18BlockScanAlgorithmE1EjEvPT2_S3_S2_ ; -- Begin function _Z43inclusive_scan_array_prefix_callback_kernelILj512ELj4ELN6hipcub18BlockScanAlgorithmE1EjEvPT2_S3_S2_
	.globl	_Z43inclusive_scan_array_prefix_callback_kernelILj512ELj4ELN6hipcub18BlockScanAlgorithmE1EjEvPT2_S3_S2_
	.p2align	8
	.type	_Z43inclusive_scan_array_prefix_callback_kernelILj512ELj4ELN6hipcub18BlockScanAlgorithmE1EjEvPT2_S3_S2_,@function
_Z43inclusive_scan_array_prefix_callback_kernelILj512ELj4ELN6hipcub18BlockScanAlgorithmE1EjEvPT2_S3_S2_: ; @_Z43inclusive_scan_array_prefix_callback_kernelILj512ELj4ELN6hipcub18BlockScanAlgorithmE1EjEvPT2_S3_S2_
; %bb.0:
	s_load_dwordx4 s[8:11], s[4:5], 0x0
	v_lshlrev_b32_e32 v1, 2, v0
	v_lshl_or_b32 v8, s6, 11, v1
	v_mov_b32_e32 v9, 0
	v_lshlrev_b64 v[2:3], 2, v[8:9]
	s_waitcnt lgkmcnt(0)
	v_mov_b32_e32 v1, s9
	v_add_co_u32_e32 v6, vcc, s8, v2
	v_addc_co_u32_e32 v7, vcc, v1, v3, vcc
	global_load_dwordx4 v[2:5], v[6:7], off
	v_lshrrev_b32_e32 v1, 5, v0
	v_add_lshl_u32 v8, v1, v0, 2
	v_cmp_gt_u32_e32 vcc, 64, v0
	s_waitcnt vmcnt(0)
	v_add_u32_e32 v1, v3, v2
	v_add3_u32 v1, v1, v4, v5
	ds_write_b32 v8, v1
	s_waitcnt lgkmcnt(0)
	s_barrier
	s_and_saveexec_b64 s[2:3], vcc
	s_cbranch_execz .LBB214_2
; %bb.1:
	v_lshlrev_b32_e32 v8, 3, v0
	v_lshrrev_b32_e32 v10, 2, v0
	v_add_lshl_u32 v8, v10, v8, 2
	ds_read2_b32 v[10:11], v8 offset1:1
	ds_read2_b32 v[12:13], v8 offset0:2 offset1:3
	ds_read2_b32 v[14:15], v8 offset0:4 offset1:5
	ds_read2_b32 v[16:17], v8 offset0:6 offset1:7
	v_mbcnt_lo_u32_b32 v19, -1, 0
	s_waitcnt lgkmcnt(3)
	v_add_u32_e32 v18, v11, v10
	s_waitcnt lgkmcnt(2)
	v_add3_u32 v18, v18, v12, v13
	s_waitcnt lgkmcnt(1)
	v_add3_u32 v18, v18, v14, v15
	v_mbcnt_hi_u32_b32 v19, -1, v19
	s_waitcnt lgkmcnt(0)
	v_add3_u32 v18, v18, v16, v17
	v_and_b32_e32 v20, 15, v19
	v_cmp_ne_u32_e64 s[0:1], 0, v20
	v_mov_b32_dpp v21, v18 row_shr:1 row_mask:0xf bank_mask:0xf
	v_cndmask_b32_e64 v21, 0, v21, s[0:1]
	v_add_u32_e32 v18, v21, v18
	v_cmp_lt_u32_e64 s[0:1], 1, v20
	s_nop 0
	v_mov_b32_dpp v21, v18 row_shr:2 row_mask:0xf bank_mask:0xf
	v_cndmask_b32_e64 v21, 0, v21, s[0:1]
	v_add_u32_e32 v18, v18, v21
	v_cmp_lt_u32_e64 s[0:1], 3, v20
	s_nop 0
	;; [unrolled: 5-line block ×3, first 2 shown]
	v_mov_b32_dpp v21, v18 row_shr:8 row_mask:0xf bank_mask:0xf
	v_cndmask_b32_e64 v20, 0, v21, s[0:1]
	v_add_u32_e32 v18, v18, v20
	v_bfe_i32 v21, v19, 4, 1
	v_cmp_lt_u32_e64 s[0:1], 31, v19
	v_mov_b32_dpp v20, v18 row_bcast:15 row_mask:0xf bank_mask:0xf
	v_and_b32_e32 v20, v21, v20
	v_add_u32_e32 v18, v18, v20
	v_and_b32_e32 v21, 64, v19
	s_nop 0
	v_mov_b32_dpp v20, v18 row_bcast:31 row_mask:0xf bank_mask:0xf
	v_cndmask_b32_e64 v20, 0, v20, s[0:1]
	v_add_u32_e32 v18, v18, v20
	v_add_u32_e32 v20, -1, v19
	v_cmp_lt_i32_e64 s[0:1], v20, v21
	v_cndmask_b32_e64 v19, v20, v19, s[0:1]
	v_lshlrev_b32_e32 v19, 2, v19
	ds_bpermute_b32 v18, v19, v18
	v_cmp_eq_u32_e64 s[0:1], 0, v0
	s_waitcnt lgkmcnt(0)
	v_add_u32_e32 v10, v18, v10
	v_cndmask_b32_e64 v1, v10, v1, s[0:1]
	v_add_u32_e32 v10, v1, v11
	ds_write2_b32 v8, v1, v10 offset1:1
	v_add_u32_e32 v1, v10, v12
	v_add_u32_e32 v10, v1, v13
	ds_write2_b32 v8, v1, v10 offset0:2 offset1:3
	v_add_u32_e32 v1, v10, v14
	v_add_u32_e32 v10, v1, v15
	ds_write2_b32 v8, v1, v10 offset0:4 offset1:5
	;; [unrolled: 3-line block ×3, first 2 shown]
.LBB214_2:
	s_or_b64 exec, exec, s[2:3]
	v_cmp_eq_u32_e64 s[0:1], 0, v0
	v_cmp_ne_u32_e64 s[2:3], 0, v0
	s_waitcnt lgkmcnt(0)
	s_barrier
	s_and_saveexec_b64 s[8:9], s[2:3]
	s_cbranch_execz .LBB214_4
; %bb.3:
	v_add_u32_e32 v0, -1, v0
	v_lshrrev_b32_e32 v1, 5, v0
	v_add_lshl_u32 v0, v1, v0, 2
	ds_read_b32 v9, v0
.LBB214_4:
	s_or_b64 exec, exec, s[8:9]
	s_load_dword s7, s[4:5], 0x10
	s_waitcnt lgkmcnt(0)
	v_mov_b32_e32 v0, s7
	s_and_saveexec_b64 s[2:3], vcc
	s_cbranch_execz .LBB214_8
; %bb.5:
	v_mov_b32_e32 v1, 0
	ds_read_b32 v0, v1 offset:2104
	s_and_saveexec_b64 s[4:5], s[0:1]
	s_cbranch_execz .LBB214_7
; %bb.6:
	v_mov_b32_e32 v8, s7
	ds_write_b32 v1, v8
.LBB214_7:
	s_or_b64 exec, exec, s[4:5]
	s_waitcnt lgkmcnt(0)
	v_add_u32_e32 v0, s7, v0
.LBB214_8:
	s_or_b64 exec, exec, s[2:3]
	v_mov_b32_e32 v1, 0
	s_barrier
	ds_read_b32 v8, v1
	s_waitcnt lgkmcnt(0)
	v_add3_u32 v2, v9, v2, v8
	v_add_u32_e32 v3, v2, v3
	v_add_u32_e32 v4, v3, v4
	;; [unrolled: 1-line block ×3, first 2 shown]
	global_store_dwordx4 v[6:7], v[2:5], off
	s_and_saveexec_b64 s[2:3], s[0:1]
	s_cbranch_execz .LBB214_10
; %bb.9:
	s_mov_b32 s7, 0
	s_lshl_b64 s[0:1], s[6:7], 2
	s_add_u32 s0, s10, s0
	s_addc_u32 s1, s11, s1
	global_store_dword v1, v0, s[0:1]
.LBB214_10:
	s_endpgm
	.section	.rodata,"a",@progbits
	.p2align	6, 0x0
	.amdhsa_kernel _Z43inclusive_scan_array_prefix_callback_kernelILj512ELj4ELN6hipcub18BlockScanAlgorithmE1EjEvPT2_S3_S2_
		.amdhsa_group_segment_fixed_size 2112
		.amdhsa_private_segment_fixed_size 0
		.amdhsa_kernarg_size 20
		.amdhsa_user_sgpr_count 6
		.amdhsa_user_sgpr_private_segment_buffer 1
		.amdhsa_user_sgpr_dispatch_ptr 0
		.amdhsa_user_sgpr_queue_ptr 0
		.amdhsa_user_sgpr_kernarg_segment_ptr 1
		.amdhsa_user_sgpr_dispatch_id 0
		.amdhsa_user_sgpr_flat_scratch_init 0
		.amdhsa_user_sgpr_kernarg_preload_length 0
		.amdhsa_user_sgpr_kernarg_preload_offset 0
		.amdhsa_user_sgpr_private_segment_size 0
		.amdhsa_uses_dynamic_stack 0
		.amdhsa_system_sgpr_private_segment_wavefront_offset 0
		.amdhsa_system_sgpr_workgroup_id_x 1
		.amdhsa_system_sgpr_workgroup_id_y 0
		.amdhsa_system_sgpr_workgroup_id_z 0
		.amdhsa_system_sgpr_workgroup_info 0
		.amdhsa_system_vgpr_workitem_id 0
		.amdhsa_next_free_vgpr 22
		.amdhsa_next_free_sgpr 12
		.amdhsa_accum_offset 24
		.amdhsa_reserve_vcc 1
		.amdhsa_reserve_flat_scratch 0
		.amdhsa_float_round_mode_32 0
		.amdhsa_float_round_mode_16_64 0
		.amdhsa_float_denorm_mode_32 3
		.amdhsa_float_denorm_mode_16_64 3
		.amdhsa_dx10_clamp 1
		.amdhsa_ieee_mode 1
		.amdhsa_fp16_overflow 0
		.amdhsa_tg_split 0
		.amdhsa_exception_fp_ieee_invalid_op 0
		.amdhsa_exception_fp_denorm_src 0
		.amdhsa_exception_fp_ieee_div_zero 0
		.amdhsa_exception_fp_ieee_overflow 0
		.amdhsa_exception_fp_ieee_underflow 0
		.amdhsa_exception_fp_ieee_inexact 0
		.amdhsa_exception_int_div_zero 0
	.end_amdhsa_kernel
	.section	.text._Z43inclusive_scan_array_prefix_callback_kernelILj512ELj4ELN6hipcub18BlockScanAlgorithmE1EjEvPT2_S3_S2_,"axG",@progbits,_Z43inclusive_scan_array_prefix_callback_kernelILj512ELj4ELN6hipcub18BlockScanAlgorithmE1EjEvPT2_S3_S2_,comdat
.Lfunc_end214:
	.size	_Z43inclusive_scan_array_prefix_callback_kernelILj512ELj4ELN6hipcub18BlockScanAlgorithmE1EjEvPT2_S3_S2_, .Lfunc_end214-_Z43inclusive_scan_array_prefix_callback_kernelILj512ELj4ELN6hipcub18BlockScanAlgorithmE1EjEvPT2_S3_S2_
                                        ; -- End function
	.section	.AMDGPU.csdata,"",@progbits
; Kernel info:
; codeLenInByte = 744
; NumSgprs: 16
; NumVgprs: 22
; NumAgprs: 0
; TotalNumVgprs: 22
; ScratchSize: 0
; MemoryBound: 0
; FloatMode: 240
; IeeeMode: 1
; LDSByteSize: 2112 bytes/workgroup (compile time only)
; SGPRBlocks: 1
; VGPRBlocks: 2
; NumSGPRsForWavesPerEU: 16
; NumVGPRsForWavesPerEU: 22
; AccumOffset: 24
; Occupancy: 8
; WaveLimiterHint : 0
; COMPUTE_PGM_RSRC2:SCRATCH_EN: 0
; COMPUTE_PGM_RSRC2:USER_SGPR: 6
; COMPUTE_PGM_RSRC2:TRAP_HANDLER: 0
; COMPUTE_PGM_RSRC2:TGID_X_EN: 1
; COMPUTE_PGM_RSRC2:TGID_Y_EN: 0
; COMPUTE_PGM_RSRC2:TGID_Z_EN: 0
; COMPUTE_PGM_RSRC2:TIDIG_COMP_CNT: 0
; COMPUTE_PGM_RSRC3_GFX90A:ACCUM_OFFSET: 5
; COMPUTE_PGM_RSRC3_GFX90A:TG_SPLIT: 0
	.section	.text._Z43inclusive_scan_array_prefix_callback_kernelILj256ELj3ELN6hipcub18BlockScanAlgorithmE1EiEvPT2_S3_S2_,"axG",@progbits,_Z43inclusive_scan_array_prefix_callback_kernelILj256ELj3ELN6hipcub18BlockScanAlgorithmE1EiEvPT2_S3_S2_,comdat
	.protected	_Z43inclusive_scan_array_prefix_callback_kernelILj256ELj3ELN6hipcub18BlockScanAlgorithmE1EiEvPT2_S3_S2_ ; -- Begin function _Z43inclusive_scan_array_prefix_callback_kernelILj256ELj3ELN6hipcub18BlockScanAlgorithmE1EiEvPT2_S3_S2_
	.globl	_Z43inclusive_scan_array_prefix_callback_kernelILj256ELj3ELN6hipcub18BlockScanAlgorithmE1EiEvPT2_S3_S2_
	.p2align	8
	.type	_Z43inclusive_scan_array_prefix_callback_kernelILj256ELj3ELN6hipcub18BlockScanAlgorithmE1EiEvPT2_S3_S2_,@function
_Z43inclusive_scan_array_prefix_callback_kernelILj256ELj3ELN6hipcub18BlockScanAlgorithmE1EiEvPT2_S3_S2_: ; @_Z43inclusive_scan_array_prefix_callback_kernelILj256ELj3ELN6hipcub18BlockScanAlgorithmE1EiEvPT2_S3_S2_
; %bb.0:
	s_load_dwordx4 s[8:11], s[4:5], 0x0
	v_lshl_or_b32 v1, s6, 8, v0
	v_lshl_add_u32 v4, v1, 1, v1
	v_mov_b32_e32 v5, 0
	v_lshlrev_b64 v[2:3], 2, v[4:5]
	s_waitcnt lgkmcnt(0)
	v_mov_b32_e32 v1, s9
	v_add_co_u32_e32 v2, vcc, s8, v2
	v_add_u32_e32 v6, 1, v4
	v_mov_b32_e32 v7, v5
	v_addc_co_u32_e32 v3, vcc, v1, v3, vcc
	v_lshlrev_b64 v[6:7], 2, v[6:7]
	v_add_co_u32_e32 v6, vcc, s8, v6
	v_add_u32_e32 v4, 2, v4
	v_addc_co_u32_e32 v7, vcc, v1, v7, vcc
	v_lshlrev_b64 v[8:9], 2, v[4:5]
	v_add_co_u32_e32 v8, vcc, s8, v8
	v_addc_co_u32_e32 v9, vcc, v1, v9, vcc
	global_load_dword v1, v[2:3], off
	global_load_dword v4, v[6:7], off
	;; [unrolled: 1-line block ×3, first 2 shown]
	v_lshrrev_b32_e32 v11, 5, v0
	v_add_lshl_u32 v12, v11, v0, 2
	v_cmp_gt_u32_e32 vcc, 64, v0
	s_waitcnt vmcnt(0)
	v_add3_u32 v11, v4, v1, v10
	ds_write_b32 v12, v11
	s_waitcnt lgkmcnt(0)
	s_barrier
	s_and_saveexec_b64 s[2:3], vcc
	s_cbranch_execz .LBB215_2
; %bb.1:
	v_lshlrev_b32_e32 v12, 2, v0
	v_lshrrev_b32_e32 v13, 3, v0
	v_add_lshl_u32 v16, v13, v12, 2
	ds_read2_b32 v[12:13], v16 offset1:1
	ds_read2_b32 v[14:15], v16 offset0:2 offset1:3
	v_mbcnt_lo_u32_b32 v17, -1, 0
	v_mbcnt_hi_u32_b32 v17, -1, v17
	v_and_b32_e32 v19, 15, v17
	s_waitcnt lgkmcnt(1)
	v_add_u32_e32 v18, v13, v12
	s_waitcnt lgkmcnt(0)
	v_add3_u32 v18, v18, v14, v15
	v_cmp_ne_u32_e64 s[0:1], 0, v19
	s_nop 0
	v_mov_b32_dpp v20, v18 row_shr:1 row_mask:0xf bank_mask:0xf
	v_cndmask_b32_e64 v20, 0, v20, s[0:1]
	v_add_u32_e32 v18, v20, v18
	v_cmp_lt_u32_e64 s[0:1], 1, v19
	s_nop 0
	v_mov_b32_dpp v20, v18 row_shr:2 row_mask:0xf bank_mask:0xf
	v_cndmask_b32_e64 v20, 0, v20, s[0:1]
	v_add_u32_e32 v18, v18, v20
	v_cmp_lt_u32_e64 s[0:1], 3, v19
	;; [unrolled: 5-line block ×3, first 2 shown]
	s_nop 0
	v_mov_b32_dpp v20, v18 row_shr:8 row_mask:0xf bank_mask:0xf
	v_cndmask_b32_e64 v19, 0, v20, s[0:1]
	v_add_u32_e32 v18, v18, v19
	v_bfe_i32 v20, v17, 4, 1
	v_cmp_lt_u32_e64 s[0:1], 31, v17
	v_mov_b32_dpp v19, v18 row_bcast:15 row_mask:0xf bank_mask:0xf
	v_and_b32_e32 v19, v20, v19
	v_add_u32_e32 v18, v18, v19
	v_and_b32_e32 v20, 64, v17
	s_nop 0
	v_mov_b32_dpp v19, v18 row_bcast:31 row_mask:0xf bank_mask:0xf
	v_cndmask_b32_e64 v19, 0, v19, s[0:1]
	v_add_u32_e32 v18, v18, v19
	v_add_u32_e32 v19, -1, v17
	v_cmp_lt_i32_e64 s[0:1], v19, v20
	v_cndmask_b32_e64 v17, v19, v17, s[0:1]
	v_lshlrev_b32_e32 v17, 2, v17
	ds_bpermute_b32 v17, v17, v18
	v_cmp_eq_u32_e64 s[0:1], 0, v0
	s_waitcnt lgkmcnt(0)
	v_add_u32_e32 v12, v17, v12
	v_cndmask_b32_e64 v11, v12, v11, s[0:1]
	v_add_u32_e32 v12, v11, v13
	ds_write2_b32 v16, v11, v12 offset1:1
	v_add_u32_e32 v11, v12, v14
	v_add_u32_e32 v12, v11, v15
	ds_write2_b32 v16, v11, v12 offset0:2 offset1:3
.LBB215_2:
	s_or_b64 exec, exec, s[2:3]
	v_cmp_eq_u32_e64 s[0:1], 0, v0
	v_cmp_ne_u32_e64 s[2:3], 0, v0
	s_waitcnt lgkmcnt(0)
	s_barrier
	s_and_saveexec_b64 s[8:9], s[2:3]
	s_cbranch_execz .LBB215_4
; %bb.3:
	v_add_u32_e32 v0, -1, v0
	v_lshrrev_b32_e32 v5, 5, v0
	v_add_lshl_u32 v0, v5, v0, 2
	ds_read_b32 v5, v0
.LBB215_4:
	s_or_b64 exec, exec, s[8:9]
	s_load_dword s7, s[4:5], 0x10
	s_waitcnt lgkmcnt(0)
	v_mov_b32_e32 v0, s7
	s_and_saveexec_b64 s[2:3], vcc
	s_cbranch_execz .LBB215_8
; %bb.5:
	v_mov_b32_e32 v11, 0
	ds_read_b32 v0, v11 offset:1048
	s_and_saveexec_b64 s[4:5], s[0:1]
	s_cbranch_execz .LBB215_7
; %bb.6:
	v_mov_b32_e32 v12, s7
	ds_write_b32 v11, v12
.LBB215_7:
	s_or_b64 exec, exec, s[4:5]
	s_waitcnt lgkmcnt(0)
	v_add_u32_e32 v0, s7, v0
.LBB215_8:
	s_or_b64 exec, exec, s[2:3]
	v_mov_b32_e32 v11, 0
	s_barrier
	ds_read_b32 v12, v11
	s_waitcnt lgkmcnt(0)
	v_add3_u32 v1, v5, v1, v12
	v_add_u32_e32 v4, v1, v4
	global_store_dword v[2:3], v1, off
	v_add_u32_e32 v1, v4, v10
	global_store_dword v[6:7], v4, off
	global_store_dword v[8:9], v1, off
	s_and_saveexec_b64 s[2:3], s[0:1]
	s_cbranch_execz .LBB215_10
; %bb.9:
	s_mov_b32 s7, 0
	s_lshl_b64 s[0:1], s[6:7], 2
	s_add_u32 s0, s10, s0
	s_addc_u32 s1, s11, s1
	global_store_dword v11, v0, s[0:1]
.LBB215_10:
	s_endpgm
	.section	.rodata,"a",@progbits
	.p2align	6, 0x0
	.amdhsa_kernel _Z43inclusive_scan_array_prefix_callback_kernelILj256ELj3ELN6hipcub18BlockScanAlgorithmE1EiEvPT2_S3_S2_
		.amdhsa_group_segment_fixed_size 1056
		.amdhsa_private_segment_fixed_size 0
		.amdhsa_kernarg_size 20
		.amdhsa_user_sgpr_count 6
		.amdhsa_user_sgpr_private_segment_buffer 1
		.amdhsa_user_sgpr_dispatch_ptr 0
		.amdhsa_user_sgpr_queue_ptr 0
		.amdhsa_user_sgpr_kernarg_segment_ptr 1
		.amdhsa_user_sgpr_dispatch_id 0
		.amdhsa_user_sgpr_flat_scratch_init 0
		.amdhsa_user_sgpr_kernarg_preload_length 0
		.amdhsa_user_sgpr_kernarg_preload_offset 0
		.amdhsa_user_sgpr_private_segment_size 0
		.amdhsa_uses_dynamic_stack 0
		.amdhsa_system_sgpr_private_segment_wavefront_offset 0
		.amdhsa_system_sgpr_workgroup_id_x 1
		.amdhsa_system_sgpr_workgroup_id_y 0
		.amdhsa_system_sgpr_workgroup_id_z 0
		.amdhsa_system_sgpr_workgroup_info 0
		.amdhsa_system_vgpr_workitem_id 0
		.amdhsa_next_free_vgpr 21
		.amdhsa_next_free_sgpr 12
		.amdhsa_accum_offset 24
		.amdhsa_reserve_vcc 1
		.amdhsa_reserve_flat_scratch 0
		.amdhsa_float_round_mode_32 0
		.amdhsa_float_round_mode_16_64 0
		.amdhsa_float_denorm_mode_32 3
		.amdhsa_float_denorm_mode_16_64 3
		.amdhsa_dx10_clamp 1
		.amdhsa_ieee_mode 1
		.amdhsa_fp16_overflow 0
		.amdhsa_tg_split 0
		.amdhsa_exception_fp_ieee_invalid_op 0
		.amdhsa_exception_fp_denorm_src 0
		.amdhsa_exception_fp_ieee_div_zero 0
		.amdhsa_exception_fp_ieee_overflow 0
		.amdhsa_exception_fp_ieee_underflow 0
		.amdhsa_exception_fp_ieee_inexact 0
		.amdhsa_exception_int_div_zero 0
	.end_amdhsa_kernel
	.section	.text._Z43inclusive_scan_array_prefix_callback_kernelILj256ELj3ELN6hipcub18BlockScanAlgorithmE1EiEvPT2_S3_S2_,"axG",@progbits,_Z43inclusive_scan_array_prefix_callback_kernelILj256ELj3ELN6hipcub18BlockScanAlgorithmE1EiEvPT2_S3_S2_,comdat
.Lfunc_end215:
	.size	_Z43inclusive_scan_array_prefix_callback_kernelILj256ELj3ELN6hipcub18BlockScanAlgorithmE1EiEvPT2_S3_S2_, .Lfunc_end215-_Z43inclusive_scan_array_prefix_callback_kernelILj256ELj3ELN6hipcub18BlockScanAlgorithmE1EiEvPT2_S3_S2_
                                        ; -- End function
	.section	.AMDGPU.csdata,"",@progbits
; Kernel info:
; codeLenInByte = 748
; NumSgprs: 16
; NumVgprs: 21
; NumAgprs: 0
; TotalNumVgprs: 21
; ScratchSize: 0
; MemoryBound: 0
; FloatMode: 240
; IeeeMode: 1
; LDSByteSize: 1056 bytes/workgroup (compile time only)
; SGPRBlocks: 1
; VGPRBlocks: 2
; NumSGPRsForWavesPerEU: 16
; NumVGPRsForWavesPerEU: 21
; AccumOffset: 24
; Occupancy: 8
; WaveLimiterHint : 0
; COMPUTE_PGM_RSRC2:SCRATCH_EN: 0
; COMPUTE_PGM_RSRC2:USER_SGPR: 6
; COMPUTE_PGM_RSRC2:TRAP_HANDLER: 0
; COMPUTE_PGM_RSRC2:TGID_X_EN: 1
; COMPUTE_PGM_RSRC2:TGID_Y_EN: 0
; COMPUTE_PGM_RSRC2:TGID_Z_EN: 0
; COMPUTE_PGM_RSRC2:TIDIG_COMP_CNT: 0
; COMPUTE_PGM_RSRC3_GFX90A:ACCUM_OFFSET: 5
; COMPUTE_PGM_RSRC3_GFX90A:TG_SPLIT: 0
	.section	.text._Z43inclusive_scan_array_prefix_callback_kernelILj32ELj2ELN6hipcub18BlockScanAlgorithmE1EfEvPT2_S3_S2_,"axG",@progbits,_Z43inclusive_scan_array_prefix_callback_kernelILj32ELj2ELN6hipcub18BlockScanAlgorithmE1EfEvPT2_S3_S2_,comdat
	.protected	_Z43inclusive_scan_array_prefix_callback_kernelILj32ELj2ELN6hipcub18BlockScanAlgorithmE1EfEvPT2_S3_S2_ ; -- Begin function _Z43inclusive_scan_array_prefix_callback_kernelILj32ELj2ELN6hipcub18BlockScanAlgorithmE1EfEvPT2_S3_S2_
	.globl	_Z43inclusive_scan_array_prefix_callback_kernelILj32ELj2ELN6hipcub18BlockScanAlgorithmE1EfEvPT2_S3_S2_
	.p2align	8
	.type	_Z43inclusive_scan_array_prefix_callback_kernelILj32ELj2ELN6hipcub18BlockScanAlgorithmE1EfEvPT2_S3_S2_,@function
_Z43inclusive_scan_array_prefix_callback_kernelILj32ELj2ELN6hipcub18BlockScanAlgorithmE1EfEvPT2_S3_S2_: ; @_Z43inclusive_scan_array_prefix_callback_kernelILj32ELj2ELN6hipcub18BlockScanAlgorithmE1EfEvPT2_S3_S2_
; %bb.0:
	s_load_dwordx4 s[0:3], s[4:5], 0x0
	v_lshlrev_b32_e32 v1, 1, v0
	v_lshl_or_b32 v6, s6, 6, v1
	v_mov_b32_e32 v7, 0
	v_lshlrev_b64 v[2:3], 2, v[6:7]
	s_waitcnt lgkmcnt(0)
	v_mov_b32_e32 v1, s1
	v_add_co_u32_e32 v2, vcc, s0, v2
	v_addc_co_u32_e32 v3, vcc, v1, v3, vcc
	global_load_dwordx2 v[4:5], v[2:3], off
	v_mbcnt_lo_u32_b32 v1, -1, 0
	v_mbcnt_hi_u32_b32 v1, -1, v1
	v_and_b32_e32 v6, 15, v1
	v_cmp_eq_u32_e32 vcc, 0, v6
	v_and_b32_e32 v8, 16, v1
	s_waitcnt vmcnt(0)
	v_add_f32_e32 v9, v4, v5
	s_nop 1
	v_mov_b32_dpp v10, v9 row_shr:1 row_mask:0xf bank_mask:0xf
	v_add_f32_e32 v10, v9, v10
	v_cndmask_b32_e32 v9, v10, v9, vcc
	v_cmp_lt_u32_e32 vcc, 1, v6
	s_nop 0
	v_mov_b32_dpp v10, v9 row_shr:2 row_mask:0xf bank_mask:0xf
	v_add_f32_e32 v10, v9, v10
	v_cndmask_b32_e32 v9, v9, v10, vcc
	v_cmp_lt_u32_e32 vcc, 3, v6
	;; [unrolled: 5-line block ×3, first 2 shown]
	s_nop 0
	v_mov_b32_dpp v10, v9 row_shr:8 row_mask:0xf bank_mask:0xf
	v_add_f32_e32 v10, v9, v10
	v_cndmask_b32_e32 v6, v9, v10, vcc
	v_cmp_eq_u32_e32 vcc, 0, v8
	s_nop 0
	v_mov_b32_dpp v9, v6 row_bcast:15 row_mask:0xf bank_mask:0xf
	v_add_f32_e32 v9, v6, v9
	v_cndmask_b32_e32 v6, v9, v6, vcc
	v_cmp_eq_u32_e32 vcc, 31, v0
	s_and_saveexec_b64 s[0:1], vcc
	s_cbranch_execz .LBB216_2
; %bb.1:
	ds_write_b32 v7, v6
.LBB216_2:
	s_or_b64 exec, exec, s[0:1]
	v_add_u32_e32 v7, -1, v1
	v_and_b32_e32 v8, 0x60, v1
	v_cmp_lt_i32_e32 vcc, v7, v8
	v_cndmask_b32_e32 v1, v7, v1, vcc
	s_load_dword s7, s[4:5], 0x10
	v_lshlrev_b32_e32 v1, 2, v1
	ds_bpermute_b32 v6, v1, v6
	v_cmp_gt_u32_e32 vcc, 64, v0
	s_waitcnt lgkmcnt(0)
	v_mov_b32_e32 v1, s7
	; wave barrier
	s_and_saveexec_b64 s[0:1], vcc
	s_cbranch_execz .LBB216_6
; %bb.3:
	v_mov_b32_e32 v7, 0
	ds_read_b32 v1, v7
	v_cmp_eq_u32_e32 vcc, 0, v0
	s_and_saveexec_b64 s[4:5], vcc
	s_cbranch_execz .LBB216_5
; %bb.4:
	v_mov_b32_e32 v8, s7
	ds_write_b32 v7, v8
.LBB216_5:
	s_or_b64 exec, exec, s[4:5]
	s_waitcnt lgkmcnt(0)
	v_add_f32_e32 v1, s7, v1
.LBB216_6:
	s_or_b64 exec, exec, s[0:1]
	v_mov_b32_e32 v7, 0
	s_waitcnt lgkmcnt(0)
	; wave barrier
	ds_read_b32 v8, v7
	v_add_f32_e32 v6, v4, v6
	v_cmp_eq_u32_e32 vcc, 0, v0
	v_cndmask_b32_e32 v0, v6, v4, vcc
	s_mov_b32 s7, 0
	s_waitcnt lgkmcnt(0)
	v_add_f32_e32 v4, v0, v8
	v_add_f32_e32 v5, v5, v4
	global_store_dwordx2 v[2:3], v[4:5], off
	s_and_saveexec_b64 s[0:1], vcc
	s_cbranch_execz .LBB216_8
; %bb.7:
	s_lshl_b64 s[0:1], s[6:7], 2
	s_add_u32 s0, s2, s0
	s_addc_u32 s1, s3, s1
	global_store_dword v7, v1, s[0:1]
.LBB216_8:
	s_endpgm
	.section	.rodata,"a",@progbits
	.p2align	6, 0x0
	.amdhsa_kernel _Z43inclusive_scan_array_prefix_callback_kernelILj32ELj2ELN6hipcub18BlockScanAlgorithmE1EfEvPT2_S3_S2_
		.amdhsa_group_segment_fixed_size 4
		.amdhsa_private_segment_fixed_size 0
		.amdhsa_kernarg_size 20
		.amdhsa_user_sgpr_count 6
		.amdhsa_user_sgpr_private_segment_buffer 1
		.amdhsa_user_sgpr_dispatch_ptr 0
		.amdhsa_user_sgpr_queue_ptr 0
		.amdhsa_user_sgpr_kernarg_segment_ptr 1
		.amdhsa_user_sgpr_dispatch_id 0
		.amdhsa_user_sgpr_flat_scratch_init 0
		.amdhsa_user_sgpr_kernarg_preload_length 0
		.amdhsa_user_sgpr_kernarg_preload_offset 0
		.amdhsa_user_sgpr_private_segment_size 0
		.amdhsa_uses_dynamic_stack 0
		.amdhsa_system_sgpr_private_segment_wavefront_offset 0
		.amdhsa_system_sgpr_workgroup_id_x 1
		.amdhsa_system_sgpr_workgroup_id_y 0
		.amdhsa_system_sgpr_workgroup_id_z 0
		.amdhsa_system_sgpr_workgroup_info 0
		.amdhsa_system_vgpr_workitem_id 0
		.amdhsa_next_free_vgpr 11
		.amdhsa_next_free_sgpr 8
		.amdhsa_accum_offset 12
		.amdhsa_reserve_vcc 1
		.amdhsa_reserve_flat_scratch 0
		.amdhsa_float_round_mode_32 0
		.amdhsa_float_round_mode_16_64 0
		.amdhsa_float_denorm_mode_32 3
		.amdhsa_float_denorm_mode_16_64 3
		.amdhsa_dx10_clamp 1
		.amdhsa_ieee_mode 1
		.amdhsa_fp16_overflow 0
		.amdhsa_tg_split 0
		.amdhsa_exception_fp_ieee_invalid_op 0
		.amdhsa_exception_fp_denorm_src 0
		.amdhsa_exception_fp_ieee_div_zero 0
		.amdhsa_exception_fp_ieee_overflow 0
		.amdhsa_exception_fp_ieee_underflow 0
		.amdhsa_exception_fp_ieee_inexact 0
		.amdhsa_exception_int_div_zero 0
	.end_amdhsa_kernel
	.section	.text._Z43inclusive_scan_array_prefix_callback_kernelILj32ELj2ELN6hipcub18BlockScanAlgorithmE1EfEvPT2_S3_S2_,"axG",@progbits,_Z43inclusive_scan_array_prefix_callback_kernelILj32ELj2ELN6hipcub18BlockScanAlgorithmE1EfEvPT2_S3_S2_,comdat
.Lfunc_end216:
	.size	_Z43inclusive_scan_array_prefix_callback_kernelILj32ELj2ELN6hipcub18BlockScanAlgorithmE1EfEvPT2_S3_S2_, .Lfunc_end216-_Z43inclusive_scan_array_prefix_callback_kernelILj32ELj2ELN6hipcub18BlockScanAlgorithmE1EfEvPT2_S3_S2_
                                        ; -- End function
	.section	.AMDGPU.csdata,"",@progbits
; Kernel info:
; codeLenInByte = 428
; NumSgprs: 12
; NumVgprs: 11
; NumAgprs: 0
; TotalNumVgprs: 11
; ScratchSize: 0
; MemoryBound: 0
; FloatMode: 240
; IeeeMode: 1
; LDSByteSize: 4 bytes/workgroup (compile time only)
; SGPRBlocks: 1
; VGPRBlocks: 1
; NumSGPRsForWavesPerEU: 12
; NumVGPRsForWavesPerEU: 11
; AccumOffset: 12
; Occupancy: 8
; WaveLimiterHint : 0
; COMPUTE_PGM_RSRC2:SCRATCH_EN: 0
; COMPUTE_PGM_RSRC2:USER_SGPR: 6
; COMPUTE_PGM_RSRC2:TRAP_HANDLER: 0
; COMPUTE_PGM_RSRC2:TGID_X_EN: 1
; COMPUTE_PGM_RSRC2:TGID_Y_EN: 0
; COMPUTE_PGM_RSRC2:TGID_Z_EN: 0
; COMPUTE_PGM_RSRC2:TIDIG_COMP_CNT: 0
; COMPUTE_PGM_RSRC3_GFX90A:ACCUM_OFFSET: 2
; COMPUTE_PGM_RSRC3_GFX90A:TG_SPLIT: 0
	.section	.text._Z43inclusive_scan_array_prefix_callback_kernelILj6ELj32ELN6hipcub18BlockScanAlgorithmE1EfEvPT2_S3_S2_,"axG",@progbits,_Z43inclusive_scan_array_prefix_callback_kernelILj6ELj32ELN6hipcub18BlockScanAlgorithmE1EfEvPT2_S3_S2_,comdat
	.protected	_Z43inclusive_scan_array_prefix_callback_kernelILj6ELj32ELN6hipcub18BlockScanAlgorithmE1EfEvPT2_S3_S2_ ; -- Begin function _Z43inclusive_scan_array_prefix_callback_kernelILj6ELj32ELN6hipcub18BlockScanAlgorithmE1EfEvPT2_S3_S2_
	.globl	_Z43inclusive_scan_array_prefix_callback_kernelILj6ELj32ELN6hipcub18BlockScanAlgorithmE1EfEvPT2_S3_S2_
	.p2align	8
	.type	_Z43inclusive_scan_array_prefix_callback_kernelILj6ELj32ELN6hipcub18BlockScanAlgorithmE1EfEvPT2_S3_S2_,@function
_Z43inclusive_scan_array_prefix_callback_kernelILj6ELj32ELN6hipcub18BlockScanAlgorithmE1EfEvPT2_S3_S2_: ; @_Z43inclusive_scan_array_prefix_callback_kernelILj6ELj32ELN6hipcub18BlockScanAlgorithmE1EfEvPT2_S3_S2_
; %bb.0:
	s_load_dwordx4 s[0:3], s[4:5], 0x0
	s_mul_i32 s7, s6, 6
	v_add_lshl_u32 v36, s7, v0, 5
	v_mov_b32_e32 v37, 0
	v_lshlrev_b64 v[2:3], 2, v[36:37]
	s_waitcnt lgkmcnt(0)
	v_mov_b32_e32 v1, s1
	v_add_co_u32_e32 v34, vcc, s0, v2
	v_addc_co_u32_e32 v35, vcc, v1, v3, vcc
	global_load_dwordx4 v[30:33], v[34:35], off
	global_load_dwordx4 v[26:29], v[34:35], off offset:16
	global_load_dwordx4 v[22:25], v[34:35], off offset:32
	;; [unrolled: 1-line block ×7, first 2 shown]
	v_mbcnt_lo_u32_b32 v1, -1, 0
	v_mbcnt_hi_u32_b32 v1, -1, v1
	v_and_b32_e32 v36, 7, v1
	v_cmp_eq_u32_e32 vcc, 0, v36
	s_waitcnt vmcnt(7)
	v_add_f32_e32 v38, v30, v31
	v_add_f32_e32 v38, v38, v32
	v_add_f32_e32 v38, v38, v33
	s_waitcnt vmcnt(6)
	v_add_f32_e32 v38, v38, v26
	v_add_f32_e32 v38, v38, v27
	v_add_f32_e32 v38, v38, v28
	v_add_f32_e32 v38, v38, v29
	s_waitcnt vmcnt(5)
	v_add_f32_e32 v38, v38, v22
	;; [unrolled: 5-line block ×7, first 2 shown]
	v_add_f32_e32 v38, v38, v3
	v_add_f32_e32 v38, v38, v4
	;; [unrolled: 1-line block ×3, first 2 shown]
	s_nop 1
	v_mov_b32_dpp v39, v38 row_shr:1 row_mask:0xf bank_mask:0xf
	v_add_f32_e32 v39, v38, v39
	v_cndmask_b32_e32 v38, v39, v38, vcc
	v_cmp_lt_u32_e32 vcc, 1, v36
	s_nop 0
	v_mov_b32_dpp v39, v38 row_shr:2 row_mask:0xf bank_mask:0xf
	v_add_f32_e32 v39, v38, v39
	v_cndmask_b32_e32 v38, v38, v39, vcc
	v_cmp_lt_u32_e32 vcc, 3, v36
	s_nop 0
	v_mov_b32_dpp v39, v38 row_shr:4 row_mask:0xf bank_mask:0xf
	v_add_f32_e32 v39, v38, v39
	v_cndmask_b32_e32 v36, v38, v39, vcc
	v_cmp_eq_u32_e32 vcc, 5, v0
	s_and_saveexec_b64 s[0:1], vcc
	s_cbranch_execz .LBB217_2
; %bb.1:
	ds_write_b32 v37, v36
.LBB217_2:
	s_or_b64 exec, exec, s[0:1]
	v_add_u32_e32 v37, -1, v1
	v_and_b32_e32 v38, 0x78, v1
	v_cmp_lt_i32_e32 vcc, v37, v38
	v_cndmask_b32_e32 v1, v37, v1, vcc
	s_load_dword s7, s[4:5], 0x10
	v_lshlrev_b32_e32 v1, 2, v1
	ds_bpermute_b32 v37, v1, v36
	v_cmp_gt_u32_e32 vcc, 64, v0
	s_waitcnt lgkmcnt(0)
	v_mov_b32_e32 v1, s7
	; wave barrier
	s_and_saveexec_b64 s[0:1], vcc
	s_cbranch_execz .LBB217_6
; %bb.3:
	v_mov_b32_e32 v36, 0
	ds_read_b32 v1, v36
	v_cmp_eq_u32_e32 vcc, 0, v0
	s_and_saveexec_b64 s[4:5], vcc
	s_cbranch_execz .LBB217_5
; %bb.4:
	v_mov_b32_e32 v38, s7
	ds_write_b32 v36, v38
.LBB217_5:
	s_or_b64 exec, exec, s[4:5]
	s_waitcnt lgkmcnt(0)
	v_add_f32_e32 v1, s7, v1
.LBB217_6:
	s_or_b64 exec, exec, s[0:1]
	v_mov_b32_e32 v36, 0
	s_waitcnt lgkmcnt(0)
	; wave barrier
	ds_read_b32 v38, v36
	v_add_f32_e32 v37, v30, v37
	v_cmp_eq_u32_e32 vcc, 0, v0
	v_cndmask_b32_e32 v0, v37, v30, vcc
	s_mov_b32 s7, 0
	s_waitcnt lgkmcnt(0)
	v_add_f32_e32 v30, v38, v0
	v_add_f32_e32 v31, v31, v30
	;; [unrolled: 1-line block ×32, first 2 shown]
	global_store_dwordx4 v[34:35], v[30:33], off
	global_store_dwordx4 v[34:35], v[26:29], off offset:16
	global_store_dwordx4 v[34:35], v[22:25], off offset:32
	;; [unrolled: 1-line block ×7, first 2 shown]
	s_and_saveexec_b64 s[0:1], vcc
	s_cbranch_execz .LBB217_8
; %bb.7:
	s_lshl_b64 s[0:1], s[6:7], 2
	s_add_u32 s0, s2, s0
	s_addc_u32 s1, s3, s1
	global_store_dword v36, v1, s[0:1]
.LBB217_8:
	s_endpgm
	.section	.rodata,"a",@progbits
	.p2align	6, 0x0
	.amdhsa_kernel _Z43inclusive_scan_array_prefix_callback_kernelILj6ELj32ELN6hipcub18BlockScanAlgorithmE1EfEvPT2_S3_S2_
		.amdhsa_group_segment_fixed_size 4
		.amdhsa_private_segment_fixed_size 0
		.amdhsa_kernarg_size 20
		.amdhsa_user_sgpr_count 6
		.amdhsa_user_sgpr_private_segment_buffer 1
		.amdhsa_user_sgpr_dispatch_ptr 0
		.amdhsa_user_sgpr_queue_ptr 0
		.amdhsa_user_sgpr_kernarg_segment_ptr 1
		.amdhsa_user_sgpr_dispatch_id 0
		.amdhsa_user_sgpr_flat_scratch_init 0
		.amdhsa_user_sgpr_kernarg_preload_length 0
		.amdhsa_user_sgpr_kernarg_preload_offset 0
		.amdhsa_user_sgpr_private_segment_size 0
		.amdhsa_uses_dynamic_stack 0
		.amdhsa_system_sgpr_private_segment_wavefront_offset 0
		.amdhsa_system_sgpr_workgroup_id_x 1
		.amdhsa_system_sgpr_workgroup_id_y 0
		.amdhsa_system_sgpr_workgroup_id_z 0
		.amdhsa_system_sgpr_workgroup_info 0
		.amdhsa_system_vgpr_workitem_id 0
		.amdhsa_next_free_vgpr 40
		.amdhsa_next_free_sgpr 8
		.amdhsa_accum_offset 40
		.amdhsa_reserve_vcc 1
		.amdhsa_reserve_flat_scratch 0
		.amdhsa_float_round_mode_32 0
		.amdhsa_float_round_mode_16_64 0
		.amdhsa_float_denorm_mode_32 3
		.amdhsa_float_denorm_mode_16_64 3
		.amdhsa_dx10_clamp 1
		.amdhsa_ieee_mode 1
		.amdhsa_fp16_overflow 0
		.amdhsa_tg_split 0
		.amdhsa_exception_fp_ieee_invalid_op 0
		.amdhsa_exception_fp_denorm_src 0
		.amdhsa_exception_fp_ieee_div_zero 0
		.amdhsa_exception_fp_ieee_overflow 0
		.amdhsa_exception_fp_ieee_underflow 0
		.amdhsa_exception_fp_ieee_inexact 0
		.amdhsa_exception_int_div_zero 0
	.end_amdhsa_kernel
	.section	.text._Z43inclusive_scan_array_prefix_callback_kernelILj6ELj32ELN6hipcub18BlockScanAlgorithmE1EfEvPT2_S3_S2_,"axG",@progbits,_Z43inclusive_scan_array_prefix_callback_kernelILj6ELj32ELN6hipcub18BlockScanAlgorithmE1EfEvPT2_S3_S2_,comdat
.Lfunc_end217:
	.size	_Z43inclusive_scan_array_prefix_callback_kernelILj6ELj32ELN6hipcub18BlockScanAlgorithmE1EfEvPT2_S3_S2_, .Lfunc_end217-_Z43inclusive_scan_array_prefix_callback_kernelILj6ELj32ELN6hipcub18BlockScanAlgorithmE1EfEvPT2_S3_S2_
                                        ; -- End function
	.section	.AMDGPU.csdata,"",@progbits
; Kernel info:
; codeLenInByte = 756
; NumSgprs: 12
; NumVgprs: 40
; NumAgprs: 0
; TotalNumVgprs: 40
; ScratchSize: 0
; MemoryBound: 0
; FloatMode: 240
; IeeeMode: 1
; LDSByteSize: 4 bytes/workgroup (compile time only)
; SGPRBlocks: 1
; VGPRBlocks: 4
; NumSGPRsForWavesPerEU: 12
; NumVGPRsForWavesPerEU: 40
; AccumOffset: 40
; Occupancy: 8
; WaveLimiterHint : 0
; COMPUTE_PGM_RSRC2:SCRATCH_EN: 0
; COMPUTE_PGM_RSRC2:USER_SGPR: 6
; COMPUTE_PGM_RSRC2:TRAP_HANDLER: 0
; COMPUTE_PGM_RSRC2:TGID_X_EN: 1
; COMPUTE_PGM_RSRC2:TGID_Y_EN: 0
; COMPUTE_PGM_RSRC2:TGID_Z_EN: 0
; COMPUTE_PGM_RSRC2:TIDIG_COMP_CNT: 0
; COMPUTE_PGM_RSRC3_GFX90A:ACCUM_OFFSET: 9
; COMPUTE_PGM_RSRC3_GFX90A:TG_SPLIT: 0
	.section	.text._Z43inclusive_scan_array_prefix_callback_kernelILj16ELj5ELN6hipcub18BlockScanAlgorithmE0E12hip_bfloat16EvPT2_S4_S3_,"axG",@progbits,_Z43inclusive_scan_array_prefix_callback_kernelILj16ELj5ELN6hipcub18BlockScanAlgorithmE0E12hip_bfloat16EvPT2_S4_S3_,comdat
	.protected	_Z43inclusive_scan_array_prefix_callback_kernelILj16ELj5ELN6hipcub18BlockScanAlgorithmE0E12hip_bfloat16EvPT2_S4_S3_ ; -- Begin function _Z43inclusive_scan_array_prefix_callback_kernelILj16ELj5ELN6hipcub18BlockScanAlgorithmE0E12hip_bfloat16EvPT2_S4_S3_
	.globl	_Z43inclusive_scan_array_prefix_callback_kernelILj16ELj5ELN6hipcub18BlockScanAlgorithmE0E12hip_bfloat16EvPT2_S4_S3_
	.p2align	8
	.type	_Z43inclusive_scan_array_prefix_callback_kernelILj16ELj5ELN6hipcub18BlockScanAlgorithmE0E12hip_bfloat16EvPT2_S4_S3_,@function
_Z43inclusive_scan_array_prefix_callback_kernelILj16ELj5ELN6hipcub18BlockScanAlgorithmE0E12hip_bfloat16EvPT2_S4_S3_: ; @_Z43inclusive_scan_array_prefix_callback_kernelILj16ELj5ELN6hipcub18BlockScanAlgorithmE0E12hip_bfloat16EvPT2_S4_S3_
; %bb.0:
	s_load_dwordx4 s[0:3], s[4:5], 0x0
	v_lshl_or_b32 v1, s6, 4, v0
	v_lshl_add_u32 v8, v1, 2, v1
	v_mov_b32_e32 v9, 0
	v_lshlrev_b64 v[2:3], 1, v[8:9]
	s_waitcnt lgkmcnt(0)
	v_mov_b32_e32 v1, s1
	v_add_co_u32_e32 v2, vcc, s0, v2
	v_add_u32_e32 v4, 1, v8
	v_mov_b32_e32 v5, v9
	v_addc_co_u32_e32 v3, vcc, v1, v3, vcc
	v_lshlrev_b64 v[4:5], 1, v[4:5]
	v_add_co_u32_e32 v4, vcc, s0, v4
	v_add_u32_e32 v6, 3, v8
	v_mov_b32_e32 v7, v9
	v_addc_co_u32_e32 v5, vcc, v1, v5, vcc
	v_lshlrev_b64 v[6:7], 1, v[6:7]
	v_add_u32_e32 v10, 2, v8
	v_add_co_u32_e32 v6, vcc, s0, v6
	v_add_u32_e32 v8, 4, v8
	v_mov_b32_e32 v11, v9
	v_addc_co_u32_e32 v7, vcc, v1, v7, vcc
	v_lshlrev_b64 v[8:9], 1, v[8:9]
	v_add_co_u32_e32 v8, vcc, s0, v8
	v_addc_co_u32_e32 v9, vcc, v1, v9, vcc
	global_load_ushort v17, v[6:7], off
	global_load_ushort v16, v[8:9], off
	;; [unrolled: 1-line block ×4, first 2 shown]
	v_lshlrev_b64 v[10:11], 1, v[10:11]
	v_add_co_u32_e32 v10, vcc, s0, v10
	v_addc_co_u32_e32 v11, vcc, v1, v11, vcc
	global_load_ushort v1, v[10:11], off
	s_mov_b32 s0, 0x7f800000
                                        ; implicit-def: $vgpr18
	s_waitcnt vmcnt(2)
	v_lshlrev_b32_e32 v13, 16, v13
	s_waitcnt vmcnt(1)
	v_lshlrev_b32_e32 v12, 16, v12
	v_mov_b32_e32 v14, v13
	v_pk_add_f32 v[14:15], v[14:15], v[12:13] op_sel_hi:[0,1]
	v_and_b32_e32 v15, 0x7f800000, v14
	v_cmp_ne_u32_e32 vcc, s0, v15
	s_and_saveexec_b64 s[0:1], vcc
	s_xor_b64 s[0:1], exec, s[0:1]
; %bb.1:
	v_bfe_u32 v15, v14, 16, 1
	s_movk_i32 s7, 0x7fff
	v_add3_u32 v18, v14, v15, s7
                                        ; implicit-def: $vgpr14_vgpr15
; %bb.2:
	s_andn2_saveexec_b64 s[0:1], s[0:1]
; %bb.3:
	v_mov_b32_e32 v15, 0
	v_or_b32_e32 v18, 0x10000, v14
	v_cmp_eq_u32_sdwa vcc, v14, v15 src0_sel:WORD_0 src1_sel:DWORD
	v_cndmask_b32_e32 v18, v18, v14, vcc
; %bb.4:
	s_or_b64 exec, exec, s[0:1]
	v_and_b32_e32 v14, 0xffff0000, v18
	s_waitcnt vmcnt(0)
	v_lshlrev_b32_e32 v1, 16, v1
	v_add_f32_e32 v14, v14, v1
	s_mov_b32 s0, 0x7f800000
	v_and_b32_e32 v15, 0x7f800000, v14
	v_cmp_ne_u32_e32 vcc, s0, v15
                                        ; implicit-def: $vgpr15
	s_and_saveexec_b64 s[0:1], vcc
	s_xor_b64 s[0:1], exec, s[0:1]
; %bb.5:
	v_bfe_u32 v15, v14, 16, 1
	s_movk_i32 s7, 0x7fff
	v_add3_u32 v15, v14, v15, s7
                                        ; implicit-def: $vgpr14
; %bb.6:
	s_andn2_saveexec_b64 s[0:1], s[0:1]
; %bb.7:
	v_mov_b32_e32 v15, 0
	v_or_b32_e32 v18, 0x10000, v14
	v_cmp_eq_u32_sdwa vcc, v14, v15 src0_sel:WORD_0 src1_sel:DWORD
	v_cndmask_b32_e32 v15, v18, v14, vcc
; %bb.8:
	s_or_b64 exec, exec, s[0:1]
	v_and_b32_e32 v15, 0xffff0000, v15
	v_lshlrev_b32_e32 v14, 16, v17
	v_add_f32_e32 v15, v15, v14
	s_mov_b32 s0, 0x7f800000
	v_and_b32_e32 v17, 0x7f800000, v15
	v_cmp_ne_u32_e32 vcc, s0, v17
                                        ; implicit-def: $vgpr17
	s_and_saveexec_b64 s[0:1], vcc
	s_xor_b64 s[0:1], exec, s[0:1]
; %bb.9:
	v_bfe_u32 v17, v15, 16, 1
	s_movk_i32 s7, 0x7fff
	v_add3_u32 v17, v15, v17, s7
                                        ; implicit-def: $vgpr15
; %bb.10:
	s_andn2_saveexec_b64 s[0:1], s[0:1]
; %bb.11:
	v_mov_b32_e32 v17, 0
	v_or_b32_e32 v18, 0x10000, v15
	v_cmp_eq_u32_sdwa vcc, v15, v17 src0_sel:WORD_0 src1_sel:DWORD
	v_cndmask_b32_e32 v17, v18, v15, vcc
; %bb.12:
	s_or_b64 exec, exec, s[0:1]
	v_and_b32_e32 v17, 0xffff0000, v17
	v_lshlrev_b32_e32 v15, 16, v16
	v_add_f32_e32 v16, v17, v15
	s_mov_b32 s0, 0x7f800000
	v_and_b32_e32 v17, 0x7f800000, v16
	v_cmp_ne_u32_e32 vcc, s0, v17
                                        ; implicit-def: $vgpr17
	s_and_saveexec_b64 s[0:1], vcc
	s_xor_b64 s[0:1], exec, s[0:1]
; %bb.13:
	v_bfe_u32 v17, v16, 16, 1
	s_movk_i32 s7, 0x7fff
	v_add3_u32 v17, v16, v17, s7
                                        ; implicit-def: $vgpr16
; %bb.14:
	s_andn2_saveexec_b64 s[0:1], s[0:1]
; %bb.15:
	v_mov_b32_e32 v17, 0
	v_or_b32_e32 v18, 0x10000, v16
	v_cmp_eq_u32_sdwa vcc, v16, v17 src0_sel:WORD_0 src1_sel:DWORD
	v_cndmask_b32_e32 v17, v18, v16, vcc
; %bb.16:
	s_or_b64 exec, exec, s[0:1]
	v_lshrrev_b32_e32 v18, 16, v17
	v_and_b32_e32 v19, 0xffff0000, v17
	s_mov_b32 s0, 0x7f800000
	v_mov_b32_dpp v16, v18 row_shr:1 row_mask:0xf bank_mask:0xf
	v_lshlrev_b32_e32 v16, 16, v16
	v_add_f32_e32 v16, v19, v16
	v_and_b32_e32 v17, 0x7f800000, v16
	v_cmp_ne_u32_e32 vcc, s0, v17
                                        ; implicit-def: $vgpr20
	s_and_saveexec_b64 s[0:1], vcc
	s_xor_b64 s[0:1], exec, s[0:1]
; %bb.17:
	v_bfe_u32 v17, v16, 16, 1
	s_movk_i32 s7, 0x7fff
	v_add3_u32 v20, v16, v17, s7
                                        ; implicit-def: $vgpr16
; %bb.18:
	s_andn2_saveexec_b64 s[0:1], s[0:1]
; %bb.19:
	v_mov_b32_e32 v17, 0
	v_or_b32_e32 v20, 0x10000, v16
	v_cmp_eq_u32_sdwa vcc, v16, v17 src0_sel:WORD_0 src1_sel:DWORD
	v_cndmask_b32_e32 v20, v20, v16, vcc
; %bb.20:
	s_or_b64 exec, exec, s[0:1]
	v_mbcnt_lo_u32_b32 v16, -1, 0
	v_mbcnt_hi_u32_b32 v16, -1, v16
	v_and_b32_e32 v17, 15, v16
	v_lshrrev_b32_e32 v21, 16, v20
	v_cmp_eq_u32_e32 vcc, 0, v17
	v_and_b32_e32 v20, 0xffff0000, v20
	v_cndmask_b32_e32 v18, v21, v18, vcc
	v_cndmask_b32_e32 v19, v20, v19, vcc
	s_mov_b32 s0, 0x7f800000
	v_mov_b32_dpp v20, v18 row_shr:2 row_mask:0xf bank_mask:0xf
	v_lshlrev_b32_e32 v20, 16, v20
	v_add_f32_e32 v20, v19, v20
	v_and_b32_e32 v21, 0x7f800000, v20
	v_cmp_ne_u32_e32 vcc, s0, v21
                                        ; implicit-def: $vgpr21
	s_and_saveexec_b64 s[0:1], vcc
	s_xor_b64 s[0:1], exec, s[0:1]
; %bb.21:
	v_bfe_u32 v21, v20, 16, 1
	s_movk_i32 s7, 0x7fff
	v_add3_u32 v21, v20, v21, s7
                                        ; implicit-def: $vgpr20
; %bb.22:
	s_andn2_saveexec_b64 s[0:1], s[0:1]
; %bb.23:
	v_mov_b32_e32 v21, 0
	v_or_b32_e32 v22, 0x10000, v20
	v_cmp_eq_u32_sdwa vcc, v20, v21 src0_sel:WORD_0 src1_sel:DWORD
	v_cndmask_b32_e32 v21, v22, v20, vcc
; %bb.24:
	s_or_b64 exec, exec, s[0:1]
	v_lshrrev_b32_e32 v20, 16, v21
	v_cmp_lt_u32_e32 vcc, 1, v17
	v_cndmask_b32_e32 v18, v18, v20, vcc
	v_and_b32_e32 v21, 0xffff0000, v21
	v_cndmask_b32_e32 v19, v19, v21, vcc
	v_mov_b32_dpp v20, v18 row_shr:4 row_mask:0xf bank_mask:0xf
	v_lshlrev_b32_e32 v20, 16, v20
	v_add_f32_e32 v20, v19, v20
	s_mov_b32 s0, 0x7f800000
	v_and_b32_e32 v21, 0x7f800000, v20
	v_cmp_ne_u32_e32 vcc, s0, v21
                                        ; implicit-def: $vgpr21
	s_and_saveexec_b64 s[0:1], vcc
	s_xor_b64 s[0:1], exec, s[0:1]
; %bb.25:
	v_bfe_u32 v21, v20, 16, 1
	s_movk_i32 s7, 0x7fff
	v_add3_u32 v21, v20, v21, s7
                                        ; implicit-def: $vgpr20
; %bb.26:
	s_andn2_saveexec_b64 s[0:1], s[0:1]
; %bb.27:
	v_mov_b32_e32 v21, 0
	v_or_b32_e32 v22, 0x10000, v20
	v_cmp_eq_u32_sdwa vcc, v20, v21 src0_sel:WORD_0 src1_sel:DWORD
	v_cndmask_b32_e32 v21, v22, v20, vcc
; %bb.28:
	s_or_b64 exec, exec, s[0:1]
	v_lshrrev_b32_e32 v20, 16, v21
	v_cmp_lt_u32_e32 vcc, 3, v17
	v_cndmask_b32_e32 v18, v18, v20, vcc
	v_and_b32_e32 v21, 0xffff0000, v21
	v_cndmask_b32_e32 v19, v19, v21, vcc
	v_mov_b32_dpp v20, v18 row_shr:8 row_mask:0xf bank_mask:0xf
	v_lshlrev_b32_e32 v20, 16, v20
	v_add_f32_e32 v19, v19, v20
	s_mov_b32 s0, 0x7f800000
	v_and_b32_e32 v20, 0x7f800000, v19
	v_cmp_ne_u32_e32 vcc, s0, v20
                                        ; implicit-def: $vgpr20
	s_and_saveexec_b64 s[0:1], vcc
	s_xor_b64 s[0:1], exec, s[0:1]
; %bb.29:
	v_bfe_u32 v20, v19, 16, 1
	s_movk_i32 s7, 0x7fff
	v_add3_u32 v20, v19, v20, s7
                                        ; implicit-def: $vgpr19
; %bb.30:
	s_andn2_saveexec_b64 s[0:1], s[0:1]
; %bb.31:
	v_mov_b32_e32 v20, 0
	v_or_b32_e32 v21, 0x10000, v19
	v_cmp_eq_u32_sdwa vcc, v19, v20 src0_sel:WORD_0 src1_sel:DWORD
	v_cndmask_b32_e32 v20, v21, v19, vcc
; %bb.32:
	s_or_b64 exec, exec, s[0:1]
	v_lshrrev_b32_e32 v19, 16, v20
	v_cmp_lt_u32_e32 vcc, 7, v17
	v_cndmask_b32_e32 v17, v18, v19, vcc
	v_cmp_eq_u32_e32 vcc, 15, v0
	s_and_saveexec_b64 s[0:1], vcc
	s_cbranch_execz .LBB218_34
; %bb.33:
	v_mov_b32_e32 v18, 0
	ds_write_b16 v18, v17
.LBB218_34:
	s_or_b64 exec, exec, s[0:1]
	v_add_u32_e32 v18, -1, v16
	v_and_b32_e32 v19, 0x70, v16
	v_cmp_lt_i32_e32 vcc, v18, v19
	v_cndmask_b32_e32 v16, v18, v16, vcc
	s_load_dword s7, s[4:5], 0x10
	v_lshlrev_b32_e32 v16, 2, v16
	ds_bpermute_b32 v17, v16, v17
	v_cmp_gt_u32_e32 vcc, 64, v0
	s_waitcnt lgkmcnt(0)
	v_mov_b32_e32 v16, s7
	; wave barrier
	s_and_saveexec_b64 s[0:1], vcc
	s_cbranch_execz .LBB218_42
; %bb.35:
	v_mov_b32_e32 v16, 0
	ds_read_u16 v16, v16
	s_lshl_b32 s4, s7, 16
	s_waitcnt lgkmcnt(0)
	v_lshlrev_b32_e32 v16, 16, v16
	v_pk_add_f32 v[18:19], v[16:17], s[4:5] op_sel_hi:[0,1]
	v_readfirstlane_b32 s8, v18
	s_and_b32 s4, s8, 0x7f800000
	s_cmp_eq_u32 s4, 0x7f800000
	s_cbranch_scc1 .LBB218_37
; %bb.36:
	s_bfe_u32 s4, s8, 0x10010
	s_add_i32 s4, s8, s4
	s_add_i32 s9, s4, 0x7fff
	s_cbranch_execz .LBB218_38
	s_branch .LBB218_39
.LBB218_37:
                                        ; implicit-def: $sgpr9
.LBB218_38:
	s_and_b32 s4, s8, 0xffff
	s_or_b32 s5, s8, 0x10000
	s_cmp_eq_u32 s4, 0
	s_cselect_b32 s9, s8, s5
.LBB218_39:
	s_lshr_b32 s8, s9, 16
	v_cmp_eq_u32_e32 vcc, 0, v0
	s_and_saveexec_b64 s[4:5], vcc
	s_cbranch_execz .LBB218_41
; %bb.40:
	v_mov_b32_e32 v16, 0
	v_mov_b32_e32 v18, s7
	ds_write_b16 v16, v18
.LBB218_41:
	s_or_b64 exec, exec, s[4:5]
	v_mov_b32_e32 v16, s8
.LBB218_42:
	s_or_b64 exec, exec, s[0:1]
	v_mov_b32_e32 v18, 0
	s_waitcnt lgkmcnt(0)
	; wave barrier
	s_waitcnt lgkmcnt(0)
	ds_read_u16 v18, v18
	v_cmp_eq_u32_e32 vcc, 0, v0
	v_cmp_ne_u32_e64 s[0:1], 0, v0
	s_and_saveexec_b64 s[4:5], s[0:1]
	s_cbranch_execz .LBB218_48
; %bb.43:
	v_lshlrev_b32_e32 v0, 16, v17
	v_add_f32_e32 v0, v12, v0
	s_mov_b32 s0, 0x7f800000
	v_and_b32_e32 v12, 0x7f800000, v0
	v_cmp_ne_u32_e64 s[0:1], s0, v12
                                        ; implicit-def: $vgpr12
	s_and_saveexec_b64 s[8:9], s[0:1]
	s_xor_b64 s[0:1], exec, s[8:9]
; %bb.44:
	v_bfe_u32 v12, v0, 16, 1
	s_movk_i32 s7, 0x7fff
	v_add3_u32 v12, v0, v12, s7
                                        ; implicit-def: $vgpr0
; %bb.45:
	s_andn2_saveexec_b64 s[8:9], s[0:1]
; %bb.46:
	v_mov_b32_e32 v12, 0
	v_or_b32_e32 v17, 0x10000, v0
	v_cmp_eq_u32_sdwa s[0:1], v0, v12 src0_sel:WORD_0 src1_sel:DWORD
	v_cndmask_b32_e64 v12, v17, v0, s[0:1]
; %bb.47:
	s_or_b64 exec, exec, s[8:9]
	v_and_b32_e32 v12, 0xffff0000, v12
.LBB218_48:
	s_or_b64 exec, exec, s[4:5]
	s_waitcnt lgkmcnt(0)
	v_lshlrev_b32_e32 v0, 16, v18
	v_add_f32_e32 v12, v12, v0
	s_mov_b32 s0, 0x7f800000
	v_and_b32_e32 v0, 0x7f800000, v12
	v_cmp_ne_u32_e64 s[0:1], s0, v0
                                        ; implicit-def: $vgpr0
	s_and_saveexec_b64 s[4:5], s[0:1]
	s_xor_b64 s[0:1], exec, s[4:5]
; %bb.49:
	v_bfe_u32 v0, v12, 16, 1
	s_movk_i32 s4, 0x7fff
	v_add3_u32 v0, v12, v0, s4
                                        ; implicit-def: $vgpr12
; %bb.50:
	s_andn2_saveexec_b64 s[4:5], s[0:1]
; %bb.51:
	v_mov_b32_e32 v0, 0
	v_or_b32_e32 v17, 0x10000, v12
	v_cmp_eq_u32_sdwa s[0:1], v12, v0 src0_sel:WORD_0 src1_sel:DWORD
	v_cndmask_b32_e64 v0, v17, v12, s[0:1]
; %bb.52:
	s_or_b64 exec, exec, s[4:5]
	v_and_b32_e32 v12, 0xffff0000, v0
	v_add_f32_e32 v13, v13, v12
	s_mov_b32 s0, 0x7f800000
	v_and_b32_e32 v12, 0x7f800000, v13
	v_cmp_ne_u32_e64 s[0:1], s0, v12
                                        ; implicit-def: $vgpr12
	s_and_saveexec_b64 s[4:5], s[0:1]
	s_xor_b64 s[0:1], exec, s[4:5]
; %bb.53:
	v_bfe_u32 v12, v13, 16, 1
	s_movk_i32 s4, 0x7fff
	v_add3_u32 v12, v13, v12, s4
                                        ; implicit-def: $vgpr13
; %bb.54:
	s_andn2_saveexec_b64 s[4:5], s[0:1]
; %bb.55:
	v_mov_b32_e32 v12, 0
	v_or_b32_e32 v17, 0x10000, v13
	v_cmp_eq_u32_sdwa s[0:1], v13, v12 src0_sel:WORD_0 src1_sel:DWORD
	v_cndmask_b32_e64 v12, v17, v13, s[0:1]
; %bb.56:
	s_or_b64 exec, exec, s[4:5]
	v_and_b32_e32 v13, 0xffff0000, v12
	v_add_f32_e32 v13, v13, v1
	s_mov_b32 s0, 0x7f800000
	v_and_b32_e32 v1, 0x7f800000, v13
	v_cmp_ne_u32_e64 s[0:1], s0, v1
                                        ; implicit-def: $vgpr1
	s_and_saveexec_b64 s[4:5], s[0:1]
	s_xor_b64 s[0:1], exec, s[4:5]
; %bb.57:
	v_bfe_u32 v1, v13, 16, 1
	s_movk_i32 s4, 0x7fff
	v_add3_u32 v1, v13, v1, s4
                                        ; implicit-def: $vgpr13
; %bb.58:
	s_andn2_saveexec_b64 s[4:5], s[0:1]
; %bb.59:
	v_mov_b32_e32 v1, 0
	v_or_b32_e32 v17, 0x10000, v13
	v_cmp_eq_u32_sdwa s[0:1], v13, v1 src0_sel:WORD_0 src1_sel:DWORD
	v_cndmask_b32_e64 v1, v17, v13, s[0:1]
; %bb.60:
	s_or_b64 exec, exec, s[4:5]
	v_and_b32_e32 v13, 0xffff0000, v1
	v_add_f32_e32 v14, v13, v14
	s_mov_b32 s0, 0x7f800000
	v_and_b32_e32 v13, 0x7f800000, v14
	v_cmp_ne_u32_e64 s[0:1], s0, v13
                                        ; implicit-def: $vgpr13
	s_and_saveexec_b64 s[4:5], s[0:1]
	s_xor_b64 s[0:1], exec, s[4:5]
; %bb.61:
	v_bfe_u32 v13, v14, 16, 1
	s_movk_i32 s4, 0x7fff
	v_add3_u32 v13, v14, v13, s4
                                        ; implicit-def: $vgpr14
; %bb.62:
	s_andn2_saveexec_b64 s[4:5], s[0:1]
; %bb.63:
	v_mov_b32_e32 v13, 0
	v_or_b32_e32 v17, 0x10000, v14
	v_cmp_eq_u32_sdwa s[0:1], v14, v13 src0_sel:WORD_0 src1_sel:DWORD
	v_cndmask_b32_e64 v13, v17, v14, s[0:1]
; %bb.64:
	s_or_b64 exec, exec, s[4:5]
	v_and_b32_e32 v14, 0xffff0000, v13
	v_add_f32_e32 v14, v14, v15
	s_mov_b32 s0, 0x7f800000
	v_and_b32_e32 v15, 0x7f800000, v14
	v_cmp_ne_u32_e64 s[0:1], s0, v15
                                        ; implicit-def: $vgpr15
	s_and_saveexec_b64 s[4:5], s[0:1]
	s_xor_b64 s[0:1], exec, s[4:5]
; %bb.65:
	v_bfe_u32 v15, v14, 16, 1
	s_movk_i32 s4, 0x7fff
	v_add3_u32 v15, v14, v15, s4
                                        ; implicit-def: $vgpr14
; %bb.66:
	s_andn2_saveexec_b64 s[4:5], s[0:1]
; %bb.67:
	v_mov_b32_e32 v15, 0
	v_or_b32_e32 v17, 0x10000, v14
	v_cmp_eq_u32_sdwa s[0:1], v14, v15 src0_sel:WORD_0 src1_sel:DWORD
	v_cndmask_b32_e64 v15, v17, v14, s[0:1]
; %bb.68:
	s_or_b64 exec, exec, s[4:5]
	global_store_short_d16_hi v[2:3], v0, off
	global_store_short_d16_hi v[4:5], v12, off
	;; [unrolled: 1-line block ×5, first 2 shown]
	s_and_saveexec_b64 s[0:1], vcc
	s_cbranch_execz .LBB218_70
; %bb.69:
	s_mov_b32 s7, 0
	s_lshl_b64 s[0:1], s[6:7], 1
	s_add_u32 s0, s2, s0
	s_addc_u32 s1, s3, s1
	v_mov_b32_e32 v0, 0
	global_store_short v0, v16, s[0:1]
.LBB218_70:
	s_endpgm
	.section	.rodata,"a",@progbits
	.p2align	6, 0x0
	.amdhsa_kernel _Z43inclusive_scan_array_prefix_callback_kernelILj16ELj5ELN6hipcub18BlockScanAlgorithmE0E12hip_bfloat16EvPT2_S4_S3_
		.amdhsa_group_segment_fixed_size 2
		.amdhsa_private_segment_fixed_size 0
		.amdhsa_kernarg_size 20
		.amdhsa_user_sgpr_count 6
		.amdhsa_user_sgpr_private_segment_buffer 1
		.amdhsa_user_sgpr_dispatch_ptr 0
		.amdhsa_user_sgpr_queue_ptr 0
		.amdhsa_user_sgpr_kernarg_segment_ptr 1
		.amdhsa_user_sgpr_dispatch_id 0
		.amdhsa_user_sgpr_flat_scratch_init 0
		.amdhsa_user_sgpr_kernarg_preload_length 0
		.amdhsa_user_sgpr_kernarg_preload_offset 0
		.amdhsa_user_sgpr_private_segment_size 0
		.amdhsa_uses_dynamic_stack 0
		.amdhsa_system_sgpr_private_segment_wavefront_offset 0
		.amdhsa_system_sgpr_workgroup_id_x 1
		.amdhsa_system_sgpr_workgroup_id_y 0
		.amdhsa_system_sgpr_workgroup_id_z 0
		.amdhsa_system_sgpr_workgroup_info 0
		.amdhsa_system_vgpr_workitem_id 0
		.amdhsa_next_free_vgpr 23
		.amdhsa_next_free_sgpr 10
		.amdhsa_accum_offset 24
		.amdhsa_reserve_vcc 1
		.amdhsa_reserve_flat_scratch 0
		.amdhsa_float_round_mode_32 0
		.amdhsa_float_round_mode_16_64 0
		.amdhsa_float_denorm_mode_32 3
		.amdhsa_float_denorm_mode_16_64 3
		.amdhsa_dx10_clamp 1
		.amdhsa_ieee_mode 1
		.amdhsa_fp16_overflow 0
		.amdhsa_tg_split 0
		.amdhsa_exception_fp_ieee_invalid_op 0
		.amdhsa_exception_fp_denorm_src 0
		.amdhsa_exception_fp_ieee_div_zero 0
		.amdhsa_exception_fp_ieee_overflow 0
		.amdhsa_exception_fp_ieee_underflow 0
		.amdhsa_exception_fp_ieee_inexact 0
		.amdhsa_exception_int_div_zero 0
	.end_amdhsa_kernel
	.section	.text._Z43inclusive_scan_array_prefix_callback_kernelILj16ELj5ELN6hipcub18BlockScanAlgorithmE0E12hip_bfloat16EvPT2_S4_S3_,"axG",@progbits,_Z43inclusive_scan_array_prefix_callback_kernelILj16ELj5ELN6hipcub18BlockScanAlgorithmE0E12hip_bfloat16EvPT2_S4_S3_,comdat
.Lfunc_end218:
	.size	_Z43inclusive_scan_array_prefix_callback_kernelILj16ELj5ELN6hipcub18BlockScanAlgorithmE0E12hip_bfloat16EvPT2_S4_S3_, .Lfunc_end218-_Z43inclusive_scan_array_prefix_callback_kernelILj16ELj5ELN6hipcub18BlockScanAlgorithmE0E12hip_bfloat16EvPT2_S4_S3_
                                        ; -- End function
	.section	.AMDGPU.csdata,"",@progbits
; Kernel info:
; codeLenInByte = 2052
; NumSgprs: 14
; NumVgprs: 23
; NumAgprs: 0
; TotalNumVgprs: 23
; ScratchSize: 0
; MemoryBound: 0
; FloatMode: 240
; IeeeMode: 1
; LDSByteSize: 2 bytes/workgroup (compile time only)
; SGPRBlocks: 1
; VGPRBlocks: 2
; NumSGPRsForWavesPerEU: 14
; NumVGPRsForWavesPerEU: 23
; AccumOffset: 24
; Occupancy: 8
; WaveLimiterHint : 0
; COMPUTE_PGM_RSRC2:SCRATCH_EN: 0
; COMPUTE_PGM_RSRC2:USER_SGPR: 6
; COMPUTE_PGM_RSRC2:TRAP_HANDLER: 0
; COMPUTE_PGM_RSRC2:TGID_X_EN: 1
; COMPUTE_PGM_RSRC2:TGID_Y_EN: 0
; COMPUTE_PGM_RSRC2:TGID_Z_EN: 0
; COMPUTE_PGM_RSRC2:TIDIG_COMP_CNT: 0
; COMPUTE_PGM_RSRC3_GFX90A:ACCUM_OFFSET: 5
; COMPUTE_PGM_RSRC3_GFX90A:TG_SPLIT: 0
	.section	.text._Z43inclusive_scan_array_prefix_callback_kernelILj65ELj5ELN6hipcub18BlockScanAlgorithmE0E6__halfEvPT2_S4_S3_,"axG",@progbits,_Z43inclusive_scan_array_prefix_callback_kernelILj65ELj5ELN6hipcub18BlockScanAlgorithmE0E6__halfEvPT2_S4_S3_,comdat
	.protected	_Z43inclusive_scan_array_prefix_callback_kernelILj65ELj5ELN6hipcub18BlockScanAlgorithmE0E6__halfEvPT2_S4_S3_ ; -- Begin function _Z43inclusive_scan_array_prefix_callback_kernelILj65ELj5ELN6hipcub18BlockScanAlgorithmE0E6__halfEvPT2_S4_S3_
	.globl	_Z43inclusive_scan_array_prefix_callback_kernelILj65ELj5ELN6hipcub18BlockScanAlgorithmE0E6__halfEvPT2_S4_S3_
	.p2align	8
	.type	_Z43inclusive_scan_array_prefix_callback_kernelILj65ELj5ELN6hipcub18BlockScanAlgorithmE0E6__halfEvPT2_S4_S3_,@function
_Z43inclusive_scan_array_prefix_callback_kernelILj65ELj5ELN6hipcub18BlockScanAlgorithmE0E6__halfEvPT2_S4_S3_: ; @_Z43inclusive_scan_array_prefix_callback_kernelILj65ELj5ELN6hipcub18BlockScanAlgorithmE0E6__halfEvPT2_S4_S3_
; %bb.0:
	s_load_dwordx4 s[8:11], s[4:5], 0x0
	s_mul_i32 s0, s6, 0x41
	v_add_u32_e32 v1, s0, v0
	v_lshl_add_u32 v10, v1, 2, v1
	v_mov_b32_e32 v11, 0
	v_lshlrev_b64 v[2:3], 1, v[10:11]
	s_waitcnt lgkmcnt(0)
	v_mov_b32_e32 v1, s9
	v_add_co_u32_e32 v2, vcc, s8, v2
	v_add_u32_e32 v4, 1, v10
	v_mov_b32_e32 v5, v11
	v_addc_co_u32_e32 v3, vcc, v1, v3, vcc
	v_lshlrev_b64 v[4:5], 1, v[4:5]
	v_add_co_u32_e32 v4, vcc, s8, v4
	v_add_u32_e32 v6, 2, v10
	v_mov_b32_e32 v7, v11
	v_addc_co_u32_e32 v5, vcc, v1, v5, vcc
	v_lshlrev_b64 v[6:7], 1, v[6:7]
	;; [unrolled: 5-line block ×3, first 2 shown]
	v_add_co_u32_e32 v8, vcc, s8, v8
	v_add_u32_e32 v10, 4, v10
	v_addc_co_u32_e32 v9, vcc, v1, v9, vcc
	v_lshlrev_b64 v[10:11], 1, v[10:11]
	v_add_co_u32_e32 v10, vcc, s8, v10
	v_addc_co_u32_e32 v11, vcc, v1, v11, vcc
	global_load_ushort v14, v[2:3], off
	global_load_ushort v1, v[4:5], off
	;; [unrolled: 1-line block ×5, first 2 shown]
	v_mbcnt_lo_u32_b32 v16, -1, 0
	v_mbcnt_hi_u32_b32 v16, -1, v16
	v_and_b32_e32 v19, 15, v16
	v_cmp_eq_u32_e64 s[2:3], 0, v19
	v_and_b32_e32 v20, 16, v16
	v_cmp_gt_u32_e32 vcc, 64, v0
	v_cndmask_b32_e64 v18, 64, 63, vcc
	v_lshrrev_b32_e32 v17, 6, v0
	v_cmp_lt_u32_e64 s[0:1], 63, v0
	s_waitcnt vmcnt(3)
	v_add_f16_e32 v21, v14, v1
	s_waitcnt vmcnt(2)
	v_add_f16_e32 v21, v21, v12
	;; [unrolled: 2-line block ×4, first 2 shown]
	s_nop 1
	v_mov_b32_dpp v22, v21 row_shr:1 row_mask:0xf bank_mask:0xf
	v_add_f16_e32 v22, v21, v22
	v_cndmask_b32_e64 v21, v22, v21, s[2:3]
	v_and_b32_e32 v22, 0xffff, v21
	v_cmp_lt_u32_e64 s[2:3], 1, v19
	s_nop 0
	v_mov_b32_dpp v22, v22 row_shr:2 row_mask:0xf bank_mask:0xf
	v_add_f16_e32 v22, v21, v22
	v_cndmask_b32_e64 v21, v21, v22, s[2:3]
	v_and_b32_e32 v22, 0xffff, v21
	v_cmp_lt_u32_e64 s[2:3], 3, v19
	;; [unrolled: 6-line block ×3, first 2 shown]
	s_nop 0
	v_mov_b32_dpp v22, v22 row_shr:8 row_mask:0xf bank_mask:0xf
	v_add_f16_e32 v22, v21, v22
	v_cndmask_b32_e64 v19, v21, v22, s[2:3]
	v_and_b32_e32 v21, 0xffff, v19
	v_cmp_eq_u32_e64 s[2:3], 0, v20
	s_nop 0
	v_mov_b32_dpp v21, v21 row_bcast:15 row_mask:0xf bank_mask:0xf
	v_add_f16_e32 v21, v19, v21
	v_cndmask_b32_e64 v19, v21, v19, s[2:3]
	v_and_b32_e32 v20, 0xffff, v19
	v_cmp_lt_u32_e64 s[2:3], 31, v16
	s_nop 0
	v_mov_b32_dpp v20, v20 row_bcast:31 row_mask:0xf bank_mask:0xf
	v_add_f16_e32 v20, v19, v20
	v_cndmask_b32_e64 v19, v19, v20, s[2:3]
	v_cmp_eq_u32_e64 s[2:3], v18, v0
	s_and_saveexec_b64 s[8:9], s[2:3]
	s_cbranch_execz .LBB219_2
; %bb.1:
	v_lshlrev_b32_e32 v18, 1, v17
	ds_write_b16 v18, v19
.LBB219_2:
	s_or_b64 exec, exec, s[8:9]
	s_load_dword s7, s[4:5], 0x10
	v_cmp_gt_u32_e64 s[2:3], 2, v0
	s_waitcnt lgkmcnt(0)
	s_barrier
	s_and_saveexec_b64 s[4:5], s[2:3]
	s_cbranch_execz .LBB219_4
; %bb.3:
	v_lshlrev_b32_e32 v18, 1, v0
	ds_read_u16 v20, v18
	v_and_b32_e32 v21, 1, v16
	v_cmp_eq_u32_e64 s[2:3], 0, v21
	s_waitcnt lgkmcnt(0)
	v_and_b32_e32 v22, 0xffff, v20
	s_nop 1
	v_mov_b32_dpp v22, v22 row_shr:1 row_mask:0xf bank_mask:0xf
	v_add_f16_e32 v22, v20, v22
	v_cndmask_b32_e64 v20, v22, v20, s[2:3]
	ds_write_b16 v18, v20
.LBB219_4:
	s_or_b64 exec, exec, s[4:5]
	s_waitcnt lgkmcnt(0)
	s_barrier
	s_waitcnt lgkmcnt(0)
                                        ; implicit-def: $vgpr18
	s_and_saveexec_b64 s[2:3], s[0:1]
	s_cbranch_execz .LBB219_6
; %bb.5:
	v_lshl_add_u32 v17, v17, 1, -2
	ds_read_u16 v18, v17
	s_waitcnt lgkmcnt(0)
	v_add_f16_e32 v19, v19, v18
.LBB219_6:
	s_or_b64 exec, exec, s[2:3]
	v_and_b32_e32 v17, 0xffff, v19
	v_add_u32_e32 v19, -1, v16
	v_and_b32_e32 v20, 64, v16
	v_cmp_lt_i32_e64 s[0:1], v19, v20
	v_cndmask_b32_e64 v19, v19, v16, s[0:1]
	v_lshlrev_b32_e32 v19, 2, v19
	ds_bpermute_b32 v19, v19, v17
	v_mov_b32_e32 v17, s7
	s_and_saveexec_b64 s[0:1], vcc
	s_cbranch_execz .LBB219_10
; %bb.7:
	v_mov_b32_e32 v20, 0
	ds_read_u16 v17, v20 offset:2
	v_cmp_eq_u32_e32 vcc, 0, v0
	s_and_saveexec_b64 s[2:3], vcc
	s_cbranch_execz .LBB219_9
; %bb.8:
	v_mov_b32_e32 v21, s7
	ds_write_b16 v20, v21 offset:2
.LBB219_9:
	s_or_b64 exec, exec, s[2:3]
	s_waitcnt lgkmcnt(0)
	v_add_f16_e32 v17, s7, v17
.LBB219_10:
	s_or_b64 exec, exec, s[0:1]
	v_mov_b32_e32 v20, 0
	s_waitcnt lgkmcnt(0)
	s_barrier
	ds_read_u16 v21, v20 offset:2
	v_cmp_eq_u32_e32 vcc, 0, v16
	v_cndmask_b32_e32 v16, v19, v18, vcc
	v_add_f16_e32 v16, v14, v16
	v_cmp_eq_u32_e32 vcc, 0, v0
	v_cndmask_b32_e32 v0, v16, v14, vcc
	s_waitcnt lgkmcnt(0)
	v_add_f16_e32 v0, v21, v0
	v_add_f16_e32 v1, v1, v0
	;; [unrolled: 1-line block ×3, first 2 shown]
	s_mov_b32 s7, 0
	v_add_f16_e32 v13, v12, v13
	v_add_f16_e32 v14, v13, v15
	global_store_short v[2:3], v0, off
	global_store_short v[4:5], v1, off
	;; [unrolled: 1-line block ×5, first 2 shown]
	s_and_saveexec_b64 s[0:1], vcc
	s_cbranch_execz .LBB219_12
; %bb.11:
	s_lshl_b64 s[0:1], s[6:7], 1
	s_add_u32 s0, s10, s0
	s_addc_u32 s1, s11, s1
	global_store_short v20, v17, s[0:1]
.LBB219_12:
	s_endpgm
	.section	.rodata,"a",@progbits
	.p2align	6, 0x0
	.amdhsa_kernel _Z43inclusive_scan_array_prefix_callback_kernelILj65ELj5ELN6hipcub18BlockScanAlgorithmE0E6__halfEvPT2_S4_S3_
		.amdhsa_group_segment_fixed_size 4
		.amdhsa_private_segment_fixed_size 0
		.amdhsa_kernarg_size 20
		.amdhsa_user_sgpr_count 6
		.amdhsa_user_sgpr_private_segment_buffer 1
		.amdhsa_user_sgpr_dispatch_ptr 0
		.amdhsa_user_sgpr_queue_ptr 0
		.amdhsa_user_sgpr_kernarg_segment_ptr 1
		.amdhsa_user_sgpr_dispatch_id 0
		.amdhsa_user_sgpr_flat_scratch_init 0
		.amdhsa_user_sgpr_kernarg_preload_length 0
		.amdhsa_user_sgpr_kernarg_preload_offset 0
		.amdhsa_user_sgpr_private_segment_size 0
		.amdhsa_uses_dynamic_stack 0
		.amdhsa_system_sgpr_private_segment_wavefront_offset 0
		.amdhsa_system_sgpr_workgroup_id_x 1
		.amdhsa_system_sgpr_workgroup_id_y 0
		.amdhsa_system_sgpr_workgroup_id_z 0
		.amdhsa_system_sgpr_workgroup_info 0
		.amdhsa_system_vgpr_workitem_id 0
		.amdhsa_next_free_vgpr 23
		.amdhsa_next_free_sgpr 12
		.amdhsa_accum_offset 24
		.amdhsa_reserve_vcc 1
		.amdhsa_reserve_flat_scratch 0
		.amdhsa_float_round_mode_32 0
		.amdhsa_float_round_mode_16_64 0
		.amdhsa_float_denorm_mode_32 3
		.amdhsa_float_denorm_mode_16_64 3
		.amdhsa_dx10_clamp 1
		.amdhsa_ieee_mode 1
		.amdhsa_fp16_overflow 0
		.amdhsa_tg_split 0
		.amdhsa_exception_fp_ieee_invalid_op 0
		.amdhsa_exception_fp_denorm_src 0
		.amdhsa_exception_fp_ieee_div_zero 0
		.amdhsa_exception_fp_ieee_overflow 0
		.amdhsa_exception_fp_ieee_underflow 0
		.amdhsa_exception_fp_ieee_inexact 0
		.amdhsa_exception_int_div_zero 0
	.end_amdhsa_kernel
	.section	.text._Z43inclusive_scan_array_prefix_callback_kernelILj65ELj5ELN6hipcub18BlockScanAlgorithmE0E6__halfEvPT2_S4_S3_,"axG",@progbits,_Z43inclusive_scan_array_prefix_callback_kernelILj65ELj5ELN6hipcub18BlockScanAlgorithmE0E6__halfEvPT2_S4_S3_,comdat
.Lfunc_end219:
	.size	_Z43inclusive_scan_array_prefix_callback_kernelILj65ELj5ELN6hipcub18BlockScanAlgorithmE0E6__halfEvPT2_S4_S3_, .Lfunc_end219-_Z43inclusive_scan_array_prefix_callback_kernelILj65ELj5ELN6hipcub18BlockScanAlgorithmE0E6__halfEvPT2_S4_S3_
                                        ; -- End function
	.section	.AMDGPU.csdata,"",@progbits
; Kernel info:
; codeLenInByte = 932
; NumSgprs: 16
; NumVgprs: 23
; NumAgprs: 0
; TotalNumVgprs: 23
; ScratchSize: 0
; MemoryBound: 0
; FloatMode: 240
; IeeeMode: 1
; LDSByteSize: 4 bytes/workgroup (compile time only)
; SGPRBlocks: 1
; VGPRBlocks: 2
; NumSGPRsForWavesPerEU: 16
; NumVGPRsForWavesPerEU: 23
; AccumOffset: 24
; Occupancy: 8
; WaveLimiterHint : 0
; COMPUTE_PGM_RSRC2:SCRATCH_EN: 0
; COMPUTE_PGM_RSRC2:USER_SGPR: 6
; COMPUTE_PGM_RSRC2:TRAP_HANDLER: 0
; COMPUTE_PGM_RSRC2:TGID_X_EN: 1
; COMPUTE_PGM_RSRC2:TGID_Y_EN: 0
; COMPUTE_PGM_RSRC2:TGID_Z_EN: 0
; COMPUTE_PGM_RSRC2:TIDIG_COMP_CNT: 0
; COMPUTE_PGM_RSRC3_GFX90A:ACCUM_OFFSET: 5
; COMPUTE_PGM_RSRC3_GFX90A:TG_SPLIT: 0
	.section	.text._Z43inclusive_scan_array_prefix_callback_kernelILj255ELj15ELN6hipcub18BlockScanAlgorithmE0EfEvPT2_S3_S2_,"axG",@progbits,_Z43inclusive_scan_array_prefix_callback_kernelILj255ELj15ELN6hipcub18BlockScanAlgorithmE0EfEvPT2_S3_S2_,comdat
	.protected	_Z43inclusive_scan_array_prefix_callback_kernelILj255ELj15ELN6hipcub18BlockScanAlgorithmE0EfEvPT2_S3_S2_ ; -- Begin function _Z43inclusive_scan_array_prefix_callback_kernelILj255ELj15ELN6hipcub18BlockScanAlgorithmE0EfEvPT2_S3_S2_
	.globl	_Z43inclusive_scan_array_prefix_callback_kernelILj255ELj15ELN6hipcub18BlockScanAlgorithmE0EfEvPT2_S3_S2_
	.p2align	8
	.type	_Z43inclusive_scan_array_prefix_callback_kernelILj255ELj15ELN6hipcub18BlockScanAlgorithmE0EfEvPT2_S3_S2_,@function
_Z43inclusive_scan_array_prefix_callback_kernelILj255ELj15ELN6hipcub18BlockScanAlgorithmE0EfEvPT2_S3_S2_: ; @_Z43inclusive_scan_array_prefix_callback_kernelILj255ELj15ELN6hipcub18BlockScanAlgorithmE0EfEvPT2_S3_S2_
; %bb.0:
	s_load_dwordx4 s[0:3], s[4:5], 0x0
	s_mul_i32 s7, s6, 0xff
	v_add_u32_e32 v1, s7, v0
	v_mul_lo_u32 v30, v1, 15
	v_mov_b32_e32 v31, 0
	v_lshlrev_b64 v[2:3], 2, v[30:31]
	s_waitcnt lgkmcnt(0)
	v_mov_b32_e32 v1, s1
	v_add_co_u32_e32 v2, vcc, s0, v2
	v_add_u32_e32 v4, 1, v30
	v_mov_b32_e32 v5, v31
	v_addc_co_u32_e32 v3, vcc, v1, v3, vcc
	v_lshlrev_b64 v[4:5], 2, v[4:5]
	v_add_co_u32_e32 v4, vcc, s0, v4
	v_add_u32_e32 v6, 2, v30
	v_mov_b32_e32 v7, v31
	v_addc_co_u32_e32 v5, vcc, v1, v5, vcc
	v_lshlrev_b64 v[6:7], 2, v[6:7]
	;; [unrolled: 5-line block ×8, first 2 shown]
	v_mov_b32_e32 v20, s1
	v_add_co_u32_e32 v18, vcc, s0, v18
	v_addc_co_u32_e32 v19, vcc, v20, v19, vcc
	v_add_u32_e32 v20, 9, v30
	v_mov_b32_e32 v21, v31
	v_lshlrev_b64 v[20:21], 2, v[20:21]
	v_mov_b32_e32 v22, s1
	v_add_co_u32_e32 v20, vcc, s0, v20
	v_addc_co_u32_e32 v21, vcc, v22, v21, vcc
	v_add_u32_e32 v22, 10, v30
	v_mov_b32_e32 v23, v31
	v_lshlrev_b64 v[22:23], 2, v[22:23]
	;; [unrolled: 6-line block ×3, first 2 shown]
	v_mov_b32_e32 v26, s1
	v_add_co_u32_e32 v24, vcc, s0, v24
	v_addc_co_u32_e32 v25, vcc, v26, v25, vcc
	v_add_u32_e32 v26, 12, v30
	v_mov_b32_e32 v27, v31
	global_load_dword v37, v[2:3], off
	global_load_dword v1, v[4:5], off
	;; [unrolled: 1-line block ×8, first 2 shown]
	v_lshlrev_b64 v[26:27], 2, v[26:27]
	v_mov_b32_e32 v28, s1
	v_add_co_u32_e32 v26, vcc, s0, v26
	v_addc_co_u32_e32 v27, vcc, v28, v27, vcc
	v_add_u32_e32 v28, 13, v30
	v_mov_b32_e32 v29, v31
	v_lshlrev_b64 v[28:29], 2, v[28:29]
	v_mov_b32_e32 v39, s1
	v_add_co_u32_e32 v28, vcc, s0, v28
	v_add_u32_e32 v30, 14, v30
	v_addc_co_u32_e32 v29, vcc, v39, v29, vcc
	v_lshlrev_b64 v[30:31], 2, v[30:31]
	v_add_co_u32_e32 v30, vcc, s0, v30
	v_addc_co_u32_e32 v31, vcc, v39, v31, vcc
	global_load_dword v39, v[18:19], off
	global_load_dword v40, v[20:21], off
	;; [unrolled: 1-line block ×7, first 2 shown]
	s_waitcnt vmcnt(13)
	v_add_f32_e32 v46, v37, v1
	s_waitcnt vmcnt(12)
	v_add_f32_e32 v46, v32, v46
	;; [unrolled: 2-line block ×14, first 2 shown]
	v_mbcnt_lo_u32_b32 v46, -1, 0
	v_mbcnt_hi_u32_b32 v46, -1, v46
	v_and_b32_e32 v48, 15, v46
	v_mov_b32_dpp v49, v47 row_shr:1 row_mask:0xf bank_mask:0xf
	v_add_f32_e32 v49, v47, v49
	v_cmp_eq_u32_e32 vcc, 0, v48
	v_cndmask_b32_e32 v47, v49, v47, vcc
	v_cmp_lt_u32_e32 vcc, 1, v48
	s_nop 0
	v_mov_b32_dpp v49, v47 row_shr:2 row_mask:0xf bank_mask:0xf
	v_add_f32_e32 v49, v47, v49
	v_cndmask_b32_e32 v47, v47, v49, vcc
	v_cmp_lt_u32_e32 vcc, 3, v48
	s_nop 0
	v_mov_b32_dpp v49, v47 row_shr:4 row_mask:0xf bank_mask:0xf
	v_add_f32_e32 v49, v47, v49
	;; [unrolled: 5-line block ×3, first 2 shown]
	v_cndmask_b32_e32 v47, v47, v49, vcc
	v_and_b32_e32 v49, 16, v46
	v_cmp_eq_u32_e32 vcc, 0, v49
	v_mov_b32_dpp v48, v47 row_bcast:15 row_mask:0xf bank_mask:0xf
	v_add_f32_e32 v48, v47, v48
	v_cndmask_b32_e32 v47, v48, v47, vcc
	v_cmp_lt_u32_e32 vcc, 31, v46
	v_lshrrev_b32_e32 v49, 6, v0
	v_mov_b32_dpp v48, v47 row_bcast:31 row_mask:0xf bank_mask:0xf
	v_add_f32_e32 v48, v47, v48
	v_cndmask_b32_e32 v47, v47, v48, vcc
	v_and_b32_e32 v48, 0xc0, v0
	v_min_u32_e32 v48, 0xbf, v48
	v_add_u32_e32 v48, 63, v48
	v_cmp_eq_u32_e32 vcc, v48, v0
	s_and_saveexec_b64 s[0:1], vcc
	s_cbranch_execz .LBB220_2
; %bb.1:
	v_lshlrev_b32_e32 v48, 2, v49
	ds_write_b32 v48, v47
.LBB220_2:
	s_or_b64 exec, exec, s[0:1]
	v_cmp_gt_u32_e32 vcc, 4, v0
	s_waitcnt lgkmcnt(0)
	s_barrier
	s_and_saveexec_b64 s[0:1], vcc
	s_cbranch_execz .LBB220_4
; %bb.3:
	v_lshlrev_b32_e32 v48, 2, v0
	ds_read_b32 v50, v48
	v_and_b32_e32 v51, 3, v46
	v_cmp_eq_u32_e32 vcc, 0, v51
	s_waitcnt lgkmcnt(0)
	v_mov_b32_dpp v52, v50 row_shr:1 row_mask:0xf bank_mask:0xf
	v_add_f32_e32 v52, v50, v52
	v_cndmask_b32_e32 v50, v52, v50, vcc
	v_cmp_lt_u32_e32 vcc, 1, v51
	s_nop 0
	v_mov_b32_dpp v52, v50 row_shr:2 row_mask:0xf bank_mask:0xf
	v_add_f32_e32 v52, v50, v52
	v_cndmask_b32_e32 v50, v50, v52, vcc
	ds_write_b32 v48, v50
.LBB220_4:
	s_or_b64 exec, exec, s[0:1]
	v_cmp_gt_u32_e32 vcc, 64, v0
	v_cmp_lt_u32_e64 s[0:1], 63, v0
	s_waitcnt lgkmcnt(0)
	s_barrier
	s_waitcnt lgkmcnt(0)
                                        ; implicit-def: $vgpr48
	s_and_saveexec_b64 s[8:9], s[0:1]
	s_cbranch_execz .LBB220_6
; %bb.5:
	v_lshl_add_u32 v48, v49, 2, -4
	ds_read_b32 v48, v48
	s_waitcnt lgkmcnt(0)
	v_add_f32_e32 v47, v47, v48
.LBB220_6:
	s_or_b64 exec, exec, s[8:9]
	v_add_u32_e32 v49, -1, v46
	v_and_b32_e32 v50, 64, v46
	v_cmp_lt_i32_e64 s[0:1], v49, v50
	v_cndmask_b32_e64 v49, v49, v46, s[0:1]
	s_load_dword s7, s[4:5], 0x10
	v_lshlrev_b32_e32 v49, 2, v49
	ds_bpermute_b32 v50, v49, v47
	s_waitcnt lgkmcnt(0)
	v_mov_b32_e32 v47, s7
	s_and_saveexec_b64 s[0:1], vcc
	s_cbranch_execz .LBB220_10
; %bb.7:
	v_mov_b32_e32 v49, 0
	ds_read_b32 v47, v49 offset:12
	v_cmp_eq_u32_e32 vcc, 0, v0
	s_and_saveexec_b64 s[4:5], vcc
	s_cbranch_execz .LBB220_9
; %bb.8:
	v_mov_b32_e32 v51, s7
	ds_write_b32 v49, v51 offset:12
.LBB220_9:
	s_or_b64 exec, exec, s[4:5]
	s_waitcnt lgkmcnt(0)
	v_add_f32_e32 v47, s7, v47
.LBB220_10:
	s_or_b64 exec, exec, s[0:1]
	v_mov_b32_e32 v49, 0
	s_barrier
	ds_read_b32 v51, v49 offset:12
	v_cmp_eq_u32_e32 vcc, 0, v46
	v_cndmask_b32_e32 v46, v50, v48, vcc
	v_add_f32_e32 v46, v37, v46
	v_cmp_eq_u32_e32 vcc, 0, v0
	v_cndmask_b32_e32 v0, v46, v37, vcc
	s_waitcnt lgkmcnt(0)
	v_add_f32_e32 v0, v0, v51
	v_add_f32_e32 v1, v1, v0
	;; [unrolled: 1-line block ×13, first 2 shown]
	s_mov_b32 s7, 0
	v_add_f32_e32 v43, v44, v42
	v_add_f32_e32 v44, v45, v43
	global_store_dword v[2:3], v0, off
	global_store_dword v[4:5], v1, off
	;; [unrolled: 1-line block ×15, first 2 shown]
	s_and_saveexec_b64 s[0:1], vcc
	s_cbranch_execz .LBB220_12
; %bb.11:
	s_lshl_b64 s[0:1], s[6:7], 2
	s_add_u32 s0, s2, s0
	s_addc_u32 s1, s3, s1
	global_store_dword v49, v47, s[0:1]
.LBB220_12:
	s_endpgm
	.section	.rodata,"a",@progbits
	.p2align	6, 0x0
	.amdhsa_kernel _Z43inclusive_scan_array_prefix_callback_kernelILj255ELj15ELN6hipcub18BlockScanAlgorithmE0EfEvPT2_S3_S2_
		.amdhsa_group_segment_fixed_size 16
		.amdhsa_private_segment_fixed_size 0
		.amdhsa_kernarg_size 20
		.amdhsa_user_sgpr_count 6
		.amdhsa_user_sgpr_private_segment_buffer 1
		.amdhsa_user_sgpr_dispatch_ptr 0
		.amdhsa_user_sgpr_queue_ptr 0
		.amdhsa_user_sgpr_kernarg_segment_ptr 1
		.amdhsa_user_sgpr_dispatch_id 0
		.amdhsa_user_sgpr_flat_scratch_init 0
		.amdhsa_user_sgpr_kernarg_preload_length 0
		.amdhsa_user_sgpr_kernarg_preload_offset 0
		.amdhsa_user_sgpr_private_segment_size 0
		.amdhsa_uses_dynamic_stack 0
		.amdhsa_system_sgpr_private_segment_wavefront_offset 0
		.amdhsa_system_sgpr_workgroup_id_x 1
		.amdhsa_system_sgpr_workgroup_id_y 0
		.amdhsa_system_sgpr_workgroup_id_z 0
		.amdhsa_system_sgpr_workgroup_info 0
		.amdhsa_system_vgpr_workitem_id 0
		.amdhsa_next_free_vgpr 53
		.amdhsa_next_free_sgpr 10
		.amdhsa_accum_offset 56
		.amdhsa_reserve_vcc 1
		.amdhsa_reserve_flat_scratch 0
		.amdhsa_float_round_mode_32 0
		.amdhsa_float_round_mode_16_64 0
		.amdhsa_float_denorm_mode_32 3
		.amdhsa_float_denorm_mode_16_64 3
		.amdhsa_dx10_clamp 1
		.amdhsa_ieee_mode 1
		.amdhsa_fp16_overflow 0
		.amdhsa_tg_split 0
		.amdhsa_exception_fp_ieee_invalid_op 0
		.amdhsa_exception_fp_denorm_src 0
		.amdhsa_exception_fp_ieee_div_zero 0
		.amdhsa_exception_fp_ieee_overflow 0
		.amdhsa_exception_fp_ieee_underflow 0
		.amdhsa_exception_fp_ieee_inexact 0
		.amdhsa_exception_int_div_zero 0
	.end_amdhsa_kernel
	.section	.text._Z43inclusive_scan_array_prefix_callback_kernelILj255ELj15ELN6hipcub18BlockScanAlgorithmE0EfEvPT2_S3_S2_,"axG",@progbits,_Z43inclusive_scan_array_prefix_callback_kernelILj255ELj15ELN6hipcub18BlockScanAlgorithmE0EfEvPT2_S3_S2_,comdat
.Lfunc_end220:
	.size	_Z43inclusive_scan_array_prefix_callback_kernelILj255ELj15ELN6hipcub18BlockScanAlgorithmE0EfEvPT2_S3_S2_, .Lfunc_end220-_Z43inclusive_scan_array_prefix_callback_kernelILj255ELj15ELN6hipcub18BlockScanAlgorithmE0EfEvPT2_S3_S2_
                                        ; -- End function
	.section	.AMDGPU.csdata,"",@progbits
; Kernel info:
; codeLenInByte = 1376
; NumSgprs: 14
; NumVgprs: 53
; NumAgprs: 0
; TotalNumVgprs: 53
; ScratchSize: 0
; MemoryBound: 0
; FloatMode: 240
; IeeeMode: 1
; LDSByteSize: 16 bytes/workgroup (compile time only)
; SGPRBlocks: 1
; VGPRBlocks: 6
; NumSGPRsForWavesPerEU: 14
; NumVGPRsForWavesPerEU: 53
; AccumOffset: 56
; Occupancy: 8
; WaveLimiterHint : 0
; COMPUTE_PGM_RSRC2:SCRATCH_EN: 0
; COMPUTE_PGM_RSRC2:USER_SGPR: 6
; COMPUTE_PGM_RSRC2:TRAP_HANDLER: 0
; COMPUTE_PGM_RSRC2:TGID_X_EN: 1
; COMPUTE_PGM_RSRC2:TGID_Y_EN: 0
; COMPUTE_PGM_RSRC2:TGID_Z_EN: 0
; COMPUTE_PGM_RSRC2:TIDIG_COMP_CNT: 0
; COMPUTE_PGM_RSRC3_GFX90A:ACCUM_OFFSET: 13
; COMPUTE_PGM_RSRC3_GFX90A:TG_SPLIT: 0
	.section	.text._Z43inclusive_scan_array_prefix_callback_kernelILj162ELj7ELN6hipcub18BlockScanAlgorithmE0EfEvPT2_S3_S2_,"axG",@progbits,_Z43inclusive_scan_array_prefix_callback_kernelILj162ELj7ELN6hipcub18BlockScanAlgorithmE0EfEvPT2_S3_S2_,comdat
	.protected	_Z43inclusive_scan_array_prefix_callback_kernelILj162ELj7ELN6hipcub18BlockScanAlgorithmE0EfEvPT2_S3_S2_ ; -- Begin function _Z43inclusive_scan_array_prefix_callback_kernelILj162ELj7ELN6hipcub18BlockScanAlgorithmE0EfEvPT2_S3_S2_
	.globl	_Z43inclusive_scan_array_prefix_callback_kernelILj162ELj7ELN6hipcub18BlockScanAlgorithmE0EfEvPT2_S3_S2_
	.p2align	8
	.type	_Z43inclusive_scan_array_prefix_callback_kernelILj162ELj7ELN6hipcub18BlockScanAlgorithmE0EfEvPT2_S3_S2_,@function
_Z43inclusive_scan_array_prefix_callback_kernelILj162ELj7ELN6hipcub18BlockScanAlgorithmE0EfEvPT2_S3_S2_: ; @_Z43inclusive_scan_array_prefix_callback_kernelILj162ELj7ELN6hipcub18BlockScanAlgorithmE0EfEvPT2_S3_S2_
; %bb.0:
	s_load_dwordx4 s[0:3], s[4:5], 0x0
	s_mul_i32 s7, s6, 0xa2
	v_add_u32_e32 v1, s7, v0
	v_mul_lo_u32 v14, v1, 7
	v_mov_b32_e32 v15, 0
	v_lshlrev_b64 v[2:3], 2, v[14:15]
	s_waitcnt lgkmcnt(0)
	v_mov_b32_e32 v1, s1
	v_add_co_u32_e32 v2, vcc, s0, v2
	v_add_u32_e32 v4, 1, v14
	v_mov_b32_e32 v5, v15
	v_addc_co_u32_e32 v3, vcc, v1, v3, vcc
	v_lshlrev_b64 v[4:5], 2, v[4:5]
	v_add_co_u32_e32 v4, vcc, s0, v4
	v_add_u32_e32 v6, 2, v14
	v_mov_b32_e32 v7, v15
	v_addc_co_u32_e32 v5, vcc, v1, v5, vcc
	v_lshlrev_b64 v[6:7], 2, v[6:7]
	;; [unrolled: 5-line block ×5, first 2 shown]
	v_add_co_u32_e32 v12, vcc, s0, v12
	v_add_u32_e32 v14, 6, v14
	v_addc_co_u32_e32 v13, vcc, v1, v13, vcc
	v_lshlrev_b64 v[14:15], 2, v[14:15]
	v_add_co_u32_e32 v14, vcc, s0, v14
	v_addc_co_u32_e32 v15, vcc, v1, v15, vcc
	global_load_dword v20, v[2:3], off
	global_load_dword v1, v[4:5], off
	;; [unrolled: 1-line block ×7, first 2 shown]
	v_and_b32_e32 v24, 0xc0, v0
	v_min_u32_e32 v24, 0x62, v24
	v_add_u32_e32 v27, 63, v24
	v_mbcnt_lo_u32_b32 v22, -1, 0
	v_mbcnt_hi_u32_b32 v22, -1, v22
	v_and_b32_e32 v25, 15, v22
	v_cmp_eq_u32_e32 vcc, 0, v25
	v_and_b32_e32 v26, 16, v22
	v_lshrrev_b32_e32 v23, 6, v0
	s_waitcnt vmcnt(5)
	v_add_f32_e32 v24, v20, v1
	s_waitcnt vmcnt(4)
	v_add_f32_e32 v24, v16, v24
	;; [unrolled: 2-line block ×6, first 2 shown]
	s_nop 1
	v_mov_b32_dpp v28, v24 row_shr:1 row_mask:0xf bank_mask:0xf
	v_add_f32_e32 v28, v24, v28
	v_cndmask_b32_e32 v24, v28, v24, vcc
	v_cmp_lt_u32_e32 vcc, 1, v25
	s_nop 0
	v_mov_b32_dpp v28, v24 row_shr:2 row_mask:0xf bank_mask:0xf
	v_add_f32_e32 v28, v24, v28
	v_cndmask_b32_e32 v24, v24, v28, vcc
	v_cmp_lt_u32_e32 vcc, 3, v25
	;; [unrolled: 5-line block ×3, first 2 shown]
	s_nop 0
	v_mov_b32_dpp v28, v24 row_shr:8 row_mask:0xf bank_mask:0xf
	v_add_f32_e32 v28, v24, v28
	v_cndmask_b32_e32 v24, v24, v28, vcc
	v_cmp_eq_u32_e32 vcc, 0, v26
	s_nop 0
	v_mov_b32_dpp v25, v24 row_bcast:15 row_mask:0xf bank_mask:0xf
	v_add_f32_e32 v25, v24, v25
	v_cndmask_b32_e32 v24, v25, v24, vcc
	v_cmp_lt_u32_e32 vcc, 31, v22
	s_nop 0
	v_mov_b32_dpp v25, v24 row_bcast:31 row_mask:0xf bank_mask:0xf
	v_add_f32_e32 v25, v24, v25
	v_cndmask_b32_e32 v24, v24, v25, vcc
	v_cmp_eq_u32_e32 vcc, v27, v0
	s_and_saveexec_b64 s[0:1], vcc
	s_cbranch_execz .LBB221_2
; %bb.1:
	v_lshlrev_b32_e32 v25, 2, v23
	ds_write_b32 v25, v24
.LBB221_2:
	s_or_b64 exec, exec, s[0:1]
	v_cmp_gt_u32_e32 vcc, 3, v0
	s_waitcnt lgkmcnt(0)
	s_barrier
	s_and_saveexec_b64 s[0:1], vcc
	s_cbranch_execz .LBB221_4
; %bb.3:
	v_lshlrev_b32_e32 v25, 2, v0
	ds_read_b32 v26, v25
	v_and_b32_e32 v27, 3, v22
	v_cmp_eq_u32_e32 vcc, 0, v27
	s_waitcnt lgkmcnt(0)
	v_mov_b32_dpp v28, v26 row_shr:1 row_mask:0xf bank_mask:0xf
	v_add_f32_e32 v28, v26, v28
	v_cndmask_b32_e32 v26, v28, v26, vcc
	v_cmp_lt_u32_e32 vcc, 1, v27
	s_nop 0
	v_mov_b32_dpp v28, v26 row_shr:2 row_mask:0xf bank_mask:0xf
	v_add_f32_e32 v28, v26, v28
	v_cndmask_b32_e32 v26, v26, v28, vcc
	ds_write_b32 v25, v26
.LBB221_4:
	s_or_b64 exec, exec, s[0:1]
	v_cmp_gt_u32_e32 vcc, 64, v0
	v_cmp_lt_u32_e64 s[0:1], 63, v0
	s_waitcnt lgkmcnt(0)
	s_barrier
	s_waitcnt lgkmcnt(0)
                                        ; implicit-def: $vgpr25
	s_and_saveexec_b64 s[8:9], s[0:1]
	s_cbranch_execz .LBB221_6
; %bb.5:
	v_lshl_add_u32 v23, v23, 2, -4
	ds_read_b32 v25, v23
	s_waitcnt lgkmcnt(0)
	v_add_f32_e32 v24, v24, v25
.LBB221_6:
	s_or_b64 exec, exec, s[8:9]
	v_add_u32_e32 v23, -1, v22
	v_and_b32_e32 v26, 64, v22
	v_cmp_lt_i32_e64 s[0:1], v23, v26
	v_cndmask_b32_e64 v23, v23, v22, s[0:1]
	s_load_dword s7, s[4:5], 0x10
	v_lshlrev_b32_e32 v23, 2, v23
	ds_bpermute_b32 v24, v23, v24
	s_waitcnt lgkmcnt(0)
	v_mov_b32_e32 v23, s7
	s_and_saveexec_b64 s[0:1], vcc
	s_cbranch_execz .LBB221_10
; %bb.7:
	v_mov_b32_e32 v26, 0
	ds_read_b32 v23, v26 offset:8
	v_cmp_eq_u32_e32 vcc, 0, v0
	s_and_saveexec_b64 s[4:5], vcc
	s_cbranch_execz .LBB221_9
; %bb.8:
	v_mov_b32_e32 v27, s7
	ds_write_b32 v26, v27 offset:8
.LBB221_9:
	s_or_b64 exec, exec, s[4:5]
	s_waitcnt lgkmcnt(0)
	v_add_f32_e32 v23, s7, v23
.LBB221_10:
	s_or_b64 exec, exec, s[0:1]
	v_mov_b32_e32 v26, 0
	s_barrier
	ds_read_b32 v27, v26 offset:8
	v_cmp_eq_u32_e32 vcc, 0, v22
	v_cndmask_b32_e32 v22, v24, v25, vcc
	v_add_f32_e32 v22, v20, v22
	v_cmp_eq_u32_e32 vcc, 0, v0
	v_cndmask_b32_e32 v0, v22, v20, vcc
	s_waitcnt lgkmcnt(0)
	v_add_f32_e32 v0, v0, v27
	v_add_f32_e32 v1, v1, v0
	;; [unrolled: 1-line block ×5, first 2 shown]
	s_mov_b32 s7, 0
	v_add_f32_e32 v19, v19, v18
	v_add_f32_e32 v20, v21, v19
	global_store_dword v[2:3], v0, off
	global_store_dword v[4:5], v1, off
	;; [unrolled: 1-line block ×7, first 2 shown]
	s_and_saveexec_b64 s[0:1], vcc
	s_cbranch_execz .LBB221_12
; %bb.11:
	s_lshl_b64 s[0:1], s[6:7], 2
	s_add_u32 s0, s2, s0
	s_addc_u32 s1, s3, s1
	global_store_dword v26, v23, s[0:1]
.LBB221_12:
	s_endpgm
	.section	.rodata,"a",@progbits
	.p2align	6, 0x0
	.amdhsa_kernel _Z43inclusive_scan_array_prefix_callback_kernelILj162ELj7ELN6hipcub18BlockScanAlgorithmE0EfEvPT2_S3_S2_
		.amdhsa_group_segment_fixed_size 12
		.amdhsa_private_segment_fixed_size 0
		.amdhsa_kernarg_size 20
		.amdhsa_user_sgpr_count 6
		.amdhsa_user_sgpr_private_segment_buffer 1
		.amdhsa_user_sgpr_dispatch_ptr 0
		.amdhsa_user_sgpr_queue_ptr 0
		.amdhsa_user_sgpr_kernarg_segment_ptr 1
		.amdhsa_user_sgpr_dispatch_id 0
		.amdhsa_user_sgpr_flat_scratch_init 0
		.amdhsa_user_sgpr_kernarg_preload_length 0
		.amdhsa_user_sgpr_kernarg_preload_offset 0
		.amdhsa_user_sgpr_private_segment_size 0
		.amdhsa_uses_dynamic_stack 0
		.amdhsa_system_sgpr_private_segment_wavefront_offset 0
		.amdhsa_system_sgpr_workgroup_id_x 1
		.amdhsa_system_sgpr_workgroup_id_y 0
		.amdhsa_system_sgpr_workgroup_id_z 0
		.amdhsa_system_sgpr_workgroup_info 0
		.amdhsa_system_vgpr_workitem_id 0
		.amdhsa_next_free_vgpr 29
		.amdhsa_next_free_sgpr 10
		.amdhsa_accum_offset 32
		.amdhsa_reserve_vcc 1
		.amdhsa_reserve_flat_scratch 0
		.amdhsa_float_round_mode_32 0
		.amdhsa_float_round_mode_16_64 0
		.amdhsa_float_denorm_mode_32 3
		.amdhsa_float_denorm_mode_16_64 3
		.amdhsa_dx10_clamp 1
		.amdhsa_ieee_mode 1
		.amdhsa_fp16_overflow 0
		.amdhsa_tg_split 0
		.amdhsa_exception_fp_ieee_invalid_op 0
		.amdhsa_exception_fp_denorm_src 0
		.amdhsa_exception_fp_ieee_div_zero 0
		.amdhsa_exception_fp_ieee_overflow 0
		.amdhsa_exception_fp_ieee_underflow 0
		.amdhsa_exception_fp_ieee_inexact 0
		.amdhsa_exception_int_div_zero 0
	.end_amdhsa_kernel
	.section	.text._Z43inclusive_scan_array_prefix_callback_kernelILj162ELj7ELN6hipcub18BlockScanAlgorithmE0EfEvPT2_S3_S2_,"axG",@progbits,_Z43inclusive_scan_array_prefix_callback_kernelILj162ELj7ELN6hipcub18BlockScanAlgorithmE0EfEvPT2_S3_S2_,comdat
.Lfunc_end221:
	.size	_Z43inclusive_scan_array_prefix_callback_kernelILj162ELj7ELN6hipcub18BlockScanAlgorithmE0EfEvPT2_S3_S2_, .Lfunc_end221-_Z43inclusive_scan_array_prefix_callback_kernelILj162ELj7ELN6hipcub18BlockScanAlgorithmE0EfEvPT2_S3_S2_
                                        ; -- End function
	.section	.AMDGPU.csdata,"",@progbits
; Kernel info:
; codeLenInByte = 948
; NumSgprs: 14
; NumVgprs: 29
; NumAgprs: 0
; TotalNumVgprs: 29
; ScratchSize: 0
; MemoryBound: 0
; FloatMode: 240
; IeeeMode: 1
; LDSByteSize: 12 bytes/workgroup (compile time only)
; SGPRBlocks: 1
; VGPRBlocks: 3
; NumSGPRsForWavesPerEU: 14
; NumVGPRsForWavesPerEU: 29
; AccumOffset: 32
; Occupancy: 8
; WaveLimiterHint : 0
; COMPUTE_PGM_RSRC2:SCRATCH_EN: 0
; COMPUTE_PGM_RSRC2:USER_SGPR: 6
; COMPUTE_PGM_RSRC2:TRAP_HANDLER: 0
; COMPUTE_PGM_RSRC2:TGID_X_EN: 1
; COMPUTE_PGM_RSRC2:TGID_Y_EN: 0
; COMPUTE_PGM_RSRC2:TGID_Z_EN: 0
; COMPUTE_PGM_RSRC2:TIDIG_COMP_CNT: 0
; COMPUTE_PGM_RSRC3_GFX90A:ACCUM_OFFSET: 7
; COMPUTE_PGM_RSRC3_GFX90A:TG_SPLIT: 0
	.section	.text._Z43inclusive_scan_array_prefix_callback_kernelILj65ELj5ELN6hipcub18BlockScanAlgorithmE0EfEvPT2_S3_S2_,"axG",@progbits,_Z43inclusive_scan_array_prefix_callback_kernelILj65ELj5ELN6hipcub18BlockScanAlgorithmE0EfEvPT2_S3_S2_,comdat
	.protected	_Z43inclusive_scan_array_prefix_callback_kernelILj65ELj5ELN6hipcub18BlockScanAlgorithmE0EfEvPT2_S3_S2_ ; -- Begin function _Z43inclusive_scan_array_prefix_callback_kernelILj65ELj5ELN6hipcub18BlockScanAlgorithmE0EfEvPT2_S3_S2_
	.globl	_Z43inclusive_scan_array_prefix_callback_kernelILj65ELj5ELN6hipcub18BlockScanAlgorithmE0EfEvPT2_S3_S2_
	.p2align	8
	.type	_Z43inclusive_scan_array_prefix_callback_kernelILj65ELj5ELN6hipcub18BlockScanAlgorithmE0EfEvPT2_S3_S2_,@function
_Z43inclusive_scan_array_prefix_callback_kernelILj65ELj5ELN6hipcub18BlockScanAlgorithmE0EfEvPT2_S3_S2_: ; @_Z43inclusive_scan_array_prefix_callback_kernelILj65ELj5ELN6hipcub18BlockScanAlgorithmE0EfEvPT2_S3_S2_
; %bb.0:
	s_load_dwordx4 s[8:11], s[4:5], 0x0
	s_mul_i32 s0, s6, 0x41
	v_add_u32_e32 v1, s0, v0
	v_lshl_add_u32 v10, v1, 2, v1
	v_mov_b32_e32 v11, 0
	v_lshlrev_b64 v[2:3], 2, v[10:11]
	s_waitcnt lgkmcnt(0)
	v_mov_b32_e32 v1, s9
	v_add_co_u32_e32 v2, vcc, s8, v2
	v_add_u32_e32 v4, 1, v10
	v_mov_b32_e32 v5, v11
	v_addc_co_u32_e32 v3, vcc, v1, v3, vcc
	v_lshlrev_b64 v[4:5], 2, v[4:5]
	v_add_co_u32_e32 v4, vcc, s8, v4
	v_add_u32_e32 v6, 2, v10
	v_mov_b32_e32 v7, v11
	v_addc_co_u32_e32 v5, vcc, v1, v5, vcc
	v_lshlrev_b64 v[6:7], 2, v[6:7]
	;; [unrolled: 5-line block ×3, first 2 shown]
	v_add_co_u32_e32 v8, vcc, s8, v8
	v_add_u32_e32 v10, 4, v10
	v_addc_co_u32_e32 v9, vcc, v1, v9, vcc
	v_lshlrev_b64 v[10:11], 2, v[10:11]
	v_add_co_u32_e32 v10, vcc, s8, v10
	v_addc_co_u32_e32 v11, vcc, v1, v11, vcc
	global_load_dword v14, v[2:3], off
	global_load_dword v1, v[4:5], off
	global_load_dword v12, v[6:7], off
	global_load_dword v13, v[8:9], off
	global_load_dword v15, v[10:11], off
	v_mbcnt_lo_u32_b32 v16, -1, 0
	v_mbcnt_hi_u32_b32 v16, -1, v16
	v_and_b32_e32 v18, 15, v16
	v_cmp_eq_u32_e64 s[2:3], 0, v18
	v_and_b32_e32 v20, 16, v16
	v_cmp_gt_u32_e32 vcc, 64, v0
	v_cndmask_b32_e64 v19, 64, 63, vcc
	v_lshrrev_b32_e32 v17, 6, v0
	v_cmp_lt_u32_e64 s[0:1], 63, v0
	s_waitcnt vmcnt(3)
	v_add_f32_e32 v21, v14, v1
	s_waitcnt vmcnt(2)
	v_add_f32_e32 v21, v12, v21
	;; [unrolled: 2-line block ×4, first 2 shown]
	s_nop 1
	v_mov_b32_dpp v22, v21 row_shr:1 row_mask:0xf bank_mask:0xf
	v_add_f32_e32 v22, v21, v22
	v_cndmask_b32_e64 v21, v22, v21, s[2:3]
	v_cmp_lt_u32_e64 s[2:3], 1, v18
	s_nop 0
	v_mov_b32_dpp v22, v21 row_shr:2 row_mask:0xf bank_mask:0xf
	v_add_f32_e32 v22, v21, v22
	v_cndmask_b32_e64 v21, v21, v22, s[2:3]
	v_cmp_lt_u32_e64 s[2:3], 3, v18
	s_nop 0
	v_mov_b32_dpp v22, v21 row_shr:4 row_mask:0xf bank_mask:0xf
	v_add_f32_e32 v22, v21, v22
	v_cndmask_b32_e64 v21, v21, v22, s[2:3]
	v_cmp_lt_u32_e64 s[2:3], 7, v18
	s_nop 0
	v_mov_b32_dpp v22, v21 row_shr:8 row_mask:0xf bank_mask:0xf
	v_add_f32_e32 v22, v21, v22
	v_cndmask_b32_e64 v18, v21, v22, s[2:3]
	v_cmp_eq_u32_e64 s[2:3], 0, v20
	s_nop 0
	v_mov_b32_dpp v21, v18 row_bcast:15 row_mask:0xf bank_mask:0xf
	v_add_f32_e32 v21, v18, v21
	v_cndmask_b32_e64 v18, v21, v18, s[2:3]
	v_cmp_lt_u32_e64 s[2:3], 31, v16
	s_nop 0
	v_mov_b32_dpp v20, v18 row_bcast:31 row_mask:0xf bank_mask:0xf
	v_add_f32_e32 v20, v18, v20
	v_cndmask_b32_e64 v18, v18, v20, s[2:3]
	v_cmp_eq_u32_e64 s[2:3], v19, v0
	s_and_saveexec_b64 s[8:9], s[2:3]
	s_cbranch_execz .LBB222_2
; %bb.1:
	v_lshlrev_b32_e32 v19, 2, v17
	ds_write_b32 v19, v18
.LBB222_2:
	s_or_b64 exec, exec, s[8:9]
	v_cmp_gt_u32_e64 s[2:3], 2, v0
	s_waitcnt lgkmcnt(0)
	s_barrier
	s_and_saveexec_b64 s[8:9], s[2:3]
	s_cbranch_execz .LBB222_4
; %bb.3:
	v_lshlrev_b32_e32 v19, 2, v0
	ds_read_b32 v20, v19
	v_and_b32_e32 v21, 1, v16
	v_cmp_eq_u32_e64 s[2:3], 0, v21
	s_waitcnt lgkmcnt(0)
	v_mov_b32_dpp v22, v20 row_shr:1 row_mask:0xf bank_mask:0xf
	v_add_f32_e32 v22, v20, v22
	v_cndmask_b32_e64 v20, v22, v20, s[2:3]
	ds_write_b32 v19, v20
.LBB222_4:
	s_or_b64 exec, exec, s[8:9]
	s_waitcnt lgkmcnt(0)
	s_barrier
	s_waitcnt lgkmcnt(0)
                                        ; implicit-def: $vgpr19
	s_and_saveexec_b64 s[2:3], s[0:1]
	s_cbranch_execz .LBB222_6
; %bb.5:
	v_lshl_add_u32 v17, v17, 2, -4
	ds_read_b32 v19, v17
	s_waitcnt lgkmcnt(0)
	v_add_f32_e32 v18, v18, v19
.LBB222_6:
	s_or_b64 exec, exec, s[2:3]
	v_add_u32_e32 v17, -1, v16
	v_and_b32_e32 v20, 64, v16
	v_cmp_lt_i32_e64 s[0:1], v17, v20
	v_cndmask_b32_e64 v17, v17, v16, s[0:1]
	s_load_dword s4, s[4:5], 0x10
	v_lshlrev_b32_e32 v17, 2, v17
	ds_bpermute_b32 v18, v17, v18
	s_waitcnt lgkmcnt(0)
	v_mov_b32_e32 v17, s4
	s_and_saveexec_b64 s[0:1], vcc
	s_cbranch_execz .LBB222_10
; %bb.7:
	v_mov_b32_e32 v20, 0
	ds_read_b32 v17, v20 offset:4
	v_cmp_eq_u32_e32 vcc, 0, v0
	s_and_saveexec_b64 s[2:3], vcc
	s_cbranch_execz .LBB222_9
; %bb.8:
	v_mov_b32_e32 v21, s4
	ds_write_b32 v20, v21 offset:4
.LBB222_9:
	s_or_b64 exec, exec, s[2:3]
	s_waitcnt lgkmcnt(0)
	v_add_f32_e32 v17, s4, v17
.LBB222_10:
	s_or_b64 exec, exec, s[0:1]
	v_mov_b32_e32 v20, 0
	s_barrier
	ds_read_b32 v21, v20 offset:4
	v_cmp_eq_u32_e32 vcc, 0, v16
	v_cndmask_b32_e32 v16, v18, v19, vcc
	v_add_f32_e32 v16, v14, v16
	v_cmp_eq_u32_e32 vcc, 0, v0
	v_cndmask_b32_e32 v0, v16, v14, vcc
	s_waitcnt lgkmcnt(0)
	v_add_f32_e32 v0, v0, v21
	v_add_f32_e32 v1, v1, v0
	;; [unrolled: 1-line block ×3, first 2 shown]
	s_mov_b32 s7, 0
	v_add_f32_e32 v13, v13, v12
	v_add_f32_e32 v14, v15, v13
	global_store_dword v[2:3], v0, off
	global_store_dword v[4:5], v1, off
	;; [unrolled: 1-line block ×5, first 2 shown]
	s_and_saveexec_b64 s[0:1], vcc
	s_cbranch_execz .LBB222_12
; %bb.11:
	s_lshl_b64 s[0:1], s[6:7], 2
	s_add_u32 s0, s10, s0
	s_addc_u32 s1, s11, s1
	global_store_dword v20, v17, s[0:1]
.LBB222_12:
	s_endpgm
	.section	.rodata,"a",@progbits
	.p2align	6, 0x0
	.amdhsa_kernel _Z43inclusive_scan_array_prefix_callback_kernelILj65ELj5ELN6hipcub18BlockScanAlgorithmE0EfEvPT2_S3_S2_
		.amdhsa_group_segment_fixed_size 8
		.amdhsa_private_segment_fixed_size 0
		.amdhsa_kernarg_size 20
		.amdhsa_user_sgpr_count 6
		.amdhsa_user_sgpr_private_segment_buffer 1
		.amdhsa_user_sgpr_dispatch_ptr 0
		.amdhsa_user_sgpr_queue_ptr 0
		.amdhsa_user_sgpr_kernarg_segment_ptr 1
		.amdhsa_user_sgpr_dispatch_id 0
		.amdhsa_user_sgpr_flat_scratch_init 0
		.amdhsa_user_sgpr_kernarg_preload_length 0
		.amdhsa_user_sgpr_kernarg_preload_offset 0
		.amdhsa_user_sgpr_private_segment_size 0
		.amdhsa_uses_dynamic_stack 0
		.amdhsa_system_sgpr_private_segment_wavefront_offset 0
		.amdhsa_system_sgpr_workgroup_id_x 1
		.amdhsa_system_sgpr_workgroup_id_y 0
		.amdhsa_system_sgpr_workgroup_id_z 0
		.amdhsa_system_sgpr_workgroup_info 0
		.amdhsa_system_vgpr_workitem_id 0
		.amdhsa_next_free_vgpr 23
		.amdhsa_next_free_sgpr 12
		.amdhsa_accum_offset 24
		.amdhsa_reserve_vcc 1
		.amdhsa_reserve_flat_scratch 0
		.amdhsa_float_round_mode_32 0
		.amdhsa_float_round_mode_16_64 0
		.amdhsa_float_denorm_mode_32 3
		.amdhsa_float_denorm_mode_16_64 3
		.amdhsa_dx10_clamp 1
		.amdhsa_ieee_mode 1
		.amdhsa_fp16_overflow 0
		.amdhsa_tg_split 0
		.amdhsa_exception_fp_ieee_invalid_op 0
		.amdhsa_exception_fp_denorm_src 0
		.amdhsa_exception_fp_ieee_div_zero 0
		.amdhsa_exception_fp_ieee_overflow 0
		.amdhsa_exception_fp_ieee_underflow 0
		.amdhsa_exception_fp_ieee_inexact 0
		.amdhsa_exception_int_div_zero 0
	.end_amdhsa_kernel
	.section	.text._Z43inclusive_scan_array_prefix_callback_kernelILj65ELj5ELN6hipcub18BlockScanAlgorithmE0EfEvPT2_S3_S2_,"axG",@progbits,_Z43inclusive_scan_array_prefix_callback_kernelILj65ELj5ELN6hipcub18BlockScanAlgorithmE0EfEvPT2_S3_S2_,comdat
.Lfunc_end222:
	.size	_Z43inclusive_scan_array_prefix_callback_kernelILj65ELj5ELN6hipcub18BlockScanAlgorithmE0EfEvPT2_S3_S2_, .Lfunc_end222-_Z43inclusive_scan_array_prefix_callback_kernelILj65ELj5ELN6hipcub18BlockScanAlgorithmE0EfEvPT2_S3_S2_
                                        ; -- End function
	.section	.AMDGPU.csdata,"",@progbits
; Kernel info:
; codeLenInByte = 872
; NumSgprs: 16
; NumVgprs: 23
; NumAgprs: 0
; TotalNumVgprs: 23
; ScratchSize: 0
; MemoryBound: 0
; FloatMode: 240
; IeeeMode: 1
; LDSByteSize: 8 bytes/workgroup (compile time only)
; SGPRBlocks: 1
; VGPRBlocks: 2
; NumSGPRsForWavesPerEU: 16
; NumVGPRsForWavesPerEU: 23
; AccumOffset: 24
; Occupancy: 8
; WaveLimiterHint : 0
; COMPUTE_PGM_RSRC2:SCRATCH_EN: 0
; COMPUTE_PGM_RSRC2:USER_SGPR: 6
; COMPUTE_PGM_RSRC2:TRAP_HANDLER: 0
; COMPUTE_PGM_RSRC2:TGID_X_EN: 1
; COMPUTE_PGM_RSRC2:TGID_Y_EN: 0
; COMPUTE_PGM_RSRC2:TGID_Z_EN: 0
; COMPUTE_PGM_RSRC2:TIDIG_COMP_CNT: 0
; COMPUTE_PGM_RSRC3_GFX90A:ACCUM_OFFSET: 5
; COMPUTE_PGM_RSRC3_GFX90A:TG_SPLIT: 0
	.section	.text._Z43inclusive_scan_array_prefix_callback_kernelILj37ELj2ELN6hipcub18BlockScanAlgorithmE0EfEvPT2_S3_S2_,"axG",@progbits,_Z43inclusive_scan_array_prefix_callback_kernelILj37ELj2ELN6hipcub18BlockScanAlgorithmE0EfEvPT2_S3_S2_,comdat
	.protected	_Z43inclusive_scan_array_prefix_callback_kernelILj37ELj2ELN6hipcub18BlockScanAlgorithmE0EfEvPT2_S3_S2_ ; -- Begin function _Z43inclusive_scan_array_prefix_callback_kernelILj37ELj2ELN6hipcub18BlockScanAlgorithmE0EfEvPT2_S3_S2_
	.globl	_Z43inclusive_scan_array_prefix_callback_kernelILj37ELj2ELN6hipcub18BlockScanAlgorithmE0EfEvPT2_S3_S2_
	.p2align	8
	.type	_Z43inclusive_scan_array_prefix_callback_kernelILj37ELj2ELN6hipcub18BlockScanAlgorithmE0EfEvPT2_S3_S2_,@function
_Z43inclusive_scan_array_prefix_callback_kernelILj37ELj2ELN6hipcub18BlockScanAlgorithmE0EfEvPT2_S3_S2_: ; @_Z43inclusive_scan_array_prefix_callback_kernelILj37ELj2ELN6hipcub18BlockScanAlgorithmE0EfEvPT2_S3_S2_
; %bb.0:
	s_load_dwordx4 s[0:3], s[4:5], 0x0
	s_mul_i32 s7, s6, 37
	v_add_lshl_u32 v6, s7, v0, 1
	v_mov_b32_e32 v7, 0
	v_lshlrev_b64 v[2:3], 2, v[6:7]
	s_waitcnt lgkmcnt(0)
	v_mov_b32_e32 v1, s1
	v_add_co_u32_e32 v2, vcc, s0, v2
	v_addc_co_u32_e32 v3, vcc, v1, v3, vcc
	global_load_dwordx2 v[4:5], v[2:3], off
	v_mbcnt_lo_u32_b32 v1, -1, 0
	v_mbcnt_hi_u32_b32 v1, -1, v1
	v_and_b32_e32 v6, 15, v1
	v_cmp_eq_u32_e32 vcc, 0, v6
	v_and_b32_e32 v8, 16, v1
	s_waitcnt vmcnt(0)
	v_add_f32_e32 v9, v4, v5
	s_nop 1
	v_mov_b32_dpp v10, v9 row_shr:1 row_mask:0xf bank_mask:0xf
	v_add_f32_e32 v10, v9, v10
	v_cndmask_b32_e32 v9, v10, v9, vcc
	v_cmp_lt_u32_e32 vcc, 1, v6
	s_nop 0
	v_mov_b32_dpp v10, v9 row_shr:2 row_mask:0xf bank_mask:0xf
	v_add_f32_e32 v10, v9, v10
	v_cndmask_b32_e32 v9, v9, v10, vcc
	v_cmp_lt_u32_e32 vcc, 3, v6
	;; [unrolled: 5-line block ×3, first 2 shown]
	s_nop 0
	v_mov_b32_dpp v10, v9 row_shr:8 row_mask:0xf bank_mask:0xf
	v_add_f32_e32 v10, v9, v10
	v_cndmask_b32_e32 v6, v9, v10, vcc
	v_cmp_eq_u32_e32 vcc, 0, v8
	s_nop 0
	v_mov_b32_dpp v9, v6 row_bcast:15 row_mask:0xf bank_mask:0xf
	v_add_f32_e32 v9, v6, v9
	v_cndmask_b32_e32 v6, v9, v6, vcc
	v_cmp_lt_u32_e32 vcc, 31, v1
	s_nop 0
	v_mov_b32_dpp v8, v6 row_bcast:31 row_mask:0xf bank_mask:0xf
	v_add_f32_e32 v8, v6, v8
	v_cndmask_b32_e32 v6, v6, v8, vcc
	v_cmp_eq_u32_e32 vcc, 36, v0
	s_and_saveexec_b64 s[0:1], vcc
	s_cbranch_execz .LBB223_2
; %bb.1:
	ds_write_b32 v7, v6
.LBB223_2:
	s_or_b64 exec, exec, s[0:1]
	v_add_u32_e32 v7, -1, v1
	v_and_b32_e32 v8, 64, v1
	v_cmp_lt_i32_e32 vcc, v7, v8
	v_cndmask_b32_e32 v1, v7, v1, vcc
	s_load_dword s7, s[4:5], 0x10
	v_lshlrev_b32_e32 v1, 2, v1
	ds_bpermute_b32 v6, v1, v6
	v_cmp_gt_u32_e32 vcc, 64, v0
	s_waitcnt lgkmcnt(0)
	v_mov_b32_e32 v1, s7
	; wave barrier
	s_and_saveexec_b64 s[0:1], vcc
	s_cbranch_execz .LBB223_6
; %bb.3:
	v_mov_b32_e32 v7, 0
	ds_read_b32 v1, v7
	v_cmp_eq_u32_e32 vcc, 0, v0
	s_and_saveexec_b64 s[4:5], vcc
	s_cbranch_execz .LBB223_5
; %bb.4:
	v_mov_b32_e32 v8, s7
	ds_write_b32 v7, v8
.LBB223_5:
	s_or_b64 exec, exec, s[4:5]
	s_waitcnt lgkmcnt(0)
	v_add_f32_e32 v1, s7, v1
.LBB223_6:
	s_or_b64 exec, exec, s[0:1]
	v_mov_b32_e32 v7, 0
	s_waitcnt lgkmcnt(0)
	; wave barrier
	ds_read_b32 v8, v7
	v_add_f32_e32 v6, v4, v6
	v_cmp_eq_u32_e32 vcc, 0, v0
	v_cndmask_b32_e32 v0, v6, v4, vcc
	s_mov_b32 s7, 0
	s_waitcnt lgkmcnt(0)
	v_add_f32_e32 v4, v0, v8
	v_add_f32_e32 v5, v5, v4
	global_store_dwordx2 v[2:3], v[4:5], off
	s_and_saveexec_b64 s[0:1], vcc
	s_cbranch_execz .LBB223_8
; %bb.7:
	s_lshl_b64 s[0:1], s[6:7], 2
	s_add_u32 s0, s2, s0
	s_addc_u32 s1, s3, s1
	global_store_dword v7, v1, s[0:1]
.LBB223_8:
	s_endpgm
	.section	.rodata,"a",@progbits
	.p2align	6, 0x0
	.amdhsa_kernel _Z43inclusive_scan_array_prefix_callback_kernelILj37ELj2ELN6hipcub18BlockScanAlgorithmE0EfEvPT2_S3_S2_
		.amdhsa_group_segment_fixed_size 4
		.amdhsa_private_segment_fixed_size 0
		.amdhsa_kernarg_size 20
		.amdhsa_user_sgpr_count 6
		.amdhsa_user_sgpr_private_segment_buffer 1
		.amdhsa_user_sgpr_dispatch_ptr 0
		.amdhsa_user_sgpr_queue_ptr 0
		.amdhsa_user_sgpr_kernarg_segment_ptr 1
		.amdhsa_user_sgpr_dispatch_id 0
		.amdhsa_user_sgpr_flat_scratch_init 0
		.amdhsa_user_sgpr_kernarg_preload_length 0
		.amdhsa_user_sgpr_kernarg_preload_offset 0
		.amdhsa_user_sgpr_private_segment_size 0
		.amdhsa_uses_dynamic_stack 0
		.amdhsa_system_sgpr_private_segment_wavefront_offset 0
		.amdhsa_system_sgpr_workgroup_id_x 1
		.amdhsa_system_sgpr_workgroup_id_y 0
		.amdhsa_system_sgpr_workgroup_id_z 0
		.amdhsa_system_sgpr_workgroup_info 0
		.amdhsa_system_vgpr_workitem_id 0
		.amdhsa_next_free_vgpr 11
		.amdhsa_next_free_sgpr 8
		.amdhsa_accum_offset 12
		.amdhsa_reserve_vcc 1
		.amdhsa_reserve_flat_scratch 0
		.amdhsa_float_round_mode_32 0
		.amdhsa_float_round_mode_16_64 0
		.amdhsa_float_denorm_mode_32 3
		.amdhsa_float_denorm_mode_16_64 3
		.amdhsa_dx10_clamp 1
		.amdhsa_ieee_mode 1
		.amdhsa_fp16_overflow 0
		.amdhsa_tg_split 0
		.amdhsa_exception_fp_ieee_invalid_op 0
		.amdhsa_exception_fp_denorm_src 0
		.amdhsa_exception_fp_ieee_div_zero 0
		.amdhsa_exception_fp_ieee_overflow 0
		.amdhsa_exception_fp_ieee_underflow 0
		.amdhsa_exception_fp_ieee_inexact 0
		.amdhsa_exception_int_div_zero 0
	.end_amdhsa_kernel
	.section	.text._Z43inclusive_scan_array_prefix_callback_kernelILj37ELj2ELN6hipcub18BlockScanAlgorithmE0EfEvPT2_S3_S2_,"axG",@progbits,_Z43inclusive_scan_array_prefix_callback_kernelILj37ELj2ELN6hipcub18BlockScanAlgorithmE0EfEvPT2_S3_S2_,comdat
.Lfunc_end223:
	.size	_Z43inclusive_scan_array_prefix_callback_kernelILj37ELj2ELN6hipcub18BlockScanAlgorithmE0EfEvPT2_S3_S2_, .Lfunc_end223-_Z43inclusive_scan_array_prefix_callback_kernelILj37ELj2ELN6hipcub18BlockScanAlgorithmE0EfEvPT2_S3_S2_
                                        ; -- End function
	.section	.AMDGPU.csdata,"",@progbits
; Kernel info:
; codeLenInByte = 448
; NumSgprs: 12
; NumVgprs: 11
; NumAgprs: 0
; TotalNumVgprs: 11
; ScratchSize: 0
; MemoryBound: 0
; FloatMode: 240
; IeeeMode: 1
; LDSByteSize: 4 bytes/workgroup (compile time only)
; SGPRBlocks: 1
; VGPRBlocks: 1
; NumSGPRsForWavesPerEU: 12
; NumVGPRsForWavesPerEU: 11
; AccumOffset: 12
; Occupancy: 8
; WaveLimiterHint : 0
; COMPUTE_PGM_RSRC2:SCRATCH_EN: 0
; COMPUTE_PGM_RSRC2:USER_SGPR: 6
; COMPUTE_PGM_RSRC2:TRAP_HANDLER: 0
; COMPUTE_PGM_RSRC2:TGID_X_EN: 1
; COMPUTE_PGM_RSRC2:TGID_Y_EN: 0
; COMPUTE_PGM_RSRC2:TGID_Z_EN: 0
; COMPUTE_PGM_RSRC2:TIDIG_COMP_CNT: 0
; COMPUTE_PGM_RSRC3_GFX90A:ACCUM_OFFSET: 2
; COMPUTE_PGM_RSRC3_GFX90A:TG_SPLIT: 0
	.section	.text._Z43inclusive_scan_array_prefix_callback_kernelILj512ELj4ELN6hipcub18BlockScanAlgorithmE0EiEvPT2_S3_S2_,"axG",@progbits,_Z43inclusive_scan_array_prefix_callback_kernelILj512ELj4ELN6hipcub18BlockScanAlgorithmE0EiEvPT2_S3_S2_,comdat
	.protected	_Z43inclusive_scan_array_prefix_callback_kernelILj512ELj4ELN6hipcub18BlockScanAlgorithmE0EiEvPT2_S3_S2_ ; -- Begin function _Z43inclusive_scan_array_prefix_callback_kernelILj512ELj4ELN6hipcub18BlockScanAlgorithmE0EiEvPT2_S3_S2_
	.globl	_Z43inclusive_scan_array_prefix_callback_kernelILj512ELj4ELN6hipcub18BlockScanAlgorithmE0EiEvPT2_S3_S2_
	.p2align	8
	.type	_Z43inclusive_scan_array_prefix_callback_kernelILj512ELj4ELN6hipcub18BlockScanAlgorithmE0EiEvPT2_S3_S2_,@function
_Z43inclusive_scan_array_prefix_callback_kernelILj512ELj4ELN6hipcub18BlockScanAlgorithmE0EiEvPT2_S3_S2_: ; @_Z43inclusive_scan_array_prefix_callback_kernelILj512ELj4ELN6hipcub18BlockScanAlgorithmE0EiEvPT2_S3_S2_
; %bb.0:
	s_load_dwordx4 s[0:3], s[4:5], 0x0
	v_lshlrev_b32_e32 v8, 2, v0
	v_lshl_or_b32 v2, s6, 11, v8
	v_mov_b32_e32 v3, 0
	v_lshlrev_b64 v[2:3], 2, v[2:3]
	s_waitcnt lgkmcnt(0)
	v_mov_b32_e32 v1, s1
	v_add_co_u32_e32 v6, vcc, s0, v2
	v_addc_co_u32_e32 v7, vcc, v1, v3, vcc
	global_load_dwordx4 v[2:5], v[6:7], off
	v_mbcnt_lo_u32_b32 v1, -1, 0
	v_mbcnt_hi_u32_b32 v1, -1, v1
	v_and_b32_e32 v10, 15, v1
	v_cmp_ne_u32_e32 vcc, 0, v10
	v_bfe_i32 v12, v1, 4, 1
	v_or_b32_e32 v11, 63, v0
	v_lshrrev_b32_e32 v9, 6, v0
	s_waitcnt vmcnt(0)
	v_add_u32_e32 v13, v3, v2
	v_add3_u32 v13, v13, v4, v5
	s_nop 1
	v_mov_b32_dpp v14, v13 row_shr:1 row_mask:0xf bank_mask:0xf
	v_cndmask_b32_e32 v14, 0, v14, vcc
	v_add_u32_e32 v13, v14, v13
	v_cmp_lt_u32_e32 vcc, 1, v10
	s_nop 0
	v_mov_b32_dpp v14, v13 row_shr:2 row_mask:0xf bank_mask:0xf
	v_cndmask_b32_e32 v14, 0, v14, vcc
	v_add_u32_e32 v13, v13, v14
	v_cmp_lt_u32_e32 vcc, 3, v10
	;; [unrolled: 5-line block ×4, first 2 shown]
	s_nop 0
	v_mov_b32_dpp v13, v10 row_bcast:15 row_mask:0xf bank_mask:0xf
	v_and_b32_e32 v12, v12, v13
	v_add_u32_e32 v10, v10, v12
	s_nop 1
	v_mov_b32_dpp v12, v10 row_bcast:31 row_mask:0xf bank_mask:0xf
	v_cndmask_b32_e32 v12, 0, v12, vcc
	v_add_u32_e32 v10, v10, v12
	v_cmp_eq_u32_e32 vcc, v11, v0
	s_and_saveexec_b64 s[0:1], vcc
	s_cbranch_execz .LBB224_2
; %bb.1:
	v_lshlrev_b32_e32 v11, 2, v9
	ds_write_b32 v11, v10
.LBB224_2:
	s_or_b64 exec, exec, s[0:1]
	v_cmp_gt_u32_e32 vcc, 8, v0
	s_waitcnt lgkmcnt(0)
	s_barrier
	s_and_saveexec_b64 s[0:1], vcc
	s_cbranch_execz .LBB224_4
; %bb.3:
	ds_read_b32 v11, v8
	v_and_b32_e32 v12, 7, v1
	v_cmp_ne_u32_e32 vcc, 0, v12
	s_waitcnt lgkmcnt(0)
	v_mov_b32_dpp v13, v11 row_shr:1 row_mask:0xf bank_mask:0xf
	v_cndmask_b32_e32 v13, 0, v13, vcc
	v_add_u32_e32 v11, v13, v11
	v_cmp_lt_u32_e32 vcc, 1, v12
	s_nop 0
	v_mov_b32_dpp v13, v11 row_shr:2 row_mask:0xf bank_mask:0xf
	v_cndmask_b32_e32 v13, 0, v13, vcc
	v_add_u32_e32 v11, v11, v13
	v_cmp_lt_u32_e32 vcc, 3, v12
	s_nop 0
	v_mov_b32_dpp v13, v11 row_shr:4 row_mask:0xf bank_mask:0xf
	v_cndmask_b32_e32 v12, 0, v13, vcc
	v_add_u32_e32 v11, v11, v12
	ds_write_b32 v8, v11
.LBB224_4:
	s_or_b64 exec, exec, s[0:1]
	v_cmp_gt_u32_e32 vcc, 64, v0
	v_cmp_lt_u32_e64 s[0:1], 63, v0
	s_waitcnt lgkmcnt(0)
	s_barrier
	s_waitcnt lgkmcnt(0)
                                        ; implicit-def: $vgpr8
	s_and_saveexec_b64 s[8:9], s[0:1]
	s_cbranch_execz .LBB224_6
; %bb.5:
	v_lshl_add_u32 v8, v9, 2, -4
	ds_read_b32 v8, v8
	s_waitcnt lgkmcnt(0)
	v_add_u32_e32 v10, v8, v10
.LBB224_6:
	s_or_b64 exec, exec, s[8:9]
	v_add_u32_e32 v9, -1, v1
	v_and_b32_e32 v11, 64, v1
	v_cmp_lt_i32_e64 s[0:1], v9, v11
	v_cndmask_b32_e64 v9, v9, v1, s[0:1]
	s_load_dword s7, s[4:5], 0x10
	v_lshlrev_b32_e32 v9, 2, v9
	ds_bpermute_b32 v10, v9, v10
	s_waitcnt lgkmcnt(0)
	v_mov_b32_e32 v9, s7
	s_and_saveexec_b64 s[0:1], vcc
	s_cbranch_execz .LBB224_10
; %bb.7:
	v_mov_b32_e32 v11, 0
	ds_read_b32 v9, v11 offset:28
	v_cmp_eq_u32_e32 vcc, 0, v0
	s_and_saveexec_b64 s[4:5], vcc
	s_cbranch_execz .LBB224_9
; %bb.8:
	v_mov_b32_e32 v12, s7
	ds_write_b32 v11, v12 offset:28
.LBB224_9:
	s_or_b64 exec, exec, s[4:5]
	s_waitcnt lgkmcnt(0)
	v_add_u32_e32 v9, s7, v9
.LBB224_10:
	s_or_b64 exec, exec, s[0:1]
	v_mov_b32_e32 v11, 0
	s_barrier
	ds_read_b32 v12, v11 offset:28
	v_cmp_eq_u32_e32 vcc, 0, v1
	v_cndmask_b32_e32 v1, v10, v8, vcc
	v_cmp_eq_u32_e32 vcc, 0, v0
	v_cndmask_b32_e64 v0, v1, 0, vcc
	s_waitcnt lgkmcnt(0)
	v_add3_u32 v0, v0, v2, v12
	v_add_u32_e32 v1, v0, v3
	v_add_u32_e32 v2, v1, v4
	s_mov_b32 s7, 0
	v_add_u32_e32 v3, v2, v5
	global_store_dwordx4 v[6:7], v[0:3], off
	s_and_saveexec_b64 s[0:1], vcc
	s_cbranch_execz .LBB224_12
; %bb.11:
	s_lshl_b64 s[0:1], s[6:7], 2
	s_add_u32 s0, s2, s0
	s_addc_u32 s1, s3, s1
	global_store_dword v11, v9, s[0:1]
.LBB224_12:
	s_endpgm
	.section	.rodata,"a",@progbits
	.p2align	6, 0x0
	.amdhsa_kernel _Z43inclusive_scan_array_prefix_callback_kernelILj512ELj4ELN6hipcub18BlockScanAlgorithmE0EiEvPT2_S3_S2_
		.amdhsa_group_segment_fixed_size 32
		.amdhsa_private_segment_fixed_size 0
		.amdhsa_kernarg_size 20
		.amdhsa_user_sgpr_count 6
		.amdhsa_user_sgpr_private_segment_buffer 1
		.amdhsa_user_sgpr_dispatch_ptr 0
		.amdhsa_user_sgpr_queue_ptr 0
		.amdhsa_user_sgpr_kernarg_segment_ptr 1
		.amdhsa_user_sgpr_dispatch_id 0
		.amdhsa_user_sgpr_flat_scratch_init 0
		.amdhsa_user_sgpr_kernarg_preload_length 0
		.amdhsa_user_sgpr_kernarg_preload_offset 0
		.amdhsa_user_sgpr_private_segment_size 0
		.amdhsa_uses_dynamic_stack 0
		.amdhsa_system_sgpr_private_segment_wavefront_offset 0
		.amdhsa_system_sgpr_workgroup_id_x 1
		.amdhsa_system_sgpr_workgroup_id_y 0
		.amdhsa_system_sgpr_workgroup_id_z 0
		.amdhsa_system_sgpr_workgroup_info 0
		.amdhsa_system_vgpr_workitem_id 0
		.amdhsa_next_free_vgpr 15
		.amdhsa_next_free_sgpr 10
		.amdhsa_accum_offset 16
		.amdhsa_reserve_vcc 1
		.amdhsa_reserve_flat_scratch 0
		.amdhsa_float_round_mode_32 0
		.amdhsa_float_round_mode_16_64 0
		.amdhsa_float_denorm_mode_32 3
		.amdhsa_float_denorm_mode_16_64 3
		.amdhsa_dx10_clamp 1
		.amdhsa_ieee_mode 1
		.amdhsa_fp16_overflow 0
		.amdhsa_tg_split 0
		.amdhsa_exception_fp_ieee_invalid_op 0
		.amdhsa_exception_fp_denorm_src 0
		.amdhsa_exception_fp_ieee_div_zero 0
		.amdhsa_exception_fp_ieee_overflow 0
		.amdhsa_exception_fp_ieee_underflow 0
		.amdhsa_exception_fp_ieee_inexact 0
		.amdhsa_exception_int_div_zero 0
	.end_amdhsa_kernel
	.section	.text._Z43inclusive_scan_array_prefix_callback_kernelILj512ELj4ELN6hipcub18BlockScanAlgorithmE0EiEvPT2_S3_S2_,"axG",@progbits,_Z43inclusive_scan_array_prefix_callback_kernelILj512ELj4ELN6hipcub18BlockScanAlgorithmE0EiEvPT2_S3_S2_,comdat
.Lfunc_end224:
	.size	_Z43inclusive_scan_array_prefix_callback_kernelILj512ELj4ELN6hipcub18BlockScanAlgorithmE0EiEvPT2_S3_S2_, .Lfunc_end224-_Z43inclusive_scan_array_prefix_callback_kernelILj512ELj4ELN6hipcub18BlockScanAlgorithmE0EiEvPT2_S3_S2_
                                        ; -- End function
	.section	.AMDGPU.csdata,"",@progbits
; Kernel info:
; codeLenInByte = 668
; NumSgprs: 14
; NumVgprs: 15
; NumAgprs: 0
; TotalNumVgprs: 15
; ScratchSize: 0
; MemoryBound: 0
; FloatMode: 240
; IeeeMode: 1
; LDSByteSize: 32 bytes/workgroup (compile time only)
; SGPRBlocks: 1
; VGPRBlocks: 1
; NumSGPRsForWavesPerEU: 14
; NumVGPRsForWavesPerEU: 15
; AccumOffset: 16
; Occupancy: 8
; WaveLimiterHint : 0
; COMPUTE_PGM_RSRC2:SCRATCH_EN: 0
; COMPUTE_PGM_RSRC2:USER_SGPR: 6
; COMPUTE_PGM_RSRC2:TRAP_HANDLER: 0
; COMPUTE_PGM_RSRC2:TGID_X_EN: 1
; COMPUTE_PGM_RSRC2:TGID_Y_EN: 0
; COMPUTE_PGM_RSRC2:TGID_Z_EN: 0
; COMPUTE_PGM_RSRC2:TIDIG_COMP_CNT: 0
; COMPUTE_PGM_RSRC3_GFX90A:ACCUM_OFFSET: 3
; COMPUTE_PGM_RSRC3_GFX90A:TG_SPLIT: 0
	.section	.text._Z43inclusive_scan_array_prefix_callback_kernelILj256ELj3ELN6hipcub18BlockScanAlgorithmE0EjEvPT2_S3_S2_,"axG",@progbits,_Z43inclusive_scan_array_prefix_callback_kernelILj256ELj3ELN6hipcub18BlockScanAlgorithmE0EjEvPT2_S3_S2_,comdat
	.protected	_Z43inclusive_scan_array_prefix_callback_kernelILj256ELj3ELN6hipcub18BlockScanAlgorithmE0EjEvPT2_S3_S2_ ; -- Begin function _Z43inclusive_scan_array_prefix_callback_kernelILj256ELj3ELN6hipcub18BlockScanAlgorithmE0EjEvPT2_S3_S2_
	.globl	_Z43inclusive_scan_array_prefix_callback_kernelILj256ELj3ELN6hipcub18BlockScanAlgorithmE0EjEvPT2_S3_S2_
	.p2align	8
	.type	_Z43inclusive_scan_array_prefix_callback_kernelILj256ELj3ELN6hipcub18BlockScanAlgorithmE0EjEvPT2_S3_S2_,@function
_Z43inclusive_scan_array_prefix_callback_kernelILj256ELj3ELN6hipcub18BlockScanAlgorithmE0EjEvPT2_S3_S2_: ; @_Z43inclusive_scan_array_prefix_callback_kernelILj256ELj3ELN6hipcub18BlockScanAlgorithmE0EjEvPT2_S3_S2_
; %bb.0:
	s_load_dwordx4 s[0:3], s[4:5], 0x0
	v_lshl_or_b32 v1, s6, 8, v0
	v_lshl_add_u32 v6, v1, 1, v1
	v_mov_b32_e32 v7, 0
	v_lshlrev_b64 v[2:3], 2, v[6:7]
	s_waitcnt lgkmcnt(0)
	v_mov_b32_e32 v1, s1
	v_add_co_u32_e32 v2, vcc, s0, v2
	v_add_u32_e32 v4, 1, v6
	v_mov_b32_e32 v5, v7
	v_addc_co_u32_e32 v3, vcc, v1, v3, vcc
	v_lshlrev_b64 v[4:5], 2, v[4:5]
	v_add_co_u32_e32 v4, vcc, s0, v4
	v_add_u32_e32 v6, 2, v6
	v_addc_co_u32_e32 v5, vcc, v1, v5, vcc
	v_lshlrev_b64 v[6:7], 2, v[6:7]
	v_add_co_u32_e32 v6, vcc, s0, v6
	v_addc_co_u32_e32 v7, vcc, v1, v7, vcc
	global_load_dword v1, v[2:3], off
	global_load_dword v8, v[4:5], off
	;; [unrolled: 1-line block ×3, first 2 shown]
	v_mbcnt_lo_u32_b32 v10, -1, 0
	v_mbcnt_hi_u32_b32 v10, -1, v10
	v_and_b32_e32 v12, 15, v10
	v_cmp_ne_u32_e32 vcc, 0, v12
	v_bfe_i32 v14, v10, 4, 1
	v_or_b32_e32 v13, 63, v0
	v_lshrrev_b32_e32 v11, 6, v0
	s_waitcnt vmcnt(0)
	v_add3_u32 v15, v8, v1, v9
	s_nop 1
	v_mov_b32_dpp v16, v15 row_shr:1 row_mask:0xf bank_mask:0xf
	v_cndmask_b32_e32 v16, 0, v16, vcc
	v_add_u32_e32 v15, v16, v15
	v_cmp_lt_u32_e32 vcc, 1, v12
	s_nop 0
	v_mov_b32_dpp v16, v15 row_shr:2 row_mask:0xf bank_mask:0xf
	v_cndmask_b32_e32 v16, 0, v16, vcc
	v_add_u32_e32 v15, v15, v16
	v_cmp_lt_u32_e32 vcc, 3, v12
	;; [unrolled: 5-line block ×4, first 2 shown]
	s_nop 0
	v_mov_b32_dpp v15, v12 row_bcast:15 row_mask:0xf bank_mask:0xf
	v_and_b32_e32 v14, v14, v15
	v_add_u32_e32 v12, v12, v14
	s_nop 1
	v_mov_b32_dpp v14, v12 row_bcast:31 row_mask:0xf bank_mask:0xf
	v_cndmask_b32_e32 v14, 0, v14, vcc
	v_add_u32_e32 v12, v12, v14
	v_cmp_eq_u32_e32 vcc, v13, v0
	s_and_saveexec_b64 s[0:1], vcc
	s_cbranch_execz .LBB225_2
; %bb.1:
	v_lshlrev_b32_e32 v13, 2, v11
	ds_write_b32 v13, v12
.LBB225_2:
	s_or_b64 exec, exec, s[0:1]
	v_cmp_gt_u32_e32 vcc, 4, v0
	s_waitcnt lgkmcnt(0)
	s_barrier
	s_and_saveexec_b64 s[0:1], vcc
	s_cbranch_execz .LBB225_4
; %bb.3:
	v_lshlrev_b32_e32 v13, 2, v0
	ds_read_b32 v14, v13
	v_and_b32_e32 v15, 3, v10
	v_cmp_ne_u32_e32 vcc, 0, v15
	s_waitcnt lgkmcnt(0)
	v_mov_b32_dpp v16, v14 row_shr:1 row_mask:0xf bank_mask:0xf
	v_cndmask_b32_e32 v16, 0, v16, vcc
	v_add_u32_e32 v14, v16, v14
	v_cmp_lt_u32_e32 vcc, 1, v15
	s_nop 0
	v_mov_b32_dpp v16, v14 row_shr:2 row_mask:0xf bank_mask:0xf
	v_cndmask_b32_e32 v15, 0, v16, vcc
	v_add_u32_e32 v14, v14, v15
	ds_write_b32 v13, v14
.LBB225_4:
	s_or_b64 exec, exec, s[0:1]
	v_cmp_gt_u32_e32 vcc, 64, v0
	v_cmp_lt_u32_e64 s[0:1], 63, v0
	s_waitcnt lgkmcnt(0)
	s_barrier
	s_waitcnt lgkmcnt(0)
                                        ; implicit-def: $vgpr13
	s_and_saveexec_b64 s[8:9], s[0:1]
	s_cbranch_execz .LBB225_6
; %bb.5:
	v_lshl_add_u32 v11, v11, 2, -4
	ds_read_b32 v13, v11
	s_waitcnt lgkmcnt(0)
	v_add_u32_e32 v12, v13, v12
.LBB225_6:
	s_or_b64 exec, exec, s[8:9]
	v_add_u32_e32 v11, -1, v10
	v_and_b32_e32 v14, 64, v10
	v_cmp_lt_i32_e64 s[0:1], v11, v14
	v_cndmask_b32_e64 v11, v11, v10, s[0:1]
	s_load_dword s7, s[4:5], 0x10
	v_lshlrev_b32_e32 v11, 2, v11
	ds_bpermute_b32 v12, v11, v12
	s_waitcnt lgkmcnt(0)
	v_mov_b32_e32 v11, s7
	s_and_saveexec_b64 s[0:1], vcc
	s_cbranch_execz .LBB225_10
; %bb.7:
	v_mov_b32_e32 v14, 0
	ds_read_b32 v11, v14 offset:12
	v_cmp_eq_u32_e32 vcc, 0, v0
	s_and_saveexec_b64 s[4:5], vcc
	s_cbranch_execz .LBB225_9
; %bb.8:
	v_mov_b32_e32 v15, s7
	ds_write_b32 v14, v15 offset:12
.LBB225_9:
	s_or_b64 exec, exec, s[4:5]
	s_waitcnt lgkmcnt(0)
	v_add_u32_e32 v11, s7, v11
.LBB225_10:
	s_or_b64 exec, exec, s[0:1]
	v_mov_b32_e32 v14, 0
	s_barrier
	ds_read_b32 v15, v14 offset:12
	v_cmp_eq_u32_e32 vcc, 0, v10
	v_cndmask_b32_e32 v10, v12, v13, vcc
	v_cmp_eq_u32_e32 vcc, 0, v0
	v_cndmask_b32_e64 v0, v10, 0, vcc
	s_waitcnt lgkmcnt(0)
	v_add3_u32 v0, v0, v1, v15
	s_mov_b32 s7, 0
	v_add_u32_e32 v1, v0, v8
	v_add_u32_e32 v8, v1, v9
	global_store_dword v[2:3], v0, off
	global_store_dword v[4:5], v1, off
	;; [unrolled: 1-line block ×3, first 2 shown]
	s_and_saveexec_b64 s[0:1], vcc
	s_cbranch_execz .LBB225_12
; %bb.11:
	s_lshl_b64 s[0:1], s[6:7], 2
	s_add_u32 s0, s2, s0
	s_addc_u32 s1, s3, s1
	global_store_dword v14, v11, s[0:1]
.LBB225_12:
	s_endpgm
	.section	.rodata,"a",@progbits
	.p2align	6, 0x0
	.amdhsa_kernel _Z43inclusive_scan_array_prefix_callback_kernelILj256ELj3ELN6hipcub18BlockScanAlgorithmE0EjEvPT2_S3_S2_
		.amdhsa_group_segment_fixed_size 16
		.amdhsa_private_segment_fixed_size 0
		.amdhsa_kernarg_size 20
		.amdhsa_user_sgpr_count 6
		.amdhsa_user_sgpr_private_segment_buffer 1
		.amdhsa_user_sgpr_dispatch_ptr 0
		.amdhsa_user_sgpr_queue_ptr 0
		.amdhsa_user_sgpr_kernarg_segment_ptr 1
		.amdhsa_user_sgpr_dispatch_id 0
		.amdhsa_user_sgpr_flat_scratch_init 0
		.amdhsa_user_sgpr_kernarg_preload_length 0
		.amdhsa_user_sgpr_kernarg_preload_offset 0
		.amdhsa_user_sgpr_private_segment_size 0
		.amdhsa_uses_dynamic_stack 0
		.amdhsa_system_sgpr_private_segment_wavefront_offset 0
		.amdhsa_system_sgpr_workgroup_id_x 1
		.amdhsa_system_sgpr_workgroup_id_y 0
		.amdhsa_system_sgpr_workgroup_id_z 0
		.amdhsa_system_sgpr_workgroup_info 0
		.amdhsa_system_vgpr_workitem_id 0
		.amdhsa_next_free_vgpr 17
		.amdhsa_next_free_sgpr 10
		.amdhsa_accum_offset 20
		.amdhsa_reserve_vcc 1
		.amdhsa_reserve_flat_scratch 0
		.amdhsa_float_round_mode_32 0
		.amdhsa_float_round_mode_16_64 0
		.amdhsa_float_denorm_mode_32 3
		.amdhsa_float_denorm_mode_16_64 3
		.amdhsa_dx10_clamp 1
		.amdhsa_ieee_mode 1
		.amdhsa_fp16_overflow 0
		.amdhsa_tg_split 0
		.amdhsa_exception_fp_ieee_invalid_op 0
		.amdhsa_exception_fp_denorm_src 0
		.amdhsa_exception_fp_ieee_div_zero 0
		.amdhsa_exception_fp_ieee_overflow 0
		.amdhsa_exception_fp_ieee_underflow 0
		.amdhsa_exception_fp_ieee_inexact 0
		.amdhsa_exception_int_div_zero 0
	.end_amdhsa_kernel
	.section	.text._Z43inclusive_scan_array_prefix_callback_kernelILj256ELj3ELN6hipcub18BlockScanAlgorithmE0EjEvPT2_S3_S2_,"axG",@progbits,_Z43inclusive_scan_array_prefix_callback_kernelILj256ELj3ELN6hipcub18BlockScanAlgorithmE0EjEvPT2_S3_S2_,comdat
.Lfunc_end225:
	.size	_Z43inclusive_scan_array_prefix_callback_kernelILj256ELj3ELN6hipcub18BlockScanAlgorithmE0EjEvPT2_S3_S2_, .Lfunc_end225-_Z43inclusive_scan_array_prefix_callback_kernelILj256ELj3ELN6hipcub18BlockScanAlgorithmE0EjEvPT2_S3_S2_
                                        ; -- End function
	.section	.AMDGPU.csdata,"",@progbits
; Kernel info:
; codeLenInByte = 720
; NumSgprs: 14
; NumVgprs: 17
; NumAgprs: 0
; TotalNumVgprs: 17
; ScratchSize: 0
; MemoryBound: 0
; FloatMode: 240
; IeeeMode: 1
; LDSByteSize: 16 bytes/workgroup (compile time only)
; SGPRBlocks: 1
; VGPRBlocks: 2
; NumSGPRsForWavesPerEU: 14
; NumVGPRsForWavesPerEU: 17
; AccumOffset: 20
; Occupancy: 8
; WaveLimiterHint : 0
; COMPUTE_PGM_RSRC2:SCRATCH_EN: 0
; COMPUTE_PGM_RSRC2:USER_SGPR: 6
; COMPUTE_PGM_RSRC2:TRAP_HANDLER: 0
; COMPUTE_PGM_RSRC2:TGID_X_EN: 1
; COMPUTE_PGM_RSRC2:TGID_Y_EN: 0
; COMPUTE_PGM_RSRC2:TGID_Z_EN: 0
; COMPUTE_PGM_RSRC2:TIDIG_COMP_CNT: 0
; COMPUTE_PGM_RSRC3_GFX90A:ACCUM_OFFSET: 4
; COMPUTE_PGM_RSRC3_GFX90A:TG_SPLIT: 0
	.section	.text._Z43inclusive_scan_array_prefix_callback_kernelILj32ELj2ELN6hipcub18BlockScanAlgorithmE0EfEvPT2_S3_S2_,"axG",@progbits,_Z43inclusive_scan_array_prefix_callback_kernelILj32ELj2ELN6hipcub18BlockScanAlgorithmE0EfEvPT2_S3_S2_,comdat
	.protected	_Z43inclusive_scan_array_prefix_callback_kernelILj32ELj2ELN6hipcub18BlockScanAlgorithmE0EfEvPT2_S3_S2_ ; -- Begin function _Z43inclusive_scan_array_prefix_callback_kernelILj32ELj2ELN6hipcub18BlockScanAlgorithmE0EfEvPT2_S3_S2_
	.globl	_Z43inclusive_scan_array_prefix_callback_kernelILj32ELj2ELN6hipcub18BlockScanAlgorithmE0EfEvPT2_S3_S2_
	.p2align	8
	.type	_Z43inclusive_scan_array_prefix_callback_kernelILj32ELj2ELN6hipcub18BlockScanAlgorithmE0EfEvPT2_S3_S2_,@function
_Z43inclusive_scan_array_prefix_callback_kernelILj32ELj2ELN6hipcub18BlockScanAlgorithmE0EfEvPT2_S3_S2_: ; @_Z43inclusive_scan_array_prefix_callback_kernelILj32ELj2ELN6hipcub18BlockScanAlgorithmE0EfEvPT2_S3_S2_
; %bb.0:
	s_load_dwordx4 s[0:3], s[4:5], 0x0
	v_lshlrev_b32_e32 v1, 1, v0
	v_lshl_or_b32 v6, s6, 6, v1
	v_mov_b32_e32 v7, 0
	v_lshlrev_b64 v[2:3], 2, v[6:7]
	s_waitcnt lgkmcnt(0)
	v_mov_b32_e32 v1, s1
	v_add_co_u32_e32 v2, vcc, s0, v2
	v_addc_co_u32_e32 v3, vcc, v1, v3, vcc
	global_load_dwordx2 v[4:5], v[2:3], off
	v_mbcnt_lo_u32_b32 v1, -1, 0
	v_mbcnt_hi_u32_b32 v1, -1, v1
	v_and_b32_e32 v6, 15, v1
	v_cmp_eq_u32_e32 vcc, 0, v6
	v_and_b32_e32 v8, 16, v1
	s_waitcnt vmcnt(0)
	v_add_f32_e32 v9, v4, v5
	s_nop 1
	v_mov_b32_dpp v10, v9 row_shr:1 row_mask:0xf bank_mask:0xf
	v_add_f32_e32 v10, v9, v10
	v_cndmask_b32_e32 v9, v10, v9, vcc
	v_cmp_lt_u32_e32 vcc, 1, v6
	s_nop 0
	v_mov_b32_dpp v10, v9 row_shr:2 row_mask:0xf bank_mask:0xf
	v_add_f32_e32 v10, v9, v10
	v_cndmask_b32_e32 v9, v9, v10, vcc
	v_cmp_lt_u32_e32 vcc, 3, v6
	;; [unrolled: 5-line block ×3, first 2 shown]
	s_nop 0
	v_mov_b32_dpp v10, v9 row_shr:8 row_mask:0xf bank_mask:0xf
	v_add_f32_e32 v10, v9, v10
	v_cndmask_b32_e32 v6, v9, v10, vcc
	v_cmp_eq_u32_e32 vcc, 0, v8
	s_nop 0
	v_mov_b32_dpp v9, v6 row_bcast:15 row_mask:0xf bank_mask:0xf
	v_add_f32_e32 v9, v6, v9
	v_cndmask_b32_e32 v6, v9, v6, vcc
	v_cmp_eq_u32_e32 vcc, 31, v0
	s_and_saveexec_b64 s[0:1], vcc
	s_cbranch_execz .LBB226_2
; %bb.1:
	ds_write_b32 v7, v6
.LBB226_2:
	s_or_b64 exec, exec, s[0:1]
	v_add_u32_e32 v7, -1, v1
	v_and_b32_e32 v8, 0x60, v1
	v_cmp_lt_i32_e32 vcc, v7, v8
	v_cndmask_b32_e32 v1, v7, v1, vcc
	s_load_dword s7, s[4:5], 0x10
	v_lshlrev_b32_e32 v1, 2, v1
	ds_bpermute_b32 v6, v1, v6
	v_cmp_gt_u32_e32 vcc, 64, v0
	s_waitcnt lgkmcnt(0)
	v_mov_b32_e32 v1, s7
	; wave barrier
	s_and_saveexec_b64 s[0:1], vcc
	s_cbranch_execz .LBB226_6
; %bb.3:
	v_mov_b32_e32 v7, 0
	ds_read_b32 v1, v7
	v_cmp_eq_u32_e32 vcc, 0, v0
	s_and_saveexec_b64 s[4:5], vcc
	s_cbranch_execz .LBB226_5
; %bb.4:
	v_mov_b32_e32 v8, s7
	ds_write_b32 v7, v8
.LBB226_5:
	s_or_b64 exec, exec, s[4:5]
	s_waitcnt lgkmcnt(0)
	v_add_f32_e32 v1, s7, v1
.LBB226_6:
	s_or_b64 exec, exec, s[0:1]
	v_mov_b32_e32 v7, 0
	s_waitcnt lgkmcnt(0)
	; wave barrier
	ds_read_b32 v8, v7
	v_add_f32_e32 v6, v4, v6
	v_cmp_eq_u32_e32 vcc, 0, v0
	v_cndmask_b32_e32 v0, v6, v4, vcc
	s_mov_b32 s7, 0
	s_waitcnt lgkmcnt(0)
	v_add_f32_e32 v4, v0, v8
	v_add_f32_e32 v5, v5, v4
	global_store_dwordx2 v[2:3], v[4:5], off
	s_and_saveexec_b64 s[0:1], vcc
	s_cbranch_execz .LBB226_8
; %bb.7:
	s_lshl_b64 s[0:1], s[6:7], 2
	s_add_u32 s0, s2, s0
	s_addc_u32 s1, s3, s1
	global_store_dword v7, v1, s[0:1]
.LBB226_8:
	s_endpgm
	.section	.rodata,"a",@progbits
	.p2align	6, 0x0
	.amdhsa_kernel _Z43inclusive_scan_array_prefix_callback_kernelILj32ELj2ELN6hipcub18BlockScanAlgorithmE0EfEvPT2_S3_S2_
		.amdhsa_group_segment_fixed_size 4
		.amdhsa_private_segment_fixed_size 0
		.amdhsa_kernarg_size 20
		.amdhsa_user_sgpr_count 6
		.amdhsa_user_sgpr_private_segment_buffer 1
		.amdhsa_user_sgpr_dispatch_ptr 0
		.amdhsa_user_sgpr_queue_ptr 0
		.amdhsa_user_sgpr_kernarg_segment_ptr 1
		.amdhsa_user_sgpr_dispatch_id 0
		.amdhsa_user_sgpr_flat_scratch_init 0
		.amdhsa_user_sgpr_kernarg_preload_length 0
		.amdhsa_user_sgpr_kernarg_preload_offset 0
		.amdhsa_user_sgpr_private_segment_size 0
		.amdhsa_uses_dynamic_stack 0
		.amdhsa_system_sgpr_private_segment_wavefront_offset 0
		.amdhsa_system_sgpr_workgroup_id_x 1
		.amdhsa_system_sgpr_workgroup_id_y 0
		.amdhsa_system_sgpr_workgroup_id_z 0
		.amdhsa_system_sgpr_workgroup_info 0
		.amdhsa_system_vgpr_workitem_id 0
		.amdhsa_next_free_vgpr 11
		.amdhsa_next_free_sgpr 8
		.amdhsa_accum_offset 12
		.amdhsa_reserve_vcc 1
		.amdhsa_reserve_flat_scratch 0
		.amdhsa_float_round_mode_32 0
		.amdhsa_float_round_mode_16_64 0
		.amdhsa_float_denorm_mode_32 3
		.amdhsa_float_denorm_mode_16_64 3
		.amdhsa_dx10_clamp 1
		.amdhsa_ieee_mode 1
		.amdhsa_fp16_overflow 0
		.amdhsa_tg_split 0
		.amdhsa_exception_fp_ieee_invalid_op 0
		.amdhsa_exception_fp_denorm_src 0
		.amdhsa_exception_fp_ieee_div_zero 0
		.amdhsa_exception_fp_ieee_overflow 0
		.amdhsa_exception_fp_ieee_underflow 0
		.amdhsa_exception_fp_ieee_inexact 0
		.amdhsa_exception_int_div_zero 0
	.end_amdhsa_kernel
	.section	.text._Z43inclusive_scan_array_prefix_callback_kernelILj32ELj2ELN6hipcub18BlockScanAlgorithmE0EfEvPT2_S3_S2_,"axG",@progbits,_Z43inclusive_scan_array_prefix_callback_kernelILj32ELj2ELN6hipcub18BlockScanAlgorithmE0EfEvPT2_S3_S2_,comdat
.Lfunc_end226:
	.size	_Z43inclusive_scan_array_prefix_callback_kernelILj32ELj2ELN6hipcub18BlockScanAlgorithmE0EfEvPT2_S3_S2_, .Lfunc_end226-_Z43inclusive_scan_array_prefix_callback_kernelILj32ELj2ELN6hipcub18BlockScanAlgorithmE0EfEvPT2_S3_S2_
                                        ; -- End function
	.section	.AMDGPU.csdata,"",@progbits
; Kernel info:
; codeLenInByte = 428
; NumSgprs: 12
; NumVgprs: 11
; NumAgprs: 0
; TotalNumVgprs: 11
; ScratchSize: 0
; MemoryBound: 0
; FloatMode: 240
; IeeeMode: 1
; LDSByteSize: 4 bytes/workgroup (compile time only)
; SGPRBlocks: 1
; VGPRBlocks: 1
; NumSGPRsForWavesPerEU: 12
; NumVGPRsForWavesPerEU: 11
; AccumOffset: 12
; Occupancy: 8
; WaveLimiterHint : 0
; COMPUTE_PGM_RSRC2:SCRATCH_EN: 0
; COMPUTE_PGM_RSRC2:USER_SGPR: 6
; COMPUTE_PGM_RSRC2:TRAP_HANDLER: 0
; COMPUTE_PGM_RSRC2:TGID_X_EN: 1
; COMPUTE_PGM_RSRC2:TGID_Y_EN: 0
; COMPUTE_PGM_RSRC2:TGID_Z_EN: 0
; COMPUTE_PGM_RSRC2:TIDIG_COMP_CNT: 0
; COMPUTE_PGM_RSRC3_GFX90A:ACCUM_OFFSET: 2
; COMPUTE_PGM_RSRC3_GFX90A:TG_SPLIT: 0
	.section	.text._Z43inclusive_scan_array_prefix_callback_kernelILj6ELj32ELN6hipcub18BlockScanAlgorithmE0EfEvPT2_S3_S2_,"axG",@progbits,_Z43inclusive_scan_array_prefix_callback_kernelILj6ELj32ELN6hipcub18BlockScanAlgorithmE0EfEvPT2_S3_S2_,comdat
	.protected	_Z43inclusive_scan_array_prefix_callback_kernelILj6ELj32ELN6hipcub18BlockScanAlgorithmE0EfEvPT2_S3_S2_ ; -- Begin function _Z43inclusive_scan_array_prefix_callback_kernelILj6ELj32ELN6hipcub18BlockScanAlgorithmE0EfEvPT2_S3_S2_
	.globl	_Z43inclusive_scan_array_prefix_callback_kernelILj6ELj32ELN6hipcub18BlockScanAlgorithmE0EfEvPT2_S3_S2_
	.p2align	8
	.type	_Z43inclusive_scan_array_prefix_callback_kernelILj6ELj32ELN6hipcub18BlockScanAlgorithmE0EfEvPT2_S3_S2_,@function
_Z43inclusive_scan_array_prefix_callback_kernelILj6ELj32ELN6hipcub18BlockScanAlgorithmE0EfEvPT2_S3_S2_: ; @_Z43inclusive_scan_array_prefix_callback_kernelILj6ELj32ELN6hipcub18BlockScanAlgorithmE0EfEvPT2_S3_S2_
; %bb.0:
	s_load_dwordx4 s[0:3], s[4:5], 0x0
	s_mul_i32 s7, s6, 6
	v_add_lshl_u32 v36, s7, v0, 5
	v_mov_b32_e32 v37, 0
	v_lshlrev_b64 v[2:3], 2, v[36:37]
	s_waitcnt lgkmcnt(0)
	v_mov_b32_e32 v1, s1
	v_add_co_u32_e32 v34, vcc, s0, v2
	v_addc_co_u32_e32 v35, vcc, v1, v3, vcc
	global_load_dwordx4 v[30:33], v[34:35], off
	global_load_dwordx4 v[26:29], v[34:35], off offset:16
	global_load_dwordx4 v[22:25], v[34:35], off offset:32
	;; [unrolled: 1-line block ×7, first 2 shown]
	v_mbcnt_lo_u32_b32 v1, -1, 0
	v_mbcnt_hi_u32_b32 v1, -1, v1
	v_and_b32_e32 v36, 7, v1
	v_cmp_eq_u32_e32 vcc, 0, v36
	s_waitcnt vmcnt(7)
	v_add_f32_e32 v38, v30, v31
	v_add_f32_e32 v38, v38, v32
	v_add_f32_e32 v38, v38, v33
	s_waitcnt vmcnt(6)
	v_add_f32_e32 v38, v38, v26
	v_add_f32_e32 v38, v38, v27
	v_add_f32_e32 v38, v38, v28
	v_add_f32_e32 v38, v38, v29
	s_waitcnt vmcnt(5)
	v_add_f32_e32 v38, v38, v22
	;; [unrolled: 5-line block ×7, first 2 shown]
	v_add_f32_e32 v38, v38, v3
	v_add_f32_e32 v38, v38, v4
	;; [unrolled: 1-line block ×3, first 2 shown]
	s_nop 1
	v_mov_b32_dpp v39, v38 row_shr:1 row_mask:0xf bank_mask:0xf
	v_add_f32_e32 v39, v38, v39
	v_cndmask_b32_e32 v38, v39, v38, vcc
	v_cmp_lt_u32_e32 vcc, 1, v36
	s_nop 0
	v_mov_b32_dpp v39, v38 row_shr:2 row_mask:0xf bank_mask:0xf
	v_add_f32_e32 v39, v38, v39
	v_cndmask_b32_e32 v38, v38, v39, vcc
	v_cmp_lt_u32_e32 vcc, 3, v36
	s_nop 0
	v_mov_b32_dpp v39, v38 row_shr:4 row_mask:0xf bank_mask:0xf
	v_add_f32_e32 v39, v38, v39
	v_cndmask_b32_e32 v36, v38, v39, vcc
	v_cmp_eq_u32_e32 vcc, 5, v0
	s_and_saveexec_b64 s[0:1], vcc
	s_cbranch_execz .LBB227_2
; %bb.1:
	ds_write_b32 v37, v36
.LBB227_2:
	s_or_b64 exec, exec, s[0:1]
	v_add_u32_e32 v37, -1, v1
	v_and_b32_e32 v38, 0x78, v1
	v_cmp_lt_i32_e32 vcc, v37, v38
	v_cndmask_b32_e32 v1, v37, v1, vcc
	s_load_dword s7, s[4:5], 0x10
	v_lshlrev_b32_e32 v1, 2, v1
	ds_bpermute_b32 v37, v1, v36
	v_cmp_gt_u32_e32 vcc, 64, v0
	s_waitcnt lgkmcnt(0)
	v_mov_b32_e32 v1, s7
	; wave barrier
	s_and_saveexec_b64 s[0:1], vcc
	s_cbranch_execz .LBB227_6
; %bb.3:
	v_mov_b32_e32 v36, 0
	ds_read_b32 v1, v36
	v_cmp_eq_u32_e32 vcc, 0, v0
	s_and_saveexec_b64 s[4:5], vcc
	s_cbranch_execz .LBB227_5
; %bb.4:
	v_mov_b32_e32 v38, s7
	ds_write_b32 v36, v38
.LBB227_5:
	s_or_b64 exec, exec, s[4:5]
	s_waitcnt lgkmcnt(0)
	v_add_f32_e32 v1, s7, v1
.LBB227_6:
	s_or_b64 exec, exec, s[0:1]
	v_mov_b32_e32 v36, 0
	s_waitcnt lgkmcnt(0)
	; wave barrier
	ds_read_b32 v38, v36
	v_add_f32_e32 v37, v30, v37
	v_cmp_eq_u32_e32 vcc, 0, v0
	v_cndmask_b32_e32 v0, v37, v30, vcc
	s_mov_b32 s7, 0
	s_waitcnt lgkmcnt(0)
	v_add_f32_e32 v30, v38, v0
	v_add_f32_e32 v31, v31, v30
	;; [unrolled: 1-line block ×32, first 2 shown]
	global_store_dwordx4 v[34:35], v[30:33], off
	global_store_dwordx4 v[34:35], v[26:29], off offset:16
	global_store_dwordx4 v[34:35], v[22:25], off offset:32
	;; [unrolled: 1-line block ×7, first 2 shown]
	s_and_saveexec_b64 s[0:1], vcc
	s_cbranch_execz .LBB227_8
; %bb.7:
	s_lshl_b64 s[0:1], s[6:7], 2
	s_add_u32 s0, s2, s0
	s_addc_u32 s1, s3, s1
	global_store_dword v36, v1, s[0:1]
.LBB227_8:
	s_endpgm
	.section	.rodata,"a",@progbits
	.p2align	6, 0x0
	.amdhsa_kernel _Z43inclusive_scan_array_prefix_callback_kernelILj6ELj32ELN6hipcub18BlockScanAlgorithmE0EfEvPT2_S3_S2_
		.amdhsa_group_segment_fixed_size 4
		.amdhsa_private_segment_fixed_size 0
		.amdhsa_kernarg_size 20
		.amdhsa_user_sgpr_count 6
		.amdhsa_user_sgpr_private_segment_buffer 1
		.amdhsa_user_sgpr_dispatch_ptr 0
		.amdhsa_user_sgpr_queue_ptr 0
		.amdhsa_user_sgpr_kernarg_segment_ptr 1
		.amdhsa_user_sgpr_dispatch_id 0
		.amdhsa_user_sgpr_flat_scratch_init 0
		.amdhsa_user_sgpr_kernarg_preload_length 0
		.amdhsa_user_sgpr_kernarg_preload_offset 0
		.amdhsa_user_sgpr_private_segment_size 0
		.amdhsa_uses_dynamic_stack 0
		.amdhsa_system_sgpr_private_segment_wavefront_offset 0
		.amdhsa_system_sgpr_workgroup_id_x 1
		.amdhsa_system_sgpr_workgroup_id_y 0
		.amdhsa_system_sgpr_workgroup_id_z 0
		.amdhsa_system_sgpr_workgroup_info 0
		.amdhsa_system_vgpr_workitem_id 0
		.amdhsa_next_free_vgpr 40
		.amdhsa_next_free_sgpr 8
		.amdhsa_accum_offset 40
		.amdhsa_reserve_vcc 1
		.amdhsa_reserve_flat_scratch 0
		.amdhsa_float_round_mode_32 0
		.amdhsa_float_round_mode_16_64 0
		.amdhsa_float_denorm_mode_32 3
		.amdhsa_float_denorm_mode_16_64 3
		.amdhsa_dx10_clamp 1
		.amdhsa_ieee_mode 1
		.amdhsa_fp16_overflow 0
		.amdhsa_tg_split 0
		.amdhsa_exception_fp_ieee_invalid_op 0
		.amdhsa_exception_fp_denorm_src 0
		.amdhsa_exception_fp_ieee_div_zero 0
		.amdhsa_exception_fp_ieee_overflow 0
		.amdhsa_exception_fp_ieee_underflow 0
		.amdhsa_exception_fp_ieee_inexact 0
		.amdhsa_exception_int_div_zero 0
	.end_amdhsa_kernel
	.section	.text._Z43inclusive_scan_array_prefix_callback_kernelILj6ELj32ELN6hipcub18BlockScanAlgorithmE0EfEvPT2_S3_S2_,"axG",@progbits,_Z43inclusive_scan_array_prefix_callback_kernelILj6ELj32ELN6hipcub18BlockScanAlgorithmE0EfEvPT2_S3_S2_,comdat
.Lfunc_end227:
	.size	_Z43inclusive_scan_array_prefix_callback_kernelILj6ELj32ELN6hipcub18BlockScanAlgorithmE0EfEvPT2_S3_S2_, .Lfunc_end227-_Z43inclusive_scan_array_prefix_callback_kernelILj6ELj32ELN6hipcub18BlockScanAlgorithmE0EfEvPT2_S3_S2_
                                        ; -- End function
	.section	.AMDGPU.csdata,"",@progbits
; Kernel info:
; codeLenInByte = 756
; NumSgprs: 12
; NumVgprs: 40
; NumAgprs: 0
; TotalNumVgprs: 40
; ScratchSize: 0
; MemoryBound: 0
; FloatMode: 240
; IeeeMode: 1
; LDSByteSize: 4 bytes/workgroup (compile time only)
; SGPRBlocks: 1
; VGPRBlocks: 4
; NumSGPRsForWavesPerEU: 12
; NumVGPRsForWavesPerEU: 40
; AccumOffset: 40
; Occupancy: 8
; WaveLimiterHint : 0
; COMPUTE_PGM_RSRC2:SCRATCH_EN: 0
; COMPUTE_PGM_RSRC2:USER_SGPR: 6
; COMPUTE_PGM_RSRC2:TRAP_HANDLER: 0
; COMPUTE_PGM_RSRC2:TGID_X_EN: 1
; COMPUTE_PGM_RSRC2:TGID_Y_EN: 0
; COMPUTE_PGM_RSRC2:TGID_Z_EN: 0
; COMPUTE_PGM_RSRC2:TIDIG_COMP_CNT: 0
; COMPUTE_PGM_RSRC3_GFX90A:ACCUM_OFFSET: 9
; COMPUTE_PGM_RSRC3_GFX90A:TG_SPLIT: 0
	.section	.text._Z27exclusive_scan_array_kernelILj16ELj5ELN6hipcub18BlockScanAlgorithmE1E12hip_bfloat16EvPT2_S3_,"axG",@progbits,_Z27exclusive_scan_array_kernelILj16ELj5ELN6hipcub18BlockScanAlgorithmE1E12hip_bfloat16EvPT2_S3_,comdat
	.protected	_Z27exclusive_scan_array_kernelILj16ELj5ELN6hipcub18BlockScanAlgorithmE1E12hip_bfloat16EvPT2_S3_ ; -- Begin function _Z27exclusive_scan_array_kernelILj16ELj5ELN6hipcub18BlockScanAlgorithmE1E12hip_bfloat16EvPT2_S3_
	.globl	_Z27exclusive_scan_array_kernelILj16ELj5ELN6hipcub18BlockScanAlgorithmE1E12hip_bfloat16EvPT2_S3_
	.p2align	8
	.type	_Z27exclusive_scan_array_kernelILj16ELj5ELN6hipcub18BlockScanAlgorithmE1E12hip_bfloat16EvPT2_S3_,@function
_Z27exclusive_scan_array_kernelILj16ELj5ELN6hipcub18BlockScanAlgorithmE1E12hip_bfloat16EvPT2_S3_: ; @_Z27exclusive_scan_array_kernelILj16ELj5ELN6hipcub18BlockScanAlgorithmE1E12hip_bfloat16EvPT2_S3_
; %bb.0:
	s_load_dwordx2 s[0:1], s[4:5], 0x0
	v_lshl_or_b32 v1, s6, 4, v0
	v_lshl_add_u32 v10, v1, 2, v1
	v_mov_b32_e32 v11, 0
	v_lshlrev_b64 v[2:3], 1, v[10:11]
	s_waitcnt lgkmcnt(0)
	v_mov_b32_e32 v1, s1
	v_add_co_u32_e32 v2, vcc, s0, v2
	v_add_u32_e32 v4, 1, v10
	v_mov_b32_e32 v5, v11
	v_addc_co_u32_e32 v3, vcc, v1, v3, vcc
	v_lshlrev_b64 v[4:5], 1, v[4:5]
	v_add_co_u32_e32 v4, vcc, s0, v4
	v_add_u32_e32 v6, 3, v10
	v_mov_b32_e32 v7, v11
	v_addc_co_u32_e32 v5, vcc, v1, v5, vcc
	v_lshlrev_b64 v[6:7], 1, v[6:7]
	v_add_u32_e32 v12, 2, v10
	v_add_co_u32_e32 v6, vcc, s0, v6
	v_add_u32_e32 v10, 4, v10
	v_addc_co_u32_e32 v7, vcc, v1, v7, vcc
	v_lshlrev_b64 v[8:9], 1, v[10:11]
	v_add_co_u32_e32 v8, vcc, s0, v8
	v_addc_co_u32_e32 v9, vcc, v1, v9, vcc
	global_load_ushort v16, v[6:7], off
	global_load_ushort v17, v[8:9], off
	;; [unrolled: 1-line block ×4, first 2 shown]
	v_mov_b32_e32 v13, v11
	v_lshlrev_b64 v[10:11], 1, v[12:13]
	v_add_co_u32_e32 v10, vcc, s0, v10
	v_addc_co_u32_e32 v11, vcc, v1, v11, vcc
	global_load_ushort v1, v[10:11], off
	s_mov_b32 s0, 0x7f800000
                                        ; implicit-def: $vgpr18
	s_waitcnt vmcnt(2)
	v_lshlrev_b32_e32 v13, 16, v14
	s_waitcnt vmcnt(1)
	v_lshlrev_b32_e32 v12, 16, v15
	v_mov_b32_e32 v14, v13
	v_pk_add_f32 v[14:15], v[14:15], v[12:13] op_sel_hi:[0,1]
	v_and_b32_e32 v15, 0x7f800000, v14
	v_cmp_ne_u32_e32 vcc, s0, v15
	s_and_saveexec_b64 s[0:1], vcc
	s_xor_b64 s[0:1], exec, s[0:1]
; %bb.1:
	v_bfe_u32 v15, v14, 16, 1
	s_movk_i32 s2, 0x7fff
	v_add3_u32 v18, v14, v15, s2
                                        ; implicit-def: $vgpr14_vgpr15
; %bb.2:
	s_andn2_saveexec_b64 s[0:1], s[0:1]
; %bb.3:
	v_mov_b32_e32 v15, 0
	v_or_b32_e32 v18, 0x10000, v14
	v_cmp_eq_u32_sdwa vcc, v14, v15 src0_sel:WORD_0 src1_sel:DWORD
	v_cndmask_b32_e32 v18, v18, v14, vcc
; %bb.4:
	s_or_b64 exec, exec, s[0:1]
	v_and_b32_e32 v14, 0xffff0000, v18
	s_waitcnt vmcnt(0)
	v_lshlrev_b32_e32 v1, 16, v1
	v_add_f32_e32 v14, v14, v1
	s_mov_b32 s0, 0x7f800000
	v_and_b32_e32 v15, 0x7f800000, v14
	v_cmp_ne_u32_e32 vcc, s0, v15
                                        ; implicit-def: $vgpr15
	s_and_saveexec_b64 s[0:1], vcc
	s_xor_b64 s[0:1], exec, s[0:1]
; %bb.5:
	v_bfe_u32 v15, v14, 16, 1
	s_movk_i32 s2, 0x7fff
	v_add3_u32 v15, v14, v15, s2
                                        ; implicit-def: $vgpr14
; %bb.6:
	s_andn2_saveexec_b64 s[0:1], s[0:1]
; %bb.7:
	v_mov_b32_e32 v15, 0
	v_or_b32_e32 v18, 0x10000, v14
	v_cmp_eq_u32_sdwa vcc, v14, v15 src0_sel:WORD_0 src1_sel:DWORD
	v_cndmask_b32_e32 v15, v18, v14, vcc
; %bb.8:
	s_or_b64 exec, exec, s[0:1]
	v_and_b32_e32 v14, 0xffff0000, v15
	v_lshlrev_b32_e32 v16, 16, v16
	v_add_f32_e32 v14, v14, v16
	s_mov_b32 s0, 0x7f800000
	v_and_b32_e32 v15, 0x7f800000, v14
	v_cmp_ne_u32_e32 vcc, s0, v15
                                        ; implicit-def: $vgpr15
	s_and_saveexec_b64 s[0:1], vcc
	s_xor_b64 s[0:1], exec, s[0:1]
; %bb.9:
	v_bfe_u32 v15, v14, 16, 1
	s_movk_i32 s2, 0x7fff
	v_add3_u32 v15, v14, v15, s2
                                        ; implicit-def: $vgpr14
; %bb.10:
	s_andn2_saveexec_b64 s[0:1], s[0:1]
; %bb.11:
	v_mov_b32_e32 v15, 0
	v_or_b32_e32 v18, 0x10000, v14
	v_cmp_eq_u32_sdwa vcc, v14, v15 src0_sel:WORD_0 src1_sel:DWORD
	v_cndmask_b32_e32 v15, v18, v14, vcc
; %bb.12:
	s_or_b64 exec, exec, s[0:1]
	v_and_b32_e32 v14, 0xffff0000, v15
	v_lshlrev_b32_e32 v15, 16, v17
	v_add_f32_e32 v14, v14, v15
	s_mov_b32 s0, 0x7f800000
	v_and_b32_e32 v15, 0x7f800000, v14
	v_cmp_ne_u32_e32 vcc, s0, v15
                                        ; implicit-def: $vgpr17
	s_and_saveexec_b64 s[0:1], vcc
	s_xor_b64 s[0:1], exec, s[0:1]
; %bb.13:
	v_bfe_u32 v15, v14, 16, 1
	s_movk_i32 s2, 0x7fff
	v_add3_u32 v17, v14, v15, s2
                                        ; implicit-def: $vgpr14
; %bb.14:
	s_andn2_saveexec_b64 s[0:1], s[0:1]
; %bb.15:
	v_mov_b32_e32 v15, 0
	v_or_b32_e32 v17, 0x10000, v14
	v_cmp_eq_u32_sdwa vcc, v14, v15 src0_sel:WORD_0 src1_sel:DWORD
	v_cndmask_b32_e32 v17, v17, v14, vcc
; %bb.16:
	s_or_b64 exec, exec, s[0:1]
	v_lshrrev_b32_e32 v15, 16, v17
	v_and_b32_e32 v18, 0xffff0000, v17
	s_mov_b32 s0, 0x7f800000
	v_mov_b32_dpp v14, v15 row_shr:1 row_mask:0xf bank_mask:0xf
	v_lshlrev_b32_e32 v14, 16, v14
	v_add_f32_e32 v14, v18, v14
	v_and_b32_e32 v17, 0x7f800000, v14
	v_cmp_ne_u32_e32 vcc, s0, v17
                                        ; implicit-def: $vgpr19
	s_and_saveexec_b64 s[0:1], vcc
	s_xor_b64 s[0:1], exec, s[0:1]
; %bb.17:
	v_bfe_u32 v17, v14, 16, 1
	s_movk_i32 s2, 0x7fff
	v_add3_u32 v19, v14, v17, s2
                                        ; implicit-def: $vgpr14
; %bb.18:
	s_andn2_saveexec_b64 s[0:1], s[0:1]
; %bb.19:
	v_mov_b32_e32 v17, 0
	v_or_b32_e32 v19, 0x10000, v14
	v_cmp_eq_u32_sdwa vcc, v14, v17 src0_sel:WORD_0 src1_sel:DWORD
	v_cndmask_b32_e32 v19, v19, v14, vcc
; %bb.20:
	s_or_b64 exec, exec, s[0:1]
	v_mbcnt_lo_u32_b32 v14, -1, 0
	v_mbcnt_hi_u32_b32 v17, -1, v14
	v_and_b32_e32 v14, 15, v17
	v_lshrrev_b32_e32 v20, 16, v19
	v_cmp_eq_u32_e32 vcc, 0, v14
	v_and_b32_e32 v19, 0xffff0000, v19
	v_cndmask_b32_e32 v15, v20, v15, vcc
	v_cndmask_b32_e32 v18, v19, v18, vcc
	s_mov_b32 s0, 0x7f800000
	v_mov_b32_dpp v19, v15 row_shr:2 row_mask:0xf bank_mask:0xf
	v_lshlrev_b32_e32 v19, 16, v19
	v_add_f32_e32 v19, v18, v19
	v_and_b32_e32 v20, 0x7f800000, v19
	v_cmp_ne_u32_e32 vcc, s0, v20
                                        ; implicit-def: $vgpr20
	s_and_saveexec_b64 s[0:1], vcc
	s_xor_b64 s[0:1], exec, s[0:1]
; %bb.21:
	v_bfe_u32 v20, v19, 16, 1
	s_movk_i32 s2, 0x7fff
	v_add3_u32 v20, v19, v20, s2
                                        ; implicit-def: $vgpr19
; %bb.22:
	s_andn2_saveexec_b64 s[0:1], s[0:1]
; %bb.23:
	v_mov_b32_e32 v20, 0
	v_or_b32_e32 v21, 0x10000, v19
	v_cmp_eq_u32_sdwa vcc, v19, v20 src0_sel:WORD_0 src1_sel:DWORD
	v_cndmask_b32_e32 v20, v21, v19, vcc
; %bb.24:
	s_or_b64 exec, exec, s[0:1]
	v_lshrrev_b32_e32 v19, 16, v20
	v_cmp_lt_u32_e32 vcc, 1, v14
	v_cndmask_b32_e32 v15, v15, v19, vcc
	v_and_b32_e32 v20, 0xffff0000, v20
	v_cndmask_b32_e32 v18, v18, v20, vcc
	v_mov_b32_dpp v19, v15 row_shr:4 row_mask:0xf bank_mask:0xf
	v_lshlrev_b32_e32 v19, 16, v19
	v_add_f32_e32 v19, v18, v19
	s_mov_b32 s0, 0x7f800000
	v_and_b32_e32 v20, 0x7f800000, v19
	v_cmp_ne_u32_e32 vcc, s0, v20
                                        ; implicit-def: $vgpr20
	s_and_saveexec_b64 s[0:1], vcc
	s_xor_b64 s[0:1], exec, s[0:1]
; %bb.25:
	v_bfe_u32 v20, v19, 16, 1
	s_movk_i32 s2, 0x7fff
	v_add3_u32 v20, v19, v20, s2
                                        ; implicit-def: $vgpr19
; %bb.26:
	s_andn2_saveexec_b64 s[0:1], s[0:1]
; %bb.27:
	v_mov_b32_e32 v20, 0
	v_or_b32_e32 v21, 0x10000, v19
	v_cmp_eq_u32_sdwa vcc, v19, v20 src0_sel:WORD_0 src1_sel:DWORD
	v_cndmask_b32_e32 v20, v21, v19, vcc
; %bb.28:
	s_or_b64 exec, exec, s[0:1]
	v_lshrrev_b32_e32 v19, 16, v20
	v_cmp_lt_u32_e32 vcc, 3, v14
	v_cndmask_b32_e32 v15, v15, v19, vcc
	v_and_b32_e32 v20, 0xffff0000, v20
	v_cndmask_b32_e32 v18, v18, v20, vcc
	v_mov_b32_dpp v19, v15 row_shr:8 row_mask:0xf bank_mask:0xf
	v_lshlrev_b32_e32 v19, 16, v19
	v_add_f32_e32 v18, v18, v19
	s_mov_b32 s0, 0x7f800000
	v_and_b32_e32 v19, 0x7f800000, v18
	v_cmp_ne_u32_e32 vcc, s0, v19
                                        ; implicit-def: $vgpr19
	s_and_saveexec_b64 s[0:1], vcc
	s_xor_b64 s[0:1], exec, s[0:1]
; %bb.29:
	v_bfe_u32 v19, v18, 16, 1
	s_movk_i32 s2, 0x7fff
	v_add3_u32 v19, v18, v19, s2
                                        ; implicit-def: $vgpr18
; %bb.30:
	s_andn2_saveexec_b64 s[0:1], s[0:1]
; %bb.31:
	v_mov_b32_e32 v19, 0
	v_or_b32_e32 v20, 0x10000, v18
	v_cmp_eq_u32_sdwa vcc, v18, v19 src0_sel:WORD_0 src1_sel:DWORD
	v_cndmask_b32_e32 v19, v20, v18, vcc
; %bb.32:
	s_or_b64 exec, exec, s[0:1]
	v_lshrrev_b32_e32 v18, 16, v19
	v_cmp_lt_u32_e32 vcc, 7, v14
	v_cndmask_b32_e32 v14, v15, v18, vcc
	v_cmp_eq_u32_e32 vcc, 15, v0
	s_and_saveexec_b64 s[0:1], vcc
	s_cbranch_execz .LBB228_34
; %bb.33:
	v_mov_b32_e32 v15, 0
	ds_write_b16 v15, v14
.LBB228_34:
	s_or_b64 exec, exec, s[0:1]
	s_load_dword s2, s[4:5], 0x8
	v_lshlrev_b32_e32 v14, 16, v14
	s_waitcnt lgkmcnt(0)
	; wave barrier
	s_waitcnt lgkmcnt(0)
                                        ; implicit-def: $vgpr18
	s_waitcnt lgkmcnt(0)
	s_lshl_b32 s0, s2, 16
	v_pk_add_f32 v[14:15], v[14:15], s[0:1] op_sel_hi:[0,1]
	s_mov_b32 s0, 0x7f800000
	v_and_b32_e32 v15, 0x7f800000, v14
	v_cmp_ne_u32_e32 vcc, s0, v15
	s_and_saveexec_b64 s[0:1], vcc
	s_xor_b64 s[0:1], exec, s[0:1]
; %bb.35:
	v_bfe_u32 v15, v14, 16, 1
	s_movk_i32 s3, 0x7fff
	v_add3_u32 v18, v14, v15, s3
                                        ; implicit-def: $vgpr14_vgpr15
; %bb.36:
	s_andn2_saveexec_b64 s[0:1], s[0:1]
; %bb.37:
	v_mov_b32_e32 v15, 0
	v_or_b32_e32 v18, 0x10000, v14
	v_cmp_eq_u32_sdwa vcc, v14, v15 src0_sel:WORD_0 src1_sel:DWORD
	v_cndmask_b32_e32 v18, v18, v14, vcc
; %bb.38:
	s_or_b64 exec, exec, s[0:1]
	v_lshrrev_b32_e32 v14, 16, v18
	v_add_u32_e32 v15, -1, v17
	v_and_b32_e32 v18, 0x70, v17
	v_cmp_lt_i32_e32 vcc, v15, v18
	v_cndmask_b32_e32 v15, v15, v17, vcc
	v_lshlrev_b32_e32 v15, 2, v15
	ds_bpermute_b32 v14, v15, v14
	v_cmp_eq_u32_e32 vcc, 0, v17
	v_cmp_eq_u32_e64 s[0:1], 0, v0
	v_mov_b32_e32 v0, s2
	s_or_b64 vcc, s[0:1], vcc
	s_waitcnt lgkmcnt(0)
	v_cndmask_b32_e32 v0, v14, v0, vcc
	v_lshlrev_b32_e32 v14, 16, v0
	v_add_f32_e32 v14, v12, v14
	s_mov_b32 s0, 0x7f800000
	v_and_b32_e32 v12, 0x7f800000, v14
	v_cmp_ne_u32_e32 vcc, s0, v12
                                        ; implicit-def: $vgpr12
	s_and_saveexec_b64 s[0:1], vcc
	s_xor_b64 s[0:1], exec, s[0:1]
; %bb.39:
	v_bfe_u32 v12, v14, 16, 1
	s_movk_i32 s2, 0x7fff
	v_add3_u32 v12, v14, v12, s2
                                        ; implicit-def: $vgpr14
; %bb.40:
	s_andn2_saveexec_b64 s[0:1], s[0:1]
; %bb.41:
	v_mov_b32_e32 v12, 0
	v_or_b32_e32 v15, 0x10000, v14
	v_cmp_eq_u32_sdwa vcc, v14, v12 src0_sel:WORD_0 src1_sel:DWORD
	v_cndmask_b32_e32 v12, v15, v14, vcc
; %bb.42:
	s_or_b64 exec, exec, s[0:1]
	v_and_b32_e32 v14, 0xffff0000, v12
	v_add_f32_e32 v14, v13, v14
	s_mov_b32 s0, 0x7f800000
	v_and_b32_e32 v13, 0x7f800000, v14
	v_cmp_ne_u32_e32 vcc, s0, v13
                                        ; implicit-def: $vgpr13
	s_and_saveexec_b64 s[0:1], vcc
	s_xor_b64 s[0:1], exec, s[0:1]
; %bb.43:
	v_bfe_u32 v13, v14, 16, 1
	s_movk_i32 s2, 0x7fff
	v_add3_u32 v13, v14, v13, s2
                                        ; implicit-def: $vgpr14
; %bb.44:
	s_andn2_saveexec_b64 s[0:1], s[0:1]
; %bb.45:
	v_mov_b32_e32 v13, 0
	v_or_b32_e32 v15, 0x10000, v14
	v_cmp_eq_u32_sdwa vcc, v14, v13 src0_sel:WORD_0 src1_sel:DWORD
	v_cndmask_b32_e32 v13, v15, v14, vcc
; %bb.46:
	s_or_b64 exec, exec, s[0:1]
	v_and_b32_e32 v14, 0xffff0000, v13
	v_add_f32_e32 v14, v14, v1
	s_mov_b32 s0, 0x7f800000
	v_and_b32_e32 v1, 0x7f800000, v14
	v_cmp_ne_u32_e32 vcc, s0, v1
                                        ; implicit-def: $vgpr1
	s_and_saveexec_b64 s[0:1], vcc
	s_xor_b64 s[0:1], exec, s[0:1]
; %bb.47:
	v_bfe_u32 v1, v14, 16, 1
	s_movk_i32 s2, 0x7fff
	v_add3_u32 v1, v14, v1, s2
                                        ; implicit-def: $vgpr14
; %bb.48:
	s_andn2_saveexec_b64 s[0:1], s[0:1]
; %bb.49:
	v_mov_b32_e32 v1, 0
	v_or_b32_e32 v15, 0x10000, v14
	v_cmp_eq_u32_sdwa vcc, v14, v1 src0_sel:WORD_0 src1_sel:DWORD
	v_cndmask_b32_e32 v1, v15, v14, vcc
; %bb.50:
	s_or_b64 exec, exec, s[0:1]
	v_and_b32_e32 v14, 0xffff0000, v1
	v_add_f32_e32 v14, v14, v16
	s_mov_b32 s0, 0x7f800000
	v_and_b32_e32 v15, 0x7f800000, v14
	v_cmp_ne_u32_e32 vcc, s0, v15
                                        ; implicit-def: $vgpr15
	s_and_saveexec_b64 s[0:1], vcc
	s_xor_b64 s[0:1], exec, s[0:1]
; %bb.51:
	v_bfe_u32 v15, v14, 16, 1
	s_movk_i32 s2, 0x7fff
	v_add3_u32 v15, v14, v15, s2
                                        ; implicit-def: $vgpr14
; %bb.52:
	s_andn2_saveexec_b64 s[0:1], s[0:1]
; %bb.53:
	v_mov_b32_e32 v15, 0
	v_or_b32_e32 v16, 0x10000, v14
	v_cmp_eq_u32_sdwa vcc, v14, v15 src0_sel:WORD_0 src1_sel:DWORD
	v_cndmask_b32_e32 v15, v16, v14, vcc
; %bb.54:
	s_or_b64 exec, exec, s[0:1]
	global_store_short v[2:3], v0, off
	global_store_short_d16_hi v[4:5], v12, off
	global_store_short_d16_hi v[10:11], v13, off
	;; [unrolled: 1-line block ×4, first 2 shown]
	s_endpgm
	.section	.rodata,"a",@progbits
	.p2align	6, 0x0
	.amdhsa_kernel _Z27exclusive_scan_array_kernelILj16ELj5ELN6hipcub18BlockScanAlgorithmE1E12hip_bfloat16EvPT2_S3_
		.amdhsa_group_segment_fixed_size 2
		.amdhsa_private_segment_fixed_size 0
		.amdhsa_kernarg_size 12
		.amdhsa_user_sgpr_count 6
		.amdhsa_user_sgpr_private_segment_buffer 1
		.amdhsa_user_sgpr_dispatch_ptr 0
		.amdhsa_user_sgpr_queue_ptr 0
		.amdhsa_user_sgpr_kernarg_segment_ptr 1
		.amdhsa_user_sgpr_dispatch_id 0
		.amdhsa_user_sgpr_flat_scratch_init 0
		.amdhsa_user_sgpr_kernarg_preload_length 0
		.amdhsa_user_sgpr_kernarg_preload_offset 0
		.amdhsa_user_sgpr_private_segment_size 0
		.amdhsa_uses_dynamic_stack 0
		.amdhsa_system_sgpr_private_segment_wavefront_offset 0
		.amdhsa_system_sgpr_workgroup_id_x 1
		.amdhsa_system_sgpr_workgroup_id_y 0
		.amdhsa_system_sgpr_workgroup_id_z 0
		.amdhsa_system_sgpr_workgroup_info 0
		.amdhsa_system_vgpr_workitem_id 0
		.amdhsa_next_free_vgpr 22
		.amdhsa_next_free_sgpr 7
		.amdhsa_accum_offset 24
		.amdhsa_reserve_vcc 1
		.amdhsa_reserve_flat_scratch 0
		.amdhsa_float_round_mode_32 0
		.amdhsa_float_round_mode_16_64 0
		.amdhsa_float_denorm_mode_32 3
		.amdhsa_float_denorm_mode_16_64 3
		.amdhsa_dx10_clamp 1
		.amdhsa_ieee_mode 1
		.amdhsa_fp16_overflow 0
		.amdhsa_tg_split 0
		.amdhsa_exception_fp_ieee_invalid_op 0
		.amdhsa_exception_fp_denorm_src 0
		.amdhsa_exception_fp_ieee_div_zero 0
		.amdhsa_exception_fp_ieee_overflow 0
		.amdhsa_exception_fp_ieee_underflow 0
		.amdhsa_exception_fp_ieee_inexact 0
		.amdhsa_exception_int_div_zero 0
	.end_amdhsa_kernel
	.section	.text._Z27exclusive_scan_array_kernelILj16ELj5ELN6hipcub18BlockScanAlgorithmE1E12hip_bfloat16EvPT2_S3_,"axG",@progbits,_Z27exclusive_scan_array_kernelILj16ELj5ELN6hipcub18BlockScanAlgorithmE1E12hip_bfloat16EvPT2_S3_,comdat
.Lfunc_end228:
	.size	_Z27exclusive_scan_array_kernelILj16ELj5ELN6hipcub18BlockScanAlgorithmE1E12hip_bfloat16EvPT2_S3_, .Lfunc_end228-_Z27exclusive_scan_array_kernelILj16ELj5ELN6hipcub18BlockScanAlgorithmE1E12hip_bfloat16EvPT2_S3_
                                        ; -- End function
	.section	.AMDGPU.csdata,"",@progbits
; Kernel info:
; codeLenInByte = 1700
; NumSgprs: 11
; NumVgprs: 22
; NumAgprs: 0
; TotalNumVgprs: 22
; ScratchSize: 0
; MemoryBound: 0
; FloatMode: 240
; IeeeMode: 1
; LDSByteSize: 2 bytes/workgroup (compile time only)
; SGPRBlocks: 1
; VGPRBlocks: 2
; NumSGPRsForWavesPerEU: 11
; NumVGPRsForWavesPerEU: 22
; AccumOffset: 24
; Occupancy: 8
; WaveLimiterHint : 0
; COMPUTE_PGM_RSRC2:SCRATCH_EN: 0
; COMPUTE_PGM_RSRC2:USER_SGPR: 6
; COMPUTE_PGM_RSRC2:TRAP_HANDLER: 0
; COMPUTE_PGM_RSRC2:TGID_X_EN: 1
; COMPUTE_PGM_RSRC2:TGID_Y_EN: 0
; COMPUTE_PGM_RSRC2:TGID_Z_EN: 0
; COMPUTE_PGM_RSRC2:TIDIG_COMP_CNT: 0
; COMPUTE_PGM_RSRC3_GFX90A:ACCUM_OFFSET: 5
; COMPUTE_PGM_RSRC3_GFX90A:TG_SPLIT: 0
	.section	.text._Z27exclusive_scan_array_kernelILj65ELj5ELN6hipcub18BlockScanAlgorithmE1E6__halfEvPT2_S3_,"axG",@progbits,_Z27exclusive_scan_array_kernelILj65ELj5ELN6hipcub18BlockScanAlgorithmE1E6__halfEvPT2_S3_,comdat
	.protected	_Z27exclusive_scan_array_kernelILj65ELj5ELN6hipcub18BlockScanAlgorithmE1E6__halfEvPT2_S3_ ; -- Begin function _Z27exclusive_scan_array_kernelILj65ELj5ELN6hipcub18BlockScanAlgorithmE1E6__halfEvPT2_S3_
	.globl	_Z27exclusive_scan_array_kernelILj65ELj5ELN6hipcub18BlockScanAlgorithmE1E6__halfEvPT2_S3_
	.p2align	8
	.type	_Z27exclusive_scan_array_kernelILj65ELj5ELN6hipcub18BlockScanAlgorithmE1E6__halfEvPT2_S3_,@function
_Z27exclusive_scan_array_kernelILj65ELj5ELN6hipcub18BlockScanAlgorithmE1E6__halfEvPT2_S3_: ; @_Z27exclusive_scan_array_kernelILj65ELj5ELN6hipcub18BlockScanAlgorithmE1E6__halfEvPT2_S3_
; %bb.0:
	s_load_dwordx2 s[0:1], s[4:5], 0x0
	s_load_dword s2, s[4:5], 0x8
	s_mulk_i32 s6, 0x41
	v_add_u32_e32 v1, s6, v0
	v_lshl_add_u32 v10, v1, 2, v1
	v_mov_b32_e32 v11, 0
	v_lshlrev_b64 v[2:3], 1, v[10:11]
	s_waitcnt lgkmcnt(0)
	v_mov_b32_e32 v1, s1
	v_add_co_u32_e32 v2, vcc, s0, v2
	v_add_u32_e32 v4, 1, v10
	v_mov_b32_e32 v5, v11
	v_addc_co_u32_e32 v3, vcc, v1, v3, vcc
	v_lshlrev_b64 v[4:5], 1, v[4:5]
	v_add_co_u32_e32 v4, vcc, s0, v4
	v_add_u32_e32 v6, 2, v10
	v_mov_b32_e32 v7, v11
	v_addc_co_u32_e32 v5, vcc, v1, v5, vcc
	v_lshlrev_b64 v[6:7], 1, v[6:7]
	;; [unrolled: 5-line block ×3, first 2 shown]
	v_add_co_u32_e32 v8, vcc, s0, v8
	v_add_u32_e32 v10, 4, v10
	v_addc_co_u32_e32 v9, vcc, v1, v9, vcc
	v_lshlrev_b64 v[10:11], 1, v[10:11]
	v_add_co_u32_e32 v10, vcc, s0, v10
	v_addc_co_u32_e32 v11, vcc, v1, v11, vcc
	global_load_ushort v1, v[2:3], off
	global_load_ushort v12, v[4:5], off
	;; [unrolled: 1-line block ×5, first 2 shown]
	v_lshrrev_b32_e32 v16, 5, v0
	v_add_lshl_u32 v16, v16, v0, 1
	v_cmp_gt_u32_e32 vcc, 64, v0
	s_waitcnt vmcnt(3)
	v_add_f16_e32 v17, v1, v12
	s_waitcnt vmcnt(2)
	v_add_f16_e32 v17, v17, v13
	;; [unrolled: 2-line block ×4, first 2 shown]
	ds_write_b16 v16, v15
	s_waitcnt lgkmcnt(0)
	s_barrier
	s_and_saveexec_b64 s[0:1], vcc
	s_cbranch_execz .LBB229_2
; %bb.1:
	v_lshlrev_b32_e32 v16, 1, v0
	v_lshrrev_b32_e32 v17, 4, v0
	v_add_lshl_u32 v16, v17, v16, 1
	ds_read_u16 v17, v16
	ds_read_u16 v18, v16 offset:2
	v_mbcnt_lo_u32_b32 v19, -1, 0
	v_mbcnt_hi_u32_b32 v19, -1, v19
	v_and_b32_e32 v21, 15, v19
	v_cmp_eq_u32_e32 vcc, 0, v21
	s_waitcnt lgkmcnt(0)
	v_add_f16_e32 v20, v17, v18
	s_nop 1
	v_mov_b32_dpp v22, v20 row_shr:1 row_mask:0xf bank_mask:0xf
	v_add_f16_e32 v22, v20, v22
	v_cndmask_b32_e32 v20, v22, v20, vcc
	v_and_b32_e32 v22, 0xffff, v20
	v_cmp_lt_u32_e32 vcc, 1, v21
	s_nop 0
	v_mov_b32_dpp v22, v22 row_shr:2 row_mask:0xf bank_mask:0xf
	v_add_f16_e32 v22, v20, v22
	v_cndmask_b32_e32 v20, v20, v22, vcc
	v_and_b32_e32 v22, 0xffff, v20
	v_cmp_lt_u32_e32 vcc, 3, v21
	;; [unrolled: 6-line block ×3, first 2 shown]
	s_nop 0
	v_mov_b32_dpp v22, v22 row_shr:8 row_mask:0xf bank_mask:0xf
	v_add_f16_e32 v22, v20, v22
	v_cndmask_b32_e32 v20, v20, v22, vcc
	v_and_b32_e32 v21, 0xffff, v20
	v_and_b32_e32 v22, 16, v19
	v_cmp_eq_u32_e32 vcc, 0, v22
	v_mov_b32_dpp v21, v21 row_bcast:15 row_mask:0xf bank_mask:0xf
	v_add_f16_e32 v21, v20, v21
	v_cndmask_b32_e32 v20, v21, v20, vcc
	v_and_b32_e32 v21, 0xffff, v20
	v_cmp_lt_u32_e32 vcc, 31, v19
	v_and_b32_e32 v22, 64, v19
	v_mov_b32_dpp v21, v21 row_bcast:31 row_mask:0xf bank_mask:0xf
	v_add_f16_e32 v21, v20, v21
	v_cndmask_b32_e32 v20, v20, v21, vcc
	v_add_u32_e32 v21, -1, v19
	v_cmp_lt_i32_e32 vcc, v21, v22
	v_cndmask_b32_e32 v19, v21, v19, vcc
	v_and_b32_e32 v20, 0xffff, v20
	v_lshlrev_b32_e32 v19, 2, v19
	ds_bpermute_b32 v19, v19, v20
	v_cmp_eq_u32_e32 vcc, 0, v0
	s_waitcnt lgkmcnt(0)
	v_add_f16_e32 v17, v17, v19
	v_cndmask_b32_e32 v15, v17, v15, vcc
	ds_write_b16 v16, v15
	v_add_f16_e32 v15, v18, v15
	ds_write_b16 v16, v15 offset:2
.LBB229_2:
	s_or_b64 exec, exec, s[0:1]
	v_cmp_ne_u32_e32 vcc, 0, v0
	v_mov_b32_e32 v15, s2
	s_waitcnt lgkmcnt(0)
	s_barrier
	s_and_saveexec_b64 s[0:1], vcc
	s_cbranch_execz .LBB229_4
; %bb.3:
	v_add_u32_e32 v0, -1, v0
	v_lshrrev_b32_e32 v15, 5, v0
	v_add_lshl_u32 v0, v15, v0, 1
	ds_read_u16 v0, v0
	s_waitcnt lgkmcnt(0)
	v_add_f16_e32 v15, s2, v0
.LBB229_4:
	s_or_b64 exec, exec, s[0:1]
	v_add_f16_e32 v0, v1, v15
	v_add_f16_e32 v1, v0, v12
	;; [unrolled: 1-line block ×4, first 2 shown]
	global_store_short v[2:3], v15, off
	global_store_short v[4:5], v0, off
	;; [unrolled: 1-line block ×5, first 2 shown]
	s_endpgm
	.section	.rodata,"a",@progbits
	.p2align	6, 0x0
	.amdhsa_kernel _Z27exclusive_scan_array_kernelILj65ELj5ELN6hipcub18BlockScanAlgorithmE1E6__halfEvPT2_S3_
		.amdhsa_group_segment_fixed_size 264
		.amdhsa_private_segment_fixed_size 0
		.amdhsa_kernarg_size 12
		.amdhsa_user_sgpr_count 6
		.amdhsa_user_sgpr_private_segment_buffer 1
		.amdhsa_user_sgpr_dispatch_ptr 0
		.amdhsa_user_sgpr_queue_ptr 0
		.amdhsa_user_sgpr_kernarg_segment_ptr 1
		.amdhsa_user_sgpr_dispatch_id 0
		.amdhsa_user_sgpr_flat_scratch_init 0
		.amdhsa_user_sgpr_kernarg_preload_length 0
		.amdhsa_user_sgpr_kernarg_preload_offset 0
		.amdhsa_user_sgpr_private_segment_size 0
		.amdhsa_uses_dynamic_stack 0
		.amdhsa_system_sgpr_private_segment_wavefront_offset 0
		.amdhsa_system_sgpr_workgroup_id_x 1
		.amdhsa_system_sgpr_workgroup_id_y 0
		.amdhsa_system_sgpr_workgroup_id_z 0
		.amdhsa_system_sgpr_workgroup_info 0
		.amdhsa_system_vgpr_workitem_id 0
		.amdhsa_next_free_vgpr 23
		.amdhsa_next_free_sgpr 7
		.amdhsa_accum_offset 24
		.amdhsa_reserve_vcc 1
		.amdhsa_reserve_flat_scratch 0
		.amdhsa_float_round_mode_32 0
		.amdhsa_float_round_mode_16_64 0
		.amdhsa_float_denorm_mode_32 3
		.amdhsa_float_denorm_mode_16_64 3
		.amdhsa_dx10_clamp 1
		.amdhsa_ieee_mode 1
		.amdhsa_fp16_overflow 0
		.amdhsa_tg_split 0
		.amdhsa_exception_fp_ieee_invalid_op 0
		.amdhsa_exception_fp_denorm_src 0
		.amdhsa_exception_fp_ieee_div_zero 0
		.amdhsa_exception_fp_ieee_overflow 0
		.amdhsa_exception_fp_ieee_underflow 0
		.amdhsa_exception_fp_ieee_inexact 0
		.amdhsa_exception_int_div_zero 0
	.end_amdhsa_kernel
	.section	.text._Z27exclusive_scan_array_kernelILj65ELj5ELN6hipcub18BlockScanAlgorithmE1E6__halfEvPT2_S3_,"axG",@progbits,_Z27exclusive_scan_array_kernelILj65ELj5ELN6hipcub18BlockScanAlgorithmE1E6__halfEvPT2_S3_,comdat
.Lfunc_end229:
	.size	_Z27exclusive_scan_array_kernelILj65ELj5ELN6hipcub18BlockScanAlgorithmE1E6__halfEvPT2_S3_, .Lfunc_end229-_Z27exclusive_scan_array_kernelILj65ELj5ELN6hipcub18BlockScanAlgorithmE1E6__halfEvPT2_S3_
                                        ; -- End function
	.section	.AMDGPU.csdata,"",@progbits
; Kernel info:
; codeLenInByte = 700
; NumSgprs: 11
; NumVgprs: 23
; NumAgprs: 0
; TotalNumVgprs: 23
; ScratchSize: 0
; MemoryBound: 0
; FloatMode: 240
; IeeeMode: 1
; LDSByteSize: 264 bytes/workgroup (compile time only)
; SGPRBlocks: 1
; VGPRBlocks: 2
; NumSGPRsForWavesPerEU: 11
; NumVGPRsForWavesPerEU: 23
; AccumOffset: 24
; Occupancy: 8
; WaveLimiterHint : 0
; COMPUTE_PGM_RSRC2:SCRATCH_EN: 0
; COMPUTE_PGM_RSRC2:USER_SGPR: 6
; COMPUTE_PGM_RSRC2:TRAP_HANDLER: 0
; COMPUTE_PGM_RSRC2:TGID_X_EN: 1
; COMPUTE_PGM_RSRC2:TGID_Y_EN: 0
; COMPUTE_PGM_RSRC2:TGID_Z_EN: 0
; COMPUTE_PGM_RSRC2:TIDIG_COMP_CNT: 0
; COMPUTE_PGM_RSRC3_GFX90A:ACCUM_OFFSET: 5
; COMPUTE_PGM_RSRC3_GFX90A:TG_SPLIT: 0
	.section	.text._Z27exclusive_scan_array_kernelILj255ELj15ELN6hipcub18BlockScanAlgorithmE1EfEvPT2_S2_,"axG",@progbits,_Z27exclusive_scan_array_kernelILj255ELj15ELN6hipcub18BlockScanAlgorithmE1EfEvPT2_S2_,comdat
	.protected	_Z27exclusive_scan_array_kernelILj255ELj15ELN6hipcub18BlockScanAlgorithmE1EfEvPT2_S2_ ; -- Begin function _Z27exclusive_scan_array_kernelILj255ELj15ELN6hipcub18BlockScanAlgorithmE1EfEvPT2_S2_
	.globl	_Z27exclusive_scan_array_kernelILj255ELj15ELN6hipcub18BlockScanAlgorithmE1EfEvPT2_S2_
	.p2align	8
	.type	_Z27exclusive_scan_array_kernelILj255ELj15ELN6hipcub18BlockScanAlgorithmE1EfEvPT2_S2_,@function
_Z27exclusive_scan_array_kernelILj255ELj15ELN6hipcub18BlockScanAlgorithmE1EfEvPT2_S2_: ; @_Z27exclusive_scan_array_kernelILj255ELj15ELN6hipcub18BlockScanAlgorithmE1EfEvPT2_S2_
; %bb.0:
	s_load_dwordx2 s[0:1], s[4:5], 0x0
	s_mulk_i32 s6, 0xff
	v_add_u32_e32 v1, s6, v0
	v_mul_lo_u32 v30, v1, 15
	v_mov_b32_e32 v31, 0
	v_lshlrev_b64 v[2:3], 2, v[30:31]
	s_waitcnt lgkmcnt(0)
	v_mov_b32_e32 v39, s1
	v_add_co_u32_e32 v2, vcc, s0, v2
	v_add_u32_e32 v4, 1, v30
	v_mov_b32_e32 v5, v31
	v_addc_co_u32_e32 v3, vcc, v39, v3, vcc
	v_lshlrev_b64 v[4:5], 2, v[4:5]
	v_add_co_u32_e32 v4, vcc, s0, v4
	v_add_u32_e32 v6, 2, v30
	v_mov_b32_e32 v7, v31
	v_addc_co_u32_e32 v5, vcc, v39, v5, vcc
	v_lshlrev_b64 v[6:7], 2, v[6:7]
	;; [unrolled: 5-line block ×11, first 2 shown]
	global_load_dword v1, v[2:3], off
	global_load_dword v32, v[4:5], off
	;; [unrolled: 1-line block ×8, first 2 shown]
	v_add_co_u32_e32 v24, vcc, s0, v24
	v_add_u32_e32 v26, 12, v30
	v_mov_b32_e32 v27, v31
	v_addc_co_u32_e32 v25, vcc, v39, v25, vcc
	v_lshlrev_b64 v[26:27], 2, v[26:27]
	v_add_co_u32_e32 v26, vcc, s0, v26
	v_add_u32_e32 v28, 13, v30
	v_mov_b32_e32 v29, v31
	v_addc_co_u32_e32 v27, vcc, v39, v27, vcc
	v_lshlrev_b64 v[28:29], 2, v[28:29]
	v_add_co_u32_e32 v28, vcc, s0, v28
	v_add_u32_e32 v30, 14, v30
	v_addc_co_u32_e32 v29, vcc, v39, v29, vcc
	v_lshlrev_b64 v[30:31], 2, v[30:31]
	v_add_co_u32_e32 v30, vcc, s0, v30
	v_addc_co_u32_e32 v31, vcc, v39, v31, vcc
	global_load_dword v39, v[18:19], off
	global_load_dword v40, v[20:21], off
	;; [unrolled: 1-line block ×7, first 2 shown]
	v_cmp_gt_u32_e32 vcc, 64, v0
	s_waitcnt vmcnt(13)
	v_add_f32_e32 v46, v1, v32
	s_waitcnt vmcnt(12)
	v_add_f32_e32 v46, v33, v46
	;; [unrolled: 2-line block ×14, first 2 shown]
	v_lshrrev_b32_e32 v46, 5, v0
	v_add_lshl_u32 v46, v46, v0, 2
	ds_write_b32 v46, v45
	s_waitcnt lgkmcnt(0)
	s_barrier
	s_and_saveexec_b64 s[0:1], vcc
	s_cbranch_execz .LBB230_2
; %bb.1:
	v_lshlrev_b32_e32 v46, 2, v0
	v_lshrrev_b32_e32 v47, 3, v0
	v_add_lshl_u32 v50, v47, v46, 2
	ds_read2_b32 v[46:47], v50 offset1:1
	ds_read2_b32 v[48:49], v50 offset0:2 offset1:3
	v_mbcnt_lo_u32_b32 v51, -1, 0
	v_mbcnt_hi_u32_b32 v51, -1, v51
	v_and_b32_e32 v53, 15, v51
	s_waitcnt lgkmcnt(1)
	v_add_f32_e32 v52, v46, v47
	s_waitcnt lgkmcnt(0)
	v_add_f32_e32 v52, v52, v48
	v_add_f32_e32 v52, v52, v49
	v_cmp_eq_u32_e32 vcc, 0, v53
	s_nop 0
	v_mov_b32_dpp v54, v52 row_shr:1 row_mask:0xf bank_mask:0xf
	v_add_f32_e32 v54, v52, v54
	v_cndmask_b32_e32 v52, v54, v52, vcc
	v_cmp_lt_u32_e32 vcc, 1, v53
	s_nop 0
	v_mov_b32_dpp v54, v52 row_shr:2 row_mask:0xf bank_mask:0xf
	v_add_f32_e32 v54, v52, v54
	v_cndmask_b32_e32 v52, v52, v54, vcc
	v_cmp_lt_u32_e32 vcc, 3, v53
	;; [unrolled: 5-line block ×3, first 2 shown]
	s_nop 0
	v_mov_b32_dpp v54, v52 row_shr:8 row_mask:0xf bank_mask:0xf
	v_add_f32_e32 v54, v52, v54
	v_cndmask_b32_e32 v52, v52, v54, vcc
	v_and_b32_e32 v54, 16, v51
	v_cmp_eq_u32_e32 vcc, 0, v54
	v_mov_b32_dpp v53, v52 row_bcast:15 row_mask:0xf bank_mask:0xf
	v_add_f32_e32 v53, v52, v53
	v_cndmask_b32_e32 v52, v53, v52, vcc
	v_cmp_lt_u32_e32 vcc, 31, v51
	v_and_b32_e32 v54, 64, v51
	v_mov_b32_dpp v53, v52 row_bcast:31 row_mask:0xf bank_mask:0xf
	v_add_f32_e32 v53, v52, v53
	v_cndmask_b32_e32 v52, v52, v53, vcc
	v_add_u32_e32 v53, -1, v51
	v_cmp_lt_i32_e32 vcc, v53, v54
	v_cndmask_b32_e32 v51, v53, v51, vcc
	v_lshlrev_b32_e32 v51, 2, v51
	ds_bpermute_b32 v51, v51, v52
	v_cmp_eq_u32_e32 vcc, 0, v0
	s_waitcnt lgkmcnt(0)
	v_add_f32_e32 v46, v46, v51
	v_cndmask_b32_e32 v45, v46, v45, vcc
	v_add_f32_e32 v46, v47, v45
	ds_write2_b32 v50, v45, v46 offset1:1
	v_add_f32_e32 v45, v48, v46
	v_add_f32_e32 v46, v49, v45
	ds_write2_b32 v50, v45, v46 offset0:2 offset1:3
.LBB230_2:
	s_or_b64 exec, exec, s[0:1]
	s_load_dword s2, s[4:5], 0x8
	v_cmp_ne_u32_e32 vcc, 0, v0
	s_waitcnt lgkmcnt(0)
	s_barrier
	v_mov_b32_e32 v45, s2
	s_and_saveexec_b64 s[0:1], vcc
	s_cbranch_execz .LBB230_4
; %bb.3:
	v_add_u32_e32 v0, -1, v0
	v_lshrrev_b32_e32 v45, 5, v0
	v_add_lshl_u32 v0, v45, v0, 2
	ds_read_b32 v0, v0
	s_waitcnt lgkmcnt(0)
	v_add_f32_e32 v45, s2, v0
.LBB230_4:
	s_or_b64 exec, exec, s[0:1]
	v_add_f32_e32 v0, v1, v45
	v_add_f32_e32 v1, v32, v0
	;; [unrolled: 1-line block ×14, first 2 shown]
	global_store_dword v[2:3], v45, off
	global_store_dword v[4:5], v0, off
	;; [unrolled: 1-line block ×15, first 2 shown]
	s_endpgm
	.section	.rodata,"a",@progbits
	.p2align	6, 0x0
	.amdhsa_kernel _Z27exclusive_scan_array_kernelILj255ELj15ELN6hipcub18BlockScanAlgorithmE1EfEvPT2_S2_
		.amdhsa_group_segment_fixed_size 1056
		.amdhsa_private_segment_fixed_size 0
		.amdhsa_kernarg_size 12
		.amdhsa_user_sgpr_count 6
		.amdhsa_user_sgpr_private_segment_buffer 1
		.amdhsa_user_sgpr_dispatch_ptr 0
		.amdhsa_user_sgpr_queue_ptr 0
		.amdhsa_user_sgpr_kernarg_segment_ptr 1
		.amdhsa_user_sgpr_dispatch_id 0
		.amdhsa_user_sgpr_flat_scratch_init 0
		.amdhsa_user_sgpr_kernarg_preload_length 0
		.amdhsa_user_sgpr_kernarg_preload_offset 0
		.amdhsa_user_sgpr_private_segment_size 0
		.amdhsa_uses_dynamic_stack 0
		.amdhsa_system_sgpr_private_segment_wavefront_offset 0
		.amdhsa_system_sgpr_workgroup_id_x 1
		.amdhsa_system_sgpr_workgroup_id_y 0
		.amdhsa_system_sgpr_workgroup_id_z 0
		.amdhsa_system_sgpr_workgroup_info 0
		.amdhsa_system_vgpr_workitem_id 0
		.amdhsa_next_free_vgpr 55
		.amdhsa_next_free_sgpr 7
		.amdhsa_accum_offset 56
		.amdhsa_reserve_vcc 1
		.amdhsa_reserve_flat_scratch 0
		.amdhsa_float_round_mode_32 0
		.amdhsa_float_round_mode_16_64 0
		.amdhsa_float_denorm_mode_32 3
		.amdhsa_float_denorm_mode_16_64 3
		.amdhsa_dx10_clamp 1
		.amdhsa_ieee_mode 1
		.amdhsa_fp16_overflow 0
		.amdhsa_tg_split 0
		.amdhsa_exception_fp_ieee_invalid_op 0
		.amdhsa_exception_fp_denorm_src 0
		.amdhsa_exception_fp_ieee_div_zero 0
		.amdhsa_exception_fp_ieee_overflow 0
		.amdhsa_exception_fp_ieee_underflow 0
		.amdhsa_exception_fp_ieee_inexact 0
		.amdhsa_exception_int_div_zero 0
	.end_amdhsa_kernel
	.section	.text._Z27exclusive_scan_array_kernelILj255ELj15ELN6hipcub18BlockScanAlgorithmE1EfEvPT2_S2_,"axG",@progbits,_Z27exclusive_scan_array_kernelILj255ELj15ELN6hipcub18BlockScanAlgorithmE1EfEvPT2_S2_,comdat
.Lfunc_end230:
	.size	_Z27exclusive_scan_array_kernelILj255ELj15ELN6hipcub18BlockScanAlgorithmE1EfEvPT2_S2_, .Lfunc_end230-_Z27exclusive_scan_array_kernelILj255ELj15ELN6hipcub18BlockScanAlgorithmE1EfEvPT2_S2_
                                        ; -- End function
	.section	.AMDGPU.csdata,"",@progbits
; Kernel info:
; codeLenInByte = 1192
; NumSgprs: 11
; NumVgprs: 55
; NumAgprs: 0
; TotalNumVgprs: 55
; ScratchSize: 0
; MemoryBound: 0
; FloatMode: 240
; IeeeMode: 1
; LDSByteSize: 1056 bytes/workgroup (compile time only)
; SGPRBlocks: 1
; VGPRBlocks: 6
; NumSGPRsForWavesPerEU: 11
; NumVGPRsForWavesPerEU: 55
; AccumOffset: 56
; Occupancy: 8
; WaveLimiterHint : 0
; COMPUTE_PGM_RSRC2:SCRATCH_EN: 0
; COMPUTE_PGM_RSRC2:USER_SGPR: 6
; COMPUTE_PGM_RSRC2:TRAP_HANDLER: 0
; COMPUTE_PGM_RSRC2:TGID_X_EN: 1
; COMPUTE_PGM_RSRC2:TGID_Y_EN: 0
; COMPUTE_PGM_RSRC2:TGID_Z_EN: 0
; COMPUTE_PGM_RSRC2:TIDIG_COMP_CNT: 0
; COMPUTE_PGM_RSRC3_GFX90A:ACCUM_OFFSET: 13
; COMPUTE_PGM_RSRC3_GFX90A:TG_SPLIT: 0
	.section	.text._Z27exclusive_scan_array_kernelILj162ELj7ELN6hipcub18BlockScanAlgorithmE1EfEvPT2_S2_,"axG",@progbits,_Z27exclusive_scan_array_kernelILj162ELj7ELN6hipcub18BlockScanAlgorithmE1EfEvPT2_S2_,comdat
	.protected	_Z27exclusive_scan_array_kernelILj162ELj7ELN6hipcub18BlockScanAlgorithmE1EfEvPT2_S2_ ; -- Begin function _Z27exclusive_scan_array_kernelILj162ELj7ELN6hipcub18BlockScanAlgorithmE1EfEvPT2_S2_
	.globl	_Z27exclusive_scan_array_kernelILj162ELj7ELN6hipcub18BlockScanAlgorithmE1EfEvPT2_S2_
	.p2align	8
	.type	_Z27exclusive_scan_array_kernelILj162ELj7ELN6hipcub18BlockScanAlgorithmE1EfEvPT2_S2_,@function
_Z27exclusive_scan_array_kernelILj162ELj7ELN6hipcub18BlockScanAlgorithmE1EfEvPT2_S2_: ; @_Z27exclusive_scan_array_kernelILj162ELj7ELN6hipcub18BlockScanAlgorithmE1EfEvPT2_S2_
; %bb.0:
	s_load_dwordx2 s[0:1], s[4:5], 0x0
	s_mulk_i32 s6, 0xa2
	v_add_u32_e32 v1, s6, v0
	v_mul_lo_u32 v14, v1, 7
	v_mov_b32_e32 v15, 0
	v_lshlrev_b64 v[2:3], 2, v[14:15]
	s_waitcnt lgkmcnt(0)
	v_mov_b32_e32 v1, s1
	v_add_co_u32_e32 v2, vcc, s0, v2
	v_add_u32_e32 v4, 1, v14
	v_mov_b32_e32 v5, v15
	v_addc_co_u32_e32 v3, vcc, v1, v3, vcc
	v_lshlrev_b64 v[4:5], 2, v[4:5]
	v_add_co_u32_e32 v4, vcc, s0, v4
	v_add_u32_e32 v6, 2, v14
	v_mov_b32_e32 v7, v15
	v_addc_co_u32_e32 v5, vcc, v1, v5, vcc
	v_lshlrev_b64 v[6:7], 2, v[6:7]
	v_add_co_u32_e32 v6, vcc, s0, v6
	v_add_u32_e32 v8, 3, v14
	v_mov_b32_e32 v9, v15
	v_addc_co_u32_e32 v7, vcc, v1, v7, vcc
	v_lshlrev_b64 v[8:9], 2, v[8:9]
	v_add_co_u32_e32 v8, vcc, s0, v8
	v_add_u32_e32 v10, 4, v14
	v_mov_b32_e32 v11, v15
	v_addc_co_u32_e32 v9, vcc, v1, v9, vcc
	v_lshlrev_b64 v[10:11], 2, v[10:11]
	v_add_co_u32_e32 v10, vcc, s0, v10
	v_add_u32_e32 v12, 5, v14
	v_mov_b32_e32 v13, v15
	v_addc_co_u32_e32 v11, vcc, v1, v11, vcc
	v_lshlrev_b64 v[12:13], 2, v[12:13]
	v_add_co_u32_e32 v12, vcc, s0, v12
	v_add_u32_e32 v14, 6, v14
	v_addc_co_u32_e32 v13, vcc, v1, v13, vcc
	v_lshlrev_b64 v[14:15], 2, v[14:15]
	v_add_co_u32_e32 v14, vcc, s0, v14
	v_addc_co_u32_e32 v15, vcc, v1, v15, vcc
	global_load_dword v1, v[2:3], off
	global_load_dword v16, v[4:5], off
	;; [unrolled: 1-line block ×7, first 2 shown]
	v_lshlrev_b32_e32 v21, 2, v0
	v_cmp_gt_u32_e32 vcc, 64, v0
	s_waitcnt vmcnt(5)
	v_add_f32_e32 v23, v1, v16
	s_waitcnt vmcnt(4)
	v_add_f32_e32 v23, v17, v23
	;; [unrolled: 2-line block ×6, first 2 shown]
	ds_write_b32 v21, v22
	s_waitcnt lgkmcnt(0)
	s_barrier
	s_and_saveexec_b64 s[0:1], vcc
	s_cbranch_execz .LBB231_2
; %bb.1:
	v_mul_u32_u24_e32 v23, 3, v0
	v_lshlrev_b32_e32 v23, 2, v23
	ds_read2_b32 v[24:25], v23 offset1:1
	ds_read_b32 v26, v23 offset:8
	v_mbcnt_lo_u32_b32 v27, -1, 0
	v_mbcnt_hi_u32_b32 v27, -1, v27
	v_and_b32_e32 v28, 15, v27
	s_waitcnt lgkmcnt(1)
	v_add_f32_e32 v29, v24, v25
	s_waitcnt lgkmcnt(0)
	v_add_f32_e32 v29, v29, v26
	v_cmp_eq_u32_e32 vcc, 0, v28
	s_nop 0
	v_mov_b32_dpp v30, v29 row_shr:1 row_mask:0xf bank_mask:0xf
	v_add_f32_e32 v30, v29, v30
	v_cndmask_b32_e32 v29, v30, v29, vcc
	v_cmp_lt_u32_e32 vcc, 1, v28
	s_nop 0
	v_mov_b32_dpp v30, v29 row_shr:2 row_mask:0xf bank_mask:0xf
	v_add_f32_e32 v30, v29, v30
	v_cndmask_b32_e32 v29, v29, v30, vcc
	v_cmp_lt_u32_e32 vcc, 3, v28
	;; [unrolled: 5-line block ×3, first 2 shown]
	s_nop 0
	v_mov_b32_dpp v30, v29 row_shr:8 row_mask:0xf bank_mask:0xf
	v_add_f32_e32 v30, v29, v30
	v_cndmask_b32_e32 v28, v29, v30, vcc
	v_and_b32_e32 v30, 16, v27
	v_cmp_eq_u32_e32 vcc, 0, v30
	v_mov_b32_dpp v29, v28 row_bcast:15 row_mask:0xf bank_mask:0xf
	v_add_f32_e32 v29, v28, v29
	v_cndmask_b32_e32 v28, v29, v28, vcc
	v_cmp_lt_u32_e32 vcc, 31, v27
	v_and_b32_e32 v30, 64, v27
	v_mov_b32_dpp v29, v28 row_bcast:31 row_mask:0xf bank_mask:0xf
	v_add_f32_e32 v29, v28, v29
	v_cndmask_b32_e32 v28, v28, v29, vcc
	v_add_u32_e32 v29, -1, v27
	v_cmp_lt_i32_e32 vcc, v29, v30
	v_cndmask_b32_e32 v27, v29, v27, vcc
	v_lshlrev_b32_e32 v27, 2, v27
	ds_bpermute_b32 v27, v27, v28
	v_cmp_eq_u32_e32 vcc, 0, v0
	s_waitcnt lgkmcnt(0)
	v_add_f32_e32 v24, v24, v27
	v_cndmask_b32_e32 v22, v24, v22, vcc
	v_add_f32_e32 v24, v25, v22
	ds_write2_b32 v23, v22, v24 offset1:1
	v_add_f32_e32 v22, v26, v24
	ds_write_b32 v23, v22 offset:8
.LBB231_2:
	s_or_b64 exec, exec, s[0:1]
	s_load_dword s2, s[4:5], 0x8
	v_cmp_ne_u32_e32 vcc, 0, v0
	s_waitcnt lgkmcnt(0)
	s_barrier
	v_mov_b32_e32 v0, s2
	s_and_saveexec_b64 s[0:1], vcc
	s_cbranch_execz .LBB231_4
; %bb.3:
	v_add_u32_e32 v0, -4, v21
	ds_read_b32 v0, v0
	s_waitcnt lgkmcnt(0)
	v_add_f32_e32 v0, s2, v0
.LBB231_4:
	s_or_b64 exec, exec, s[0:1]
	v_add_f32_e32 v1, v1, v0
	v_add_f32_e32 v16, v16, v1
	v_add_f32_e32 v17, v17, v16
	v_add_f32_e32 v18, v18, v17
	v_add_f32_e32 v19, v19, v18
	v_add_f32_e32 v20, v20, v19
	global_store_dword v[2:3], v0, off
	global_store_dword v[4:5], v1, off
	;; [unrolled: 1-line block ×7, first 2 shown]
	s_endpgm
	.section	.rodata,"a",@progbits
	.p2align	6, 0x0
	.amdhsa_kernel _Z27exclusive_scan_array_kernelILj162ELj7ELN6hipcub18BlockScanAlgorithmE1EfEvPT2_S2_
		.amdhsa_group_segment_fixed_size 768
		.amdhsa_private_segment_fixed_size 0
		.amdhsa_kernarg_size 12
		.amdhsa_user_sgpr_count 6
		.amdhsa_user_sgpr_private_segment_buffer 1
		.amdhsa_user_sgpr_dispatch_ptr 0
		.amdhsa_user_sgpr_queue_ptr 0
		.amdhsa_user_sgpr_kernarg_segment_ptr 1
		.amdhsa_user_sgpr_dispatch_id 0
		.amdhsa_user_sgpr_flat_scratch_init 0
		.amdhsa_user_sgpr_kernarg_preload_length 0
		.amdhsa_user_sgpr_kernarg_preload_offset 0
		.amdhsa_user_sgpr_private_segment_size 0
		.amdhsa_uses_dynamic_stack 0
		.amdhsa_system_sgpr_private_segment_wavefront_offset 0
		.amdhsa_system_sgpr_workgroup_id_x 1
		.amdhsa_system_sgpr_workgroup_id_y 0
		.amdhsa_system_sgpr_workgroup_id_z 0
		.amdhsa_system_sgpr_workgroup_info 0
		.amdhsa_system_vgpr_workitem_id 0
		.amdhsa_next_free_vgpr 31
		.amdhsa_next_free_sgpr 7
		.amdhsa_accum_offset 32
		.amdhsa_reserve_vcc 1
		.amdhsa_reserve_flat_scratch 0
		.amdhsa_float_round_mode_32 0
		.amdhsa_float_round_mode_16_64 0
		.amdhsa_float_denorm_mode_32 3
		.amdhsa_float_denorm_mode_16_64 3
		.amdhsa_dx10_clamp 1
		.amdhsa_ieee_mode 1
		.amdhsa_fp16_overflow 0
		.amdhsa_tg_split 0
		.amdhsa_exception_fp_ieee_invalid_op 0
		.amdhsa_exception_fp_denorm_src 0
		.amdhsa_exception_fp_ieee_div_zero 0
		.amdhsa_exception_fp_ieee_overflow 0
		.amdhsa_exception_fp_ieee_underflow 0
		.amdhsa_exception_fp_ieee_inexact 0
		.amdhsa_exception_int_div_zero 0
	.end_amdhsa_kernel
	.section	.text._Z27exclusive_scan_array_kernelILj162ELj7ELN6hipcub18BlockScanAlgorithmE1EfEvPT2_S2_,"axG",@progbits,_Z27exclusive_scan_array_kernelILj162ELj7ELN6hipcub18BlockScanAlgorithmE1EfEvPT2_S2_,comdat
.Lfunc_end231:
	.size	_Z27exclusive_scan_array_kernelILj162ELj7ELN6hipcub18BlockScanAlgorithmE1EfEvPT2_S2_, .Lfunc_end231-_Z27exclusive_scan_array_kernelILj162ELj7ELN6hipcub18BlockScanAlgorithmE1EfEvPT2_S2_
                                        ; -- End function
	.section	.AMDGPU.csdata,"",@progbits
; Kernel info:
; codeLenInByte = 740
; NumSgprs: 11
; NumVgprs: 31
; NumAgprs: 0
; TotalNumVgprs: 31
; ScratchSize: 0
; MemoryBound: 0
; FloatMode: 240
; IeeeMode: 1
; LDSByteSize: 768 bytes/workgroup (compile time only)
; SGPRBlocks: 1
; VGPRBlocks: 3
; NumSGPRsForWavesPerEU: 11
; NumVGPRsForWavesPerEU: 31
; AccumOffset: 32
; Occupancy: 8
; WaveLimiterHint : 0
; COMPUTE_PGM_RSRC2:SCRATCH_EN: 0
; COMPUTE_PGM_RSRC2:USER_SGPR: 6
; COMPUTE_PGM_RSRC2:TRAP_HANDLER: 0
; COMPUTE_PGM_RSRC2:TGID_X_EN: 1
; COMPUTE_PGM_RSRC2:TGID_Y_EN: 0
; COMPUTE_PGM_RSRC2:TGID_Z_EN: 0
; COMPUTE_PGM_RSRC2:TIDIG_COMP_CNT: 0
; COMPUTE_PGM_RSRC3_GFX90A:ACCUM_OFFSET: 7
; COMPUTE_PGM_RSRC3_GFX90A:TG_SPLIT: 0
	.section	.text._Z27exclusive_scan_array_kernelILj65ELj5ELN6hipcub18BlockScanAlgorithmE1EfEvPT2_S2_,"axG",@progbits,_Z27exclusive_scan_array_kernelILj65ELj5ELN6hipcub18BlockScanAlgorithmE1EfEvPT2_S2_,comdat
	.protected	_Z27exclusive_scan_array_kernelILj65ELj5ELN6hipcub18BlockScanAlgorithmE1EfEvPT2_S2_ ; -- Begin function _Z27exclusive_scan_array_kernelILj65ELj5ELN6hipcub18BlockScanAlgorithmE1EfEvPT2_S2_
	.globl	_Z27exclusive_scan_array_kernelILj65ELj5ELN6hipcub18BlockScanAlgorithmE1EfEvPT2_S2_
	.p2align	8
	.type	_Z27exclusive_scan_array_kernelILj65ELj5ELN6hipcub18BlockScanAlgorithmE1EfEvPT2_S2_,@function
_Z27exclusive_scan_array_kernelILj65ELj5ELN6hipcub18BlockScanAlgorithmE1EfEvPT2_S2_: ; @_Z27exclusive_scan_array_kernelILj65ELj5ELN6hipcub18BlockScanAlgorithmE1EfEvPT2_S2_
; %bb.0:
	s_load_dwordx2 s[0:1], s[4:5], 0x0
	s_mulk_i32 s6, 0x41
	v_add_u32_e32 v1, s6, v0
	v_lshl_add_u32 v10, v1, 2, v1
	v_mov_b32_e32 v11, 0
	v_lshlrev_b64 v[2:3], 2, v[10:11]
	s_waitcnt lgkmcnt(0)
	v_mov_b32_e32 v1, s1
	v_add_co_u32_e32 v2, vcc, s0, v2
	v_add_u32_e32 v4, 1, v10
	v_mov_b32_e32 v5, v11
	v_addc_co_u32_e32 v3, vcc, v1, v3, vcc
	v_lshlrev_b64 v[4:5], 2, v[4:5]
	v_add_co_u32_e32 v4, vcc, s0, v4
	v_add_u32_e32 v6, 2, v10
	v_mov_b32_e32 v7, v11
	v_addc_co_u32_e32 v5, vcc, v1, v5, vcc
	v_lshlrev_b64 v[6:7], 2, v[6:7]
	;; [unrolled: 5-line block ×3, first 2 shown]
	v_add_co_u32_e32 v8, vcc, s0, v8
	v_add_u32_e32 v10, 4, v10
	v_addc_co_u32_e32 v9, vcc, v1, v9, vcc
	v_lshlrev_b64 v[10:11], 2, v[10:11]
	v_add_co_u32_e32 v10, vcc, s0, v10
	v_addc_co_u32_e32 v11, vcc, v1, v11, vcc
	global_load_dword v1, v[2:3], off
	global_load_dword v12, v[4:5], off
	;; [unrolled: 1-line block ×5, first 2 shown]
	v_lshrrev_b32_e32 v16, 5, v0
	v_add_lshl_u32 v16, v16, v0, 2
	v_cmp_gt_u32_e32 vcc, 64, v0
	s_waitcnt vmcnt(3)
	v_add_f32_e32 v17, v1, v12
	s_waitcnt vmcnt(2)
	v_add_f32_e32 v17, v13, v17
	;; [unrolled: 2-line block ×4, first 2 shown]
	ds_write_b32 v16, v15
	s_waitcnt lgkmcnt(0)
	s_barrier
	s_and_saveexec_b64 s[0:1], vcc
	s_cbranch_execz .LBB232_2
; %bb.1:
	v_lshlrev_b32_e32 v16, 1, v0
	v_lshrrev_b32_e32 v17, 4, v0
	v_add_lshl_u32 v18, v17, v16, 2
	ds_read2_b32 v[16:17], v18 offset1:1
	v_mbcnt_lo_u32_b32 v19, -1, 0
	v_mbcnt_hi_u32_b32 v19, -1, v19
	v_and_b32_e32 v20, 15, v19
	v_cmp_eq_u32_e32 vcc, 0, v20
	s_waitcnt lgkmcnt(0)
	v_add_f32_e32 v21, v16, v17
	s_nop 1
	v_mov_b32_dpp v22, v21 row_shr:1 row_mask:0xf bank_mask:0xf
	v_add_f32_e32 v22, v21, v22
	v_cndmask_b32_e32 v21, v22, v21, vcc
	v_cmp_lt_u32_e32 vcc, 1, v20
	s_nop 0
	v_mov_b32_dpp v22, v21 row_shr:2 row_mask:0xf bank_mask:0xf
	v_add_f32_e32 v22, v21, v22
	v_cndmask_b32_e32 v21, v21, v22, vcc
	v_cmp_lt_u32_e32 vcc, 3, v20
	;; [unrolled: 5-line block ×3, first 2 shown]
	s_nop 0
	v_mov_b32_dpp v22, v21 row_shr:8 row_mask:0xf bank_mask:0xf
	v_add_f32_e32 v22, v21, v22
	v_cndmask_b32_e32 v20, v21, v22, vcc
	v_and_b32_e32 v22, 16, v19
	v_cmp_eq_u32_e32 vcc, 0, v22
	v_mov_b32_dpp v21, v20 row_bcast:15 row_mask:0xf bank_mask:0xf
	v_add_f32_e32 v21, v20, v21
	v_cndmask_b32_e32 v20, v21, v20, vcc
	v_cmp_lt_u32_e32 vcc, 31, v19
	v_and_b32_e32 v22, 64, v19
	v_mov_b32_dpp v21, v20 row_bcast:31 row_mask:0xf bank_mask:0xf
	v_add_f32_e32 v21, v20, v21
	v_cndmask_b32_e32 v20, v20, v21, vcc
	v_add_u32_e32 v21, -1, v19
	v_cmp_lt_i32_e32 vcc, v21, v22
	v_cndmask_b32_e32 v19, v21, v19, vcc
	v_lshlrev_b32_e32 v19, 2, v19
	ds_bpermute_b32 v19, v19, v20
	v_cmp_eq_u32_e32 vcc, 0, v0
	s_waitcnt lgkmcnt(0)
	v_add_f32_e32 v16, v16, v19
	v_cndmask_b32_e32 v15, v16, v15, vcc
	v_add_f32_e32 v16, v17, v15
	ds_write2_b32 v18, v15, v16 offset1:1
.LBB232_2:
	s_or_b64 exec, exec, s[0:1]
	s_load_dword s2, s[4:5], 0x8
	v_cmp_ne_u32_e32 vcc, 0, v0
	s_waitcnt lgkmcnt(0)
	s_barrier
	v_mov_b32_e32 v15, s2
	s_and_saveexec_b64 s[0:1], vcc
	s_cbranch_execz .LBB232_4
; %bb.3:
	v_add_u32_e32 v0, -1, v0
	v_lshrrev_b32_e32 v15, 5, v0
	v_add_lshl_u32 v0, v15, v0, 2
	ds_read_b32 v0, v0
	s_waitcnt lgkmcnt(0)
	v_add_f32_e32 v15, s2, v0
.LBB232_4:
	s_or_b64 exec, exec, s[0:1]
	v_add_f32_e32 v0, v1, v15
	v_add_f32_e32 v1, v12, v0
	;; [unrolled: 1-line block ×4, first 2 shown]
	global_store_dword v[2:3], v15, off
	global_store_dword v[4:5], v0, off
	;; [unrolled: 1-line block ×5, first 2 shown]
	s_endpgm
	.section	.rodata,"a",@progbits
	.p2align	6, 0x0
	.amdhsa_kernel _Z27exclusive_scan_array_kernelILj65ELj5ELN6hipcub18BlockScanAlgorithmE1EfEvPT2_S2_
		.amdhsa_group_segment_fixed_size 528
		.amdhsa_private_segment_fixed_size 0
		.amdhsa_kernarg_size 12
		.amdhsa_user_sgpr_count 6
		.amdhsa_user_sgpr_private_segment_buffer 1
		.amdhsa_user_sgpr_dispatch_ptr 0
		.amdhsa_user_sgpr_queue_ptr 0
		.amdhsa_user_sgpr_kernarg_segment_ptr 1
		.amdhsa_user_sgpr_dispatch_id 0
		.amdhsa_user_sgpr_flat_scratch_init 0
		.amdhsa_user_sgpr_kernarg_preload_length 0
		.amdhsa_user_sgpr_kernarg_preload_offset 0
		.amdhsa_user_sgpr_private_segment_size 0
		.amdhsa_uses_dynamic_stack 0
		.amdhsa_system_sgpr_private_segment_wavefront_offset 0
		.amdhsa_system_sgpr_workgroup_id_x 1
		.amdhsa_system_sgpr_workgroup_id_y 0
		.amdhsa_system_sgpr_workgroup_id_z 0
		.amdhsa_system_sgpr_workgroup_info 0
		.amdhsa_system_vgpr_workitem_id 0
		.amdhsa_next_free_vgpr 23
		.amdhsa_next_free_sgpr 7
		.amdhsa_accum_offset 24
		.amdhsa_reserve_vcc 1
		.amdhsa_reserve_flat_scratch 0
		.amdhsa_float_round_mode_32 0
		.amdhsa_float_round_mode_16_64 0
		.amdhsa_float_denorm_mode_32 3
		.amdhsa_float_denorm_mode_16_64 3
		.amdhsa_dx10_clamp 1
		.amdhsa_ieee_mode 1
		.amdhsa_fp16_overflow 0
		.amdhsa_tg_split 0
		.amdhsa_exception_fp_ieee_invalid_op 0
		.amdhsa_exception_fp_denorm_src 0
		.amdhsa_exception_fp_ieee_div_zero 0
		.amdhsa_exception_fp_ieee_overflow 0
		.amdhsa_exception_fp_ieee_underflow 0
		.amdhsa_exception_fp_ieee_inexact 0
		.amdhsa_exception_int_div_zero 0
	.end_amdhsa_kernel
	.section	.text._Z27exclusive_scan_array_kernelILj65ELj5ELN6hipcub18BlockScanAlgorithmE1EfEvPT2_S2_,"axG",@progbits,_Z27exclusive_scan_array_kernelILj65ELj5ELN6hipcub18BlockScanAlgorithmE1EfEvPT2_S2_,comdat
.Lfunc_end232:
	.size	_Z27exclusive_scan_array_kernelILj65ELj5ELN6hipcub18BlockScanAlgorithmE1EfEvPT2_S2_, .Lfunc_end232-_Z27exclusive_scan_array_kernelILj65ELj5ELN6hipcub18BlockScanAlgorithmE1EfEvPT2_S2_
                                        ; -- End function
	.section	.AMDGPU.csdata,"",@progbits
; Kernel info:
; codeLenInByte = 636
; NumSgprs: 11
; NumVgprs: 23
; NumAgprs: 0
; TotalNumVgprs: 23
; ScratchSize: 0
; MemoryBound: 0
; FloatMode: 240
; IeeeMode: 1
; LDSByteSize: 528 bytes/workgroup (compile time only)
; SGPRBlocks: 1
; VGPRBlocks: 2
; NumSGPRsForWavesPerEU: 11
; NumVGPRsForWavesPerEU: 23
; AccumOffset: 24
; Occupancy: 8
; WaveLimiterHint : 0
; COMPUTE_PGM_RSRC2:SCRATCH_EN: 0
; COMPUTE_PGM_RSRC2:USER_SGPR: 6
; COMPUTE_PGM_RSRC2:TRAP_HANDLER: 0
; COMPUTE_PGM_RSRC2:TGID_X_EN: 1
; COMPUTE_PGM_RSRC2:TGID_Y_EN: 0
; COMPUTE_PGM_RSRC2:TGID_Z_EN: 0
; COMPUTE_PGM_RSRC2:TIDIG_COMP_CNT: 0
; COMPUTE_PGM_RSRC3_GFX90A:ACCUM_OFFSET: 5
; COMPUTE_PGM_RSRC3_GFX90A:TG_SPLIT: 0
	.section	.text._Z27exclusive_scan_array_kernelILj37ELj2ELN6hipcub18BlockScanAlgorithmE1EfEvPT2_S2_,"axG",@progbits,_Z27exclusive_scan_array_kernelILj37ELj2ELN6hipcub18BlockScanAlgorithmE1EfEvPT2_S2_,comdat
	.protected	_Z27exclusive_scan_array_kernelILj37ELj2ELN6hipcub18BlockScanAlgorithmE1EfEvPT2_S2_ ; -- Begin function _Z27exclusive_scan_array_kernelILj37ELj2ELN6hipcub18BlockScanAlgorithmE1EfEvPT2_S2_
	.globl	_Z27exclusive_scan_array_kernelILj37ELj2ELN6hipcub18BlockScanAlgorithmE1EfEvPT2_S2_
	.p2align	8
	.type	_Z27exclusive_scan_array_kernelILj37ELj2ELN6hipcub18BlockScanAlgorithmE1EfEvPT2_S2_,@function
_Z27exclusive_scan_array_kernelILj37ELj2ELN6hipcub18BlockScanAlgorithmE1EfEvPT2_S2_: ; @_Z27exclusive_scan_array_kernelILj37ELj2ELN6hipcub18BlockScanAlgorithmE1EfEvPT2_S2_
; %bb.0:
	s_load_dwordx2 s[0:1], s[4:5], 0x0
	s_mul_i32 s6, s6, 37
	v_add_lshl_u32 v6, s6, v0, 1
	v_mov_b32_e32 v7, 0
	v_lshlrev_b64 v[2:3], 2, v[6:7]
	s_waitcnt lgkmcnt(0)
	v_mov_b32_e32 v1, s1
	v_add_co_u32_e32 v2, vcc, s0, v2
	v_addc_co_u32_e32 v3, vcc, v1, v3, vcc
	global_load_dwordx2 v[4:5], v[2:3], off
	v_mbcnt_lo_u32_b32 v1, -1, 0
	v_mbcnt_hi_u32_b32 v1, -1, v1
	v_and_b32_e32 v6, 15, v1
	v_cmp_eq_u32_e32 vcc, 0, v6
	v_and_b32_e32 v8, 16, v1
	s_waitcnt vmcnt(0)
	v_add_f32_e32 v5, v4, v5
	s_nop 1
	v_mov_b32_dpp v9, v5 row_shr:1 row_mask:0xf bank_mask:0xf
	v_add_f32_e32 v9, v5, v9
	v_cndmask_b32_e32 v5, v9, v5, vcc
	v_cmp_lt_u32_e32 vcc, 1, v6
	s_nop 0
	v_mov_b32_dpp v9, v5 row_shr:2 row_mask:0xf bank_mask:0xf
	v_add_f32_e32 v9, v5, v9
	v_cndmask_b32_e32 v5, v5, v9, vcc
	v_cmp_lt_u32_e32 vcc, 3, v6
	;; [unrolled: 5-line block ×3, first 2 shown]
	s_nop 0
	v_mov_b32_dpp v9, v5 row_shr:8 row_mask:0xf bank_mask:0xf
	v_add_f32_e32 v9, v5, v9
	v_cndmask_b32_e32 v5, v5, v9, vcc
	v_cmp_eq_u32_e32 vcc, 0, v8
	s_nop 0
	v_mov_b32_dpp v6, v5 row_bcast:15 row_mask:0xf bank_mask:0xf
	v_add_f32_e32 v6, v5, v6
	v_cndmask_b32_e32 v5, v6, v5, vcc
	v_cmp_lt_u32_e32 vcc, 31, v1
	s_nop 0
	v_mov_b32_dpp v6, v5 row_bcast:31 row_mask:0xf bank_mask:0xf
	v_add_f32_e32 v6, v5, v6
	v_cndmask_b32_e32 v5, v5, v6, vcc
	v_cmp_eq_u32_e32 vcc, 36, v0
	s_and_saveexec_b64 s[0:1], vcc
	s_cbranch_execz .LBB233_2
; %bb.1:
	ds_write_b32 v7, v5
.LBB233_2:
	s_or_b64 exec, exec, s[0:1]
	s_load_dword s2, s[4:5], 0x8
	v_add_u32_e32 v6, -1, v1
	v_and_b32_e32 v7, 64, v1
	v_cmp_lt_i32_e32 vcc, v6, v7
	v_cndmask_b32_e32 v6, v6, v1, vcc
	s_waitcnt lgkmcnt(0)
	v_add_f32_e32 v5, s2, v5
	v_lshlrev_b32_e32 v6, 2, v6
	ds_bpermute_b32 v5, v6, v5
	v_cmp_eq_u32_e32 vcc, 0, v1
	v_cmp_eq_u32_e64 s[0:1], 0, v0
	v_mov_b32_e32 v0, s2
	s_or_b64 vcc, s[0:1], vcc
	s_waitcnt lgkmcnt(0)
	v_cndmask_b32_e32 v0, v5, v0, vcc
	v_add_f32_e32 v1, v4, v0
	s_waitcnt lgkmcnt(0)
	; wave barrier
	global_store_dwordx2 v[2:3], v[0:1], off
	s_endpgm
	.section	.rodata,"a",@progbits
	.p2align	6, 0x0
	.amdhsa_kernel _Z27exclusive_scan_array_kernelILj37ELj2ELN6hipcub18BlockScanAlgorithmE1EfEvPT2_S2_
		.amdhsa_group_segment_fixed_size 4
		.amdhsa_private_segment_fixed_size 0
		.amdhsa_kernarg_size 12
		.amdhsa_user_sgpr_count 6
		.amdhsa_user_sgpr_private_segment_buffer 1
		.amdhsa_user_sgpr_dispatch_ptr 0
		.amdhsa_user_sgpr_queue_ptr 0
		.amdhsa_user_sgpr_kernarg_segment_ptr 1
		.amdhsa_user_sgpr_dispatch_id 0
		.amdhsa_user_sgpr_flat_scratch_init 0
		.amdhsa_user_sgpr_kernarg_preload_length 0
		.amdhsa_user_sgpr_kernarg_preload_offset 0
		.amdhsa_user_sgpr_private_segment_size 0
		.amdhsa_uses_dynamic_stack 0
		.amdhsa_system_sgpr_private_segment_wavefront_offset 0
		.amdhsa_system_sgpr_workgroup_id_x 1
		.amdhsa_system_sgpr_workgroup_id_y 0
		.amdhsa_system_sgpr_workgroup_id_z 0
		.amdhsa_system_sgpr_workgroup_info 0
		.amdhsa_system_vgpr_workitem_id 0
		.amdhsa_next_free_vgpr 10
		.amdhsa_next_free_sgpr 7
		.amdhsa_accum_offset 12
		.amdhsa_reserve_vcc 1
		.amdhsa_reserve_flat_scratch 0
		.amdhsa_float_round_mode_32 0
		.amdhsa_float_round_mode_16_64 0
		.amdhsa_float_denorm_mode_32 3
		.amdhsa_float_denorm_mode_16_64 3
		.amdhsa_dx10_clamp 1
		.amdhsa_ieee_mode 1
		.amdhsa_fp16_overflow 0
		.amdhsa_tg_split 0
		.amdhsa_exception_fp_ieee_invalid_op 0
		.amdhsa_exception_fp_denorm_src 0
		.amdhsa_exception_fp_ieee_div_zero 0
		.amdhsa_exception_fp_ieee_overflow 0
		.amdhsa_exception_fp_ieee_underflow 0
		.amdhsa_exception_fp_ieee_inexact 0
		.amdhsa_exception_int_div_zero 0
	.end_amdhsa_kernel
	.section	.text._Z27exclusive_scan_array_kernelILj37ELj2ELN6hipcub18BlockScanAlgorithmE1EfEvPT2_S2_,"axG",@progbits,_Z27exclusive_scan_array_kernelILj37ELj2ELN6hipcub18BlockScanAlgorithmE1EfEvPT2_S2_,comdat
.Lfunc_end233:
	.size	_Z27exclusive_scan_array_kernelILj37ELj2ELN6hipcub18BlockScanAlgorithmE1EfEvPT2_S2_, .Lfunc_end233-_Z27exclusive_scan_array_kernelILj37ELj2ELN6hipcub18BlockScanAlgorithmE1EfEvPT2_S2_
                                        ; -- End function
	.section	.AMDGPU.csdata,"",@progbits
; Kernel info:
; codeLenInByte = 348
; NumSgprs: 11
; NumVgprs: 10
; NumAgprs: 0
; TotalNumVgprs: 10
; ScratchSize: 0
; MemoryBound: 0
; FloatMode: 240
; IeeeMode: 1
; LDSByteSize: 4 bytes/workgroup (compile time only)
; SGPRBlocks: 1
; VGPRBlocks: 1
; NumSGPRsForWavesPerEU: 11
; NumVGPRsForWavesPerEU: 10
; AccumOffset: 12
; Occupancy: 8
; WaveLimiterHint : 0
; COMPUTE_PGM_RSRC2:SCRATCH_EN: 0
; COMPUTE_PGM_RSRC2:USER_SGPR: 6
; COMPUTE_PGM_RSRC2:TRAP_HANDLER: 0
; COMPUTE_PGM_RSRC2:TGID_X_EN: 1
; COMPUTE_PGM_RSRC2:TGID_Y_EN: 0
; COMPUTE_PGM_RSRC2:TGID_Z_EN: 0
; COMPUTE_PGM_RSRC2:TIDIG_COMP_CNT: 0
; COMPUTE_PGM_RSRC3_GFX90A:ACCUM_OFFSET: 2
; COMPUTE_PGM_RSRC3_GFX90A:TG_SPLIT: 0
	.section	.text._Z27exclusive_scan_array_kernelILj512ELj4ELN6hipcub18BlockScanAlgorithmE1EjEvPT2_S2_,"axG",@progbits,_Z27exclusive_scan_array_kernelILj512ELj4ELN6hipcub18BlockScanAlgorithmE1EjEvPT2_S2_,comdat
	.protected	_Z27exclusive_scan_array_kernelILj512ELj4ELN6hipcub18BlockScanAlgorithmE1EjEvPT2_S2_ ; -- Begin function _Z27exclusive_scan_array_kernelILj512ELj4ELN6hipcub18BlockScanAlgorithmE1EjEvPT2_S2_
	.globl	_Z27exclusive_scan_array_kernelILj512ELj4ELN6hipcub18BlockScanAlgorithmE1EjEvPT2_S2_
	.p2align	8
	.type	_Z27exclusive_scan_array_kernelILj512ELj4ELN6hipcub18BlockScanAlgorithmE1EjEvPT2_S2_,@function
_Z27exclusive_scan_array_kernelILj512ELj4ELN6hipcub18BlockScanAlgorithmE1EjEvPT2_S2_: ; @_Z27exclusive_scan_array_kernelILj512ELj4ELN6hipcub18BlockScanAlgorithmE1EjEvPT2_S2_
; %bb.0:
	s_load_dwordx2 s[0:1], s[4:5], 0x0
	v_lshlrev_b32_e32 v1, 2, v0
	v_lshl_or_b32 v2, s6, 11, v1
	v_mov_b32_e32 v3, 0
	v_lshlrev_b64 v[2:3], 2, v[2:3]
	s_waitcnt lgkmcnt(0)
	v_mov_b32_e32 v1, s1
	v_add_co_u32_e32 v10, vcc, s0, v2
	v_addc_co_u32_e32 v11, vcc, v1, v3, vcc
	global_load_dwordx4 v[2:5], v[10:11], off
	v_lshrrev_b32_e32 v1, 5, v0
	v_add_lshl_u32 v6, v1, v0, 2
	v_cmp_gt_u32_e32 vcc, 64, v0
	s_waitcnt vmcnt(0)
	v_add_u32_e32 v1, v3, v2
	v_add3_u32 v1, v1, v4, v5
	ds_write_b32 v6, v1
	s_waitcnt lgkmcnt(0)
	s_barrier
	s_and_saveexec_b64 s[0:1], vcc
	s_cbranch_execz .LBB234_2
; %bb.1:
	v_lshlrev_b32_e32 v5, 3, v0
	v_lshrrev_b32_e32 v6, 2, v0
	v_add_lshl_u32 v5, v6, v5, 2
	ds_read2_b32 v[6:7], v5 offset1:1
	ds_read2_b32 v[8:9], v5 offset0:2 offset1:3
	ds_read2_b32 v[12:13], v5 offset0:4 offset1:5
	;; [unrolled: 1-line block ×3, first 2 shown]
	v_mbcnt_lo_u32_b32 v17, -1, 0
	s_waitcnt lgkmcnt(3)
	v_add_u32_e32 v16, v7, v6
	s_waitcnt lgkmcnt(2)
	v_add3_u32 v16, v16, v8, v9
	s_waitcnt lgkmcnt(1)
	v_add3_u32 v16, v16, v12, v13
	v_mbcnt_hi_u32_b32 v17, -1, v17
	s_waitcnt lgkmcnt(0)
	v_add3_u32 v16, v16, v14, v15
	v_and_b32_e32 v18, 15, v17
	v_cmp_ne_u32_e32 vcc, 0, v18
	v_mov_b32_dpp v19, v16 row_shr:1 row_mask:0xf bank_mask:0xf
	v_cndmask_b32_e32 v19, 0, v19, vcc
	v_add_u32_e32 v16, v19, v16
	v_cmp_lt_u32_e32 vcc, 1, v18
	s_nop 0
	v_mov_b32_dpp v19, v16 row_shr:2 row_mask:0xf bank_mask:0xf
	v_cndmask_b32_e32 v19, 0, v19, vcc
	v_add_u32_e32 v16, v16, v19
	v_cmp_lt_u32_e32 vcc, 3, v18
	s_nop 0
	v_mov_b32_dpp v19, v16 row_shr:4 row_mask:0xf bank_mask:0xf
	v_cndmask_b32_e32 v19, 0, v19, vcc
	v_add_u32_e32 v16, v16, v19
	v_cmp_lt_u32_e32 vcc, 7, v18
	s_nop 0
	v_mov_b32_dpp v19, v16 row_shr:8 row_mask:0xf bank_mask:0xf
	v_cndmask_b32_e32 v18, 0, v19, vcc
	v_add_u32_e32 v16, v16, v18
	v_bfe_i32 v19, v17, 4, 1
	v_cmp_lt_u32_e32 vcc, 31, v17
	v_mov_b32_dpp v18, v16 row_bcast:15 row_mask:0xf bank_mask:0xf
	v_and_b32_e32 v18, v19, v18
	v_add_u32_e32 v16, v16, v18
	v_and_b32_e32 v19, 64, v17
	s_nop 0
	v_mov_b32_dpp v18, v16 row_bcast:31 row_mask:0xf bank_mask:0xf
	v_cndmask_b32_e32 v18, 0, v18, vcc
	v_add_u32_e32 v16, v16, v18
	v_add_u32_e32 v18, -1, v17
	v_cmp_lt_i32_e32 vcc, v18, v19
	v_cndmask_b32_e32 v17, v18, v17, vcc
	v_lshlrev_b32_e32 v17, 2, v17
	ds_bpermute_b32 v16, v17, v16
	v_cmp_eq_u32_e32 vcc, 0, v0
	s_waitcnt lgkmcnt(0)
	v_add_u32_e32 v6, v16, v6
	v_cndmask_b32_e32 v1, v6, v1, vcc
	v_add_u32_e32 v6, v1, v7
	ds_write2_b32 v5, v1, v6 offset1:1
	v_add_u32_e32 v1, v6, v8
	v_add_u32_e32 v6, v1, v9
	ds_write2_b32 v5, v1, v6 offset0:2 offset1:3
	v_add_u32_e32 v1, v6, v12
	v_add_u32_e32 v6, v1, v13
	ds_write2_b32 v5, v1, v6 offset0:4 offset1:5
	;; [unrolled: 3-line block ×3, first 2 shown]
.LBB234_2:
	s_or_b64 exec, exec, s[0:1]
	s_load_dword s2, s[4:5], 0x8
	v_cmp_ne_u32_e32 vcc, 0, v0
	s_waitcnt lgkmcnt(0)
	s_barrier
	v_mov_b32_e32 v6, s2
	s_and_saveexec_b64 s[0:1], vcc
	s_cbranch_execz .LBB234_4
; %bb.3:
	v_add_u32_e32 v0, -1, v0
	v_lshrrev_b32_e32 v1, 5, v0
	v_add_lshl_u32 v0, v1, v0, 2
	ds_read_b32 v0, v0
	s_waitcnt lgkmcnt(0)
	v_add_u32_e32 v6, s2, v0
.LBB234_4:
	s_or_b64 exec, exec, s[0:1]
	v_add_u32_e32 v7, v6, v2
	v_add_u32_e32 v8, v7, v3
	;; [unrolled: 1-line block ×3, first 2 shown]
	global_store_dwordx4 v[10:11], v[6:9], off
	s_endpgm
	.section	.rodata,"a",@progbits
	.p2align	6, 0x0
	.amdhsa_kernel _Z27exclusive_scan_array_kernelILj512ELj4ELN6hipcub18BlockScanAlgorithmE1EjEvPT2_S2_
		.amdhsa_group_segment_fixed_size 2112
		.amdhsa_private_segment_fixed_size 0
		.amdhsa_kernarg_size 12
		.amdhsa_user_sgpr_count 6
		.amdhsa_user_sgpr_private_segment_buffer 1
		.amdhsa_user_sgpr_dispatch_ptr 0
		.amdhsa_user_sgpr_queue_ptr 0
		.amdhsa_user_sgpr_kernarg_segment_ptr 1
		.amdhsa_user_sgpr_dispatch_id 0
		.amdhsa_user_sgpr_flat_scratch_init 0
		.amdhsa_user_sgpr_kernarg_preload_length 0
		.amdhsa_user_sgpr_kernarg_preload_offset 0
		.amdhsa_user_sgpr_private_segment_size 0
		.amdhsa_uses_dynamic_stack 0
		.amdhsa_system_sgpr_private_segment_wavefront_offset 0
		.amdhsa_system_sgpr_workgroup_id_x 1
		.amdhsa_system_sgpr_workgroup_id_y 0
		.amdhsa_system_sgpr_workgroup_id_z 0
		.amdhsa_system_sgpr_workgroup_info 0
		.amdhsa_system_vgpr_workitem_id 0
		.amdhsa_next_free_vgpr 20
		.amdhsa_next_free_sgpr 7
		.amdhsa_accum_offset 20
		.amdhsa_reserve_vcc 1
		.amdhsa_reserve_flat_scratch 0
		.amdhsa_float_round_mode_32 0
		.amdhsa_float_round_mode_16_64 0
		.amdhsa_float_denorm_mode_32 3
		.amdhsa_float_denorm_mode_16_64 3
		.amdhsa_dx10_clamp 1
		.amdhsa_ieee_mode 1
		.amdhsa_fp16_overflow 0
		.amdhsa_tg_split 0
		.amdhsa_exception_fp_ieee_invalid_op 0
		.amdhsa_exception_fp_denorm_src 0
		.amdhsa_exception_fp_ieee_div_zero 0
		.amdhsa_exception_fp_ieee_overflow 0
		.amdhsa_exception_fp_ieee_underflow 0
		.amdhsa_exception_fp_ieee_inexact 0
		.amdhsa_exception_int_div_zero 0
	.end_amdhsa_kernel
	.section	.text._Z27exclusive_scan_array_kernelILj512ELj4ELN6hipcub18BlockScanAlgorithmE1EjEvPT2_S2_,"axG",@progbits,_Z27exclusive_scan_array_kernelILj512ELj4ELN6hipcub18BlockScanAlgorithmE1EjEvPT2_S2_,comdat
.Lfunc_end234:
	.size	_Z27exclusive_scan_array_kernelILj512ELj4ELN6hipcub18BlockScanAlgorithmE1EjEvPT2_S2_, .Lfunc_end234-_Z27exclusive_scan_array_kernelILj512ELj4ELN6hipcub18BlockScanAlgorithmE1EjEvPT2_S2_
                                        ; -- End function
	.section	.AMDGPU.csdata,"",@progbits
; Kernel info:
; codeLenInByte = 564
; NumSgprs: 11
; NumVgprs: 20
; NumAgprs: 0
; TotalNumVgprs: 20
; ScratchSize: 0
; MemoryBound: 0
; FloatMode: 240
; IeeeMode: 1
; LDSByteSize: 2112 bytes/workgroup (compile time only)
; SGPRBlocks: 1
; VGPRBlocks: 2
; NumSGPRsForWavesPerEU: 11
; NumVGPRsForWavesPerEU: 20
; AccumOffset: 20
; Occupancy: 8
; WaveLimiterHint : 0
; COMPUTE_PGM_RSRC2:SCRATCH_EN: 0
; COMPUTE_PGM_RSRC2:USER_SGPR: 6
; COMPUTE_PGM_RSRC2:TRAP_HANDLER: 0
; COMPUTE_PGM_RSRC2:TGID_X_EN: 1
; COMPUTE_PGM_RSRC2:TGID_Y_EN: 0
; COMPUTE_PGM_RSRC2:TGID_Z_EN: 0
; COMPUTE_PGM_RSRC2:TIDIG_COMP_CNT: 0
; COMPUTE_PGM_RSRC3_GFX90A:ACCUM_OFFSET: 4
; COMPUTE_PGM_RSRC3_GFX90A:TG_SPLIT: 0
	.section	.text._Z27exclusive_scan_array_kernelILj256ELj3ELN6hipcub18BlockScanAlgorithmE1EiEvPT2_S2_,"axG",@progbits,_Z27exclusive_scan_array_kernelILj256ELj3ELN6hipcub18BlockScanAlgorithmE1EiEvPT2_S2_,comdat
	.protected	_Z27exclusive_scan_array_kernelILj256ELj3ELN6hipcub18BlockScanAlgorithmE1EiEvPT2_S2_ ; -- Begin function _Z27exclusive_scan_array_kernelILj256ELj3ELN6hipcub18BlockScanAlgorithmE1EiEvPT2_S2_
	.globl	_Z27exclusive_scan_array_kernelILj256ELj3ELN6hipcub18BlockScanAlgorithmE1EiEvPT2_S2_
	.p2align	8
	.type	_Z27exclusive_scan_array_kernelILj256ELj3ELN6hipcub18BlockScanAlgorithmE1EiEvPT2_S2_,@function
_Z27exclusive_scan_array_kernelILj256ELj3ELN6hipcub18BlockScanAlgorithmE1EiEvPT2_S2_: ; @_Z27exclusive_scan_array_kernelILj256ELj3ELN6hipcub18BlockScanAlgorithmE1EiEvPT2_S2_
; %bb.0:
	s_load_dwordx2 s[0:1], s[4:5], 0x0
	v_lshl_or_b32 v1, s6, 8, v0
	v_lshl_add_u32 v6, v1, 1, v1
	v_mov_b32_e32 v7, 0
	v_lshlrev_b64 v[2:3], 2, v[6:7]
	s_waitcnt lgkmcnt(0)
	v_mov_b32_e32 v1, s1
	v_add_co_u32_e32 v2, vcc, s0, v2
	v_add_u32_e32 v4, 1, v6
	v_mov_b32_e32 v5, v7
	v_addc_co_u32_e32 v3, vcc, v1, v3, vcc
	v_lshlrev_b64 v[4:5], 2, v[4:5]
	v_add_co_u32_e32 v4, vcc, s0, v4
	v_add_u32_e32 v6, 2, v6
	v_addc_co_u32_e32 v5, vcc, v1, v5, vcc
	v_lshlrev_b64 v[6:7], 2, v[6:7]
	v_add_co_u32_e32 v6, vcc, s0, v6
	v_addc_co_u32_e32 v7, vcc, v1, v7, vcc
	global_load_dword v1, v[2:3], off
	global_load_dword v8, v[4:5], off
	;; [unrolled: 1-line block ×3, first 2 shown]
	v_lshrrev_b32_e32 v10, 5, v0
	v_add_lshl_u32 v10, v10, v0, 2
	v_cmp_gt_u32_e32 vcc, 64, v0
	s_waitcnt vmcnt(0)
	v_add3_u32 v9, v8, v1, v9
	ds_write_b32 v10, v9
	s_waitcnt lgkmcnt(0)
	s_barrier
	s_and_saveexec_b64 s[0:1], vcc
	s_cbranch_execz .LBB235_2
; %bb.1:
	v_lshlrev_b32_e32 v10, 2, v0
	v_lshrrev_b32_e32 v11, 3, v0
	v_add_lshl_u32 v14, v11, v10, 2
	ds_read2_b32 v[10:11], v14 offset1:1
	ds_read2_b32 v[12:13], v14 offset0:2 offset1:3
	v_mbcnt_lo_u32_b32 v15, -1, 0
	v_mbcnt_hi_u32_b32 v15, -1, v15
	v_and_b32_e32 v17, 15, v15
	s_waitcnt lgkmcnt(1)
	v_add_u32_e32 v16, v11, v10
	s_waitcnt lgkmcnt(0)
	v_add3_u32 v16, v16, v12, v13
	v_cmp_ne_u32_e32 vcc, 0, v17
	s_nop 0
	v_mov_b32_dpp v18, v16 row_shr:1 row_mask:0xf bank_mask:0xf
	v_cndmask_b32_e32 v18, 0, v18, vcc
	v_add_u32_e32 v16, v18, v16
	v_cmp_lt_u32_e32 vcc, 1, v17
	s_nop 0
	v_mov_b32_dpp v18, v16 row_shr:2 row_mask:0xf bank_mask:0xf
	v_cndmask_b32_e32 v18, 0, v18, vcc
	v_add_u32_e32 v16, v16, v18
	v_cmp_lt_u32_e32 vcc, 3, v17
	;; [unrolled: 5-line block ×3, first 2 shown]
	s_nop 0
	v_mov_b32_dpp v18, v16 row_shr:8 row_mask:0xf bank_mask:0xf
	v_cndmask_b32_e32 v17, 0, v18, vcc
	v_add_u32_e32 v16, v16, v17
	v_bfe_i32 v18, v15, 4, 1
	v_cmp_lt_u32_e32 vcc, 31, v15
	v_mov_b32_dpp v17, v16 row_bcast:15 row_mask:0xf bank_mask:0xf
	v_and_b32_e32 v17, v18, v17
	v_add_u32_e32 v16, v16, v17
	v_and_b32_e32 v18, 64, v15
	s_nop 0
	v_mov_b32_dpp v17, v16 row_bcast:31 row_mask:0xf bank_mask:0xf
	v_cndmask_b32_e32 v17, 0, v17, vcc
	v_add_u32_e32 v16, v16, v17
	v_add_u32_e32 v17, -1, v15
	v_cmp_lt_i32_e32 vcc, v17, v18
	v_cndmask_b32_e32 v15, v17, v15, vcc
	v_lshlrev_b32_e32 v15, 2, v15
	ds_bpermute_b32 v15, v15, v16
	v_cmp_eq_u32_e32 vcc, 0, v0
	s_waitcnt lgkmcnt(0)
	v_add_u32_e32 v10, v15, v10
	v_cndmask_b32_e32 v9, v10, v9, vcc
	v_add_u32_e32 v10, v9, v11
	ds_write2_b32 v14, v9, v10 offset1:1
	v_add_u32_e32 v9, v10, v12
	v_add_u32_e32 v10, v9, v13
	ds_write2_b32 v14, v9, v10 offset0:2 offset1:3
.LBB235_2:
	s_or_b64 exec, exec, s[0:1]
	s_load_dword s2, s[4:5], 0x8
	v_cmp_ne_u32_e32 vcc, 0, v0
	s_waitcnt lgkmcnt(0)
	s_barrier
	v_mov_b32_e32 v9, s2
	s_and_saveexec_b64 s[0:1], vcc
	s_cbranch_execz .LBB235_4
; %bb.3:
	v_add_u32_e32 v0, -1, v0
	v_lshrrev_b32_e32 v9, 5, v0
	v_add_lshl_u32 v0, v9, v0, 2
	ds_read_b32 v0, v0
	s_waitcnt lgkmcnt(0)
	v_add_u32_e32 v9, s2, v0
.LBB235_4:
	s_or_b64 exec, exec, s[0:1]
	v_add_u32_e32 v0, v9, v1
	v_add_u32_e32 v1, v0, v8
	global_store_dword v[2:3], v9, off
	global_store_dword v[4:5], v0, off
	;; [unrolled: 1-line block ×3, first 2 shown]
	s_endpgm
	.section	.rodata,"a",@progbits
	.p2align	6, 0x0
	.amdhsa_kernel _Z27exclusive_scan_array_kernelILj256ELj3ELN6hipcub18BlockScanAlgorithmE1EiEvPT2_S2_
		.amdhsa_group_segment_fixed_size 1056
		.amdhsa_private_segment_fixed_size 0
		.amdhsa_kernarg_size 12
		.amdhsa_user_sgpr_count 6
		.amdhsa_user_sgpr_private_segment_buffer 1
		.amdhsa_user_sgpr_dispatch_ptr 0
		.amdhsa_user_sgpr_queue_ptr 0
		.amdhsa_user_sgpr_kernarg_segment_ptr 1
		.amdhsa_user_sgpr_dispatch_id 0
		.amdhsa_user_sgpr_flat_scratch_init 0
		.amdhsa_user_sgpr_kernarg_preload_length 0
		.amdhsa_user_sgpr_kernarg_preload_offset 0
		.amdhsa_user_sgpr_private_segment_size 0
		.amdhsa_uses_dynamic_stack 0
		.amdhsa_system_sgpr_private_segment_wavefront_offset 0
		.amdhsa_system_sgpr_workgroup_id_x 1
		.amdhsa_system_sgpr_workgroup_id_y 0
		.amdhsa_system_sgpr_workgroup_id_z 0
		.amdhsa_system_sgpr_workgroup_info 0
		.amdhsa_system_vgpr_workitem_id 0
		.amdhsa_next_free_vgpr 19
		.amdhsa_next_free_sgpr 7
		.amdhsa_accum_offset 20
		.amdhsa_reserve_vcc 1
		.amdhsa_reserve_flat_scratch 0
		.amdhsa_float_round_mode_32 0
		.amdhsa_float_round_mode_16_64 0
		.amdhsa_float_denorm_mode_32 3
		.amdhsa_float_denorm_mode_16_64 3
		.amdhsa_dx10_clamp 1
		.amdhsa_ieee_mode 1
		.amdhsa_fp16_overflow 0
		.amdhsa_tg_split 0
		.amdhsa_exception_fp_ieee_invalid_op 0
		.amdhsa_exception_fp_denorm_src 0
		.amdhsa_exception_fp_ieee_div_zero 0
		.amdhsa_exception_fp_ieee_overflow 0
		.amdhsa_exception_fp_ieee_underflow 0
		.amdhsa_exception_fp_ieee_inexact 0
		.amdhsa_exception_int_div_zero 0
	.end_amdhsa_kernel
	.section	.text._Z27exclusive_scan_array_kernelILj256ELj3ELN6hipcub18BlockScanAlgorithmE1EiEvPT2_S2_,"axG",@progbits,_Z27exclusive_scan_array_kernelILj256ELj3ELN6hipcub18BlockScanAlgorithmE1EiEvPT2_S2_,comdat
.Lfunc_end235:
	.size	_Z27exclusive_scan_array_kernelILj256ELj3ELN6hipcub18BlockScanAlgorithmE1EiEvPT2_S2_, .Lfunc_end235-_Z27exclusive_scan_array_kernelILj256ELj3ELN6hipcub18BlockScanAlgorithmE1EiEvPT2_S2_
                                        ; -- End function
	.section	.AMDGPU.csdata,"",@progbits
; Kernel info:
; codeLenInByte = 568
; NumSgprs: 11
; NumVgprs: 19
; NumAgprs: 0
; TotalNumVgprs: 19
; ScratchSize: 0
; MemoryBound: 0
; FloatMode: 240
; IeeeMode: 1
; LDSByteSize: 1056 bytes/workgroup (compile time only)
; SGPRBlocks: 1
; VGPRBlocks: 2
; NumSGPRsForWavesPerEU: 11
; NumVGPRsForWavesPerEU: 19
; AccumOffset: 20
; Occupancy: 8
; WaveLimiterHint : 0
; COMPUTE_PGM_RSRC2:SCRATCH_EN: 0
; COMPUTE_PGM_RSRC2:USER_SGPR: 6
; COMPUTE_PGM_RSRC2:TRAP_HANDLER: 0
; COMPUTE_PGM_RSRC2:TGID_X_EN: 1
; COMPUTE_PGM_RSRC2:TGID_Y_EN: 0
; COMPUTE_PGM_RSRC2:TGID_Z_EN: 0
; COMPUTE_PGM_RSRC2:TIDIG_COMP_CNT: 0
; COMPUTE_PGM_RSRC3_GFX90A:ACCUM_OFFSET: 4
; COMPUTE_PGM_RSRC3_GFX90A:TG_SPLIT: 0
	.section	.text._Z27exclusive_scan_array_kernelILj32ELj2ELN6hipcub18BlockScanAlgorithmE1EfEvPT2_S2_,"axG",@progbits,_Z27exclusive_scan_array_kernelILj32ELj2ELN6hipcub18BlockScanAlgorithmE1EfEvPT2_S2_,comdat
	.protected	_Z27exclusive_scan_array_kernelILj32ELj2ELN6hipcub18BlockScanAlgorithmE1EfEvPT2_S2_ ; -- Begin function _Z27exclusive_scan_array_kernelILj32ELj2ELN6hipcub18BlockScanAlgorithmE1EfEvPT2_S2_
	.globl	_Z27exclusive_scan_array_kernelILj32ELj2ELN6hipcub18BlockScanAlgorithmE1EfEvPT2_S2_
	.p2align	8
	.type	_Z27exclusive_scan_array_kernelILj32ELj2ELN6hipcub18BlockScanAlgorithmE1EfEvPT2_S2_,@function
_Z27exclusive_scan_array_kernelILj32ELj2ELN6hipcub18BlockScanAlgorithmE1EfEvPT2_S2_: ; @_Z27exclusive_scan_array_kernelILj32ELj2ELN6hipcub18BlockScanAlgorithmE1EfEvPT2_S2_
; %bb.0:
	s_load_dwordx2 s[0:1], s[4:5], 0x0
	v_lshlrev_b32_e32 v1, 1, v0
	v_lshl_or_b32 v6, s6, 6, v1
	v_mov_b32_e32 v7, 0
	v_lshlrev_b64 v[2:3], 2, v[6:7]
	s_waitcnt lgkmcnt(0)
	v_mov_b32_e32 v1, s1
	v_add_co_u32_e32 v2, vcc, s0, v2
	v_addc_co_u32_e32 v3, vcc, v1, v3, vcc
	global_load_dwordx2 v[4:5], v[2:3], off
	v_mbcnt_lo_u32_b32 v1, -1, 0
	v_mbcnt_hi_u32_b32 v1, -1, v1
	v_and_b32_e32 v6, 15, v1
	v_cmp_eq_u32_e32 vcc, 0, v6
	v_and_b32_e32 v8, 16, v1
	s_waitcnt vmcnt(0)
	v_add_f32_e32 v5, v4, v5
	s_nop 1
	v_mov_b32_dpp v9, v5 row_shr:1 row_mask:0xf bank_mask:0xf
	v_add_f32_e32 v9, v5, v9
	v_cndmask_b32_e32 v5, v9, v5, vcc
	v_cmp_lt_u32_e32 vcc, 1, v6
	s_nop 0
	v_mov_b32_dpp v9, v5 row_shr:2 row_mask:0xf bank_mask:0xf
	v_add_f32_e32 v9, v5, v9
	v_cndmask_b32_e32 v5, v5, v9, vcc
	v_cmp_lt_u32_e32 vcc, 3, v6
	;; [unrolled: 5-line block ×3, first 2 shown]
	s_nop 0
	v_mov_b32_dpp v9, v5 row_shr:8 row_mask:0xf bank_mask:0xf
	v_add_f32_e32 v9, v5, v9
	v_cndmask_b32_e32 v5, v5, v9, vcc
	v_cmp_eq_u32_e32 vcc, 0, v8
	s_nop 0
	v_mov_b32_dpp v6, v5 row_bcast:15 row_mask:0xf bank_mask:0xf
	v_add_f32_e32 v6, v5, v6
	v_cndmask_b32_e32 v5, v6, v5, vcc
	v_cmp_eq_u32_e32 vcc, 31, v0
	s_and_saveexec_b64 s[0:1], vcc
	s_cbranch_execz .LBB236_2
; %bb.1:
	ds_write_b32 v7, v5
.LBB236_2:
	s_or_b64 exec, exec, s[0:1]
	s_load_dword s2, s[4:5], 0x8
	v_add_u32_e32 v6, -1, v1
	v_and_b32_e32 v7, 0x60, v1
	v_cmp_lt_i32_e32 vcc, v6, v7
	v_cndmask_b32_e32 v6, v6, v1, vcc
	s_waitcnt lgkmcnt(0)
	v_add_f32_e32 v5, s2, v5
	v_lshlrev_b32_e32 v6, 2, v6
	ds_bpermute_b32 v5, v6, v5
	v_cmp_eq_u32_e32 vcc, 0, v1
	v_cmp_eq_u32_e64 s[0:1], 0, v0
	v_mov_b32_e32 v0, s2
	s_or_b64 vcc, s[0:1], vcc
	s_waitcnt lgkmcnt(0)
	v_cndmask_b32_e32 v0, v5, v0, vcc
	v_add_f32_e32 v1, v4, v0
	s_waitcnt lgkmcnt(0)
	; wave barrier
	global_store_dwordx2 v[2:3], v[0:1], off
	s_endpgm
	.section	.rodata,"a",@progbits
	.p2align	6, 0x0
	.amdhsa_kernel _Z27exclusive_scan_array_kernelILj32ELj2ELN6hipcub18BlockScanAlgorithmE1EfEvPT2_S2_
		.amdhsa_group_segment_fixed_size 4
		.amdhsa_private_segment_fixed_size 0
		.amdhsa_kernarg_size 12
		.amdhsa_user_sgpr_count 6
		.amdhsa_user_sgpr_private_segment_buffer 1
		.amdhsa_user_sgpr_dispatch_ptr 0
		.amdhsa_user_sgpr_queue_ptr 0
		.amdhsa_user_sgpr_kernarg_segment_ptr 1
		.amdhsa_user_sgpr_dispatch_id 0
		.amdhsa_user_sgpr_flat_scratch_init 0
		.amdhsa_user_sgpr_kernarg_preload_length 0
		.amdhsa_user_sgpr_kernarg_preload_offset 0
		.amdhsa_user_sgpr_private_segment_size 0
		.amdhsa_uses_dynamic_stack 0
		.amdhsa_system_sgpr_private_segment_wavefront_offset 0
		.amdhsa_system_sgpr_workgroup_id_x 1
		.amdhsa_system_sgpr_workgroup_id_y 0
		.amdhsa_system_sgpr_workgroup_id_z 0
		.amdhsa_system_sgpr_workgroup_info 0
		.amdhsa_system_vgpr_workitem_id 0
		.amdhsa_next_free_vgpr 10
		.amdhsa_next_free_sgpr 7
		.amdhsa_accum_offset 12
		.amdhsa_reserve_vcc 1
		.amdhsa_reserve_flat_scratch 0
		.amdhsa_float_round_mode_32 0
		.amdhsa_float_round_mode_16_64 0
		.amdhsa_float_denorm_mode_32 3
		.amdhsa_float_denorm_mode_16_64 3
		.amdhsa_dx10_clamp 1
		.amdhsa_ieee_mode 1
		.amdhsa_fp16_overflow 0
		.amdhsa_tg_split 0
		.amdhsa_exception_fp_ieee_invalid_op 0
		.amdhsa_exception_fp_denorm_src 0
		.amdhsa_exception_fp_ieee_div_zero 0
		.amdhsa_exception_fp_ieee_overflow 0
		.amdhsa_exception_fp_ieee_underflow 0
		.amdhsa_exception_fp_ieee_inexact 0
		.amdhsa_exception_int_div_zero 0
	.end_amdhsa_kernel
	.section	.text._Z27exclusive_scan_array_kernelILj32ELj2ELN6hipcub18BlockScanAlgorithmE1EfEvPT2_S2_,"axG",@progbits,_Z27exclusive_scan_array_kernelILj32ELj2ELN6hipcub18BlockScanAlgorithmE1EfEvPT2_S2_,comdat
.Lfunc_end236:
	.size	_Z27exclusive_scan_array_kernelILj32ELj2ELN6hipcub18BlockScanAlgorithmE1EfEvPT2_S2_, .Lfunc_end236-_Z27exclusive_scan_array_kernelILj32ELj2ELN6hipcub18BlockScanAlgorithmE1EfEvPT2_S2_
                                        ; -- End function
	.section	.AMDGPU.csdata,"",@progbits
; Kernel info:
; codeLenInByte = 328
; NumSgprs: 11
; NumVgprs: 10
; NumAgprs: 0
; TotalNumVgprs: 10
; ScratchSize: 0
; MemoryBound: 0
; FloatMode: 240
; IeeeMode: 1
; LDSByteSize: 4 bytes/workgroup (compile time only)
; SGPRBlocks: 1
; VGPRBlocks: 1
; NumSGPRsForWavesPerEU: 11
; NumVGPRsForWavesPerEU: 10
; AccumOffset: 12
; Occupancy: 8
; WaveLimiterHint : 0
; COMPUTE_PGM_RSRC2:SCRATCH_EN: 0
; COMPUTE_PGM_RSRC2:USER_SGPR: 6
; COMPUTE_PGM_RSRC2:TRAP_HANDLER: 0
; COMPUTE_PGM_RSRC2:TGID_X_EN: 1
; COMPUTE_PGM_RSRC2:TGID_Y_EN: 0
; COMPUTE_PGM_RSRC2:TGID_Z_EN: 0
; COMPUTE_PGM_RSRC2:TIDIG_COMP_CNT: 0
; COMPUTE_PGM_RSRC3_GFX90A:ACCUM_OFFSET: 2
; COMPUTE_PGM_RSRC3_GFX90A:TG_SPLIT: 0
	.section	.text._Z27exclusive_scan_array_kernelILj6ELj32ELN6hipcub18BlockScanAlgorithmE1EfEvPT2_S2_,"axG",@progbits,_Z27exclusive_scan_array_kernelILj6ELj32ELN6hipcub18BlockScanAlgorithmE1EfEvPT2_S2_,comdat
	.protected	_Z27exclusive_scan_array_kernelILj6ELj32ELN6hipcub18BlockScanAlgorithmE1EfEvPT2_S2_ ; -- Begin function _Z27exclusive_scan_array_kernelILj6ELj32ELN6hipcub18BlockScanAlgorithmE1EfEvPT2_S2_
	.globl	_Z27exclusive_scan_array_kernelILj6ELj32ELN6hipcub18BlockScanAlgorithmE1EfEvPT2_S2_
	.p2align	8
	.type	_Z27exclusive_scan_array_kernelILj6ELj32ELN6hipcub18BlockScanAlgorithmE1EfEvPT2_S2_,@function
_Z27exclusive_scan_array_kernelILj6ELj32ELN6hipcub18BlockScanAlgorithmE1EfEvPT2_S2_: ; @_Z27exclusive_scan_array_kernelILj6ELj32ELN6hipcub18BlockScanAlgorithmE1EfEvPT2_S2_
; %bb.0:
	s_load_dwordx2 s[0:1], s[4:5], 0x0
	s_mul_i32 s6, s6, 6
	v_add_lshl_u32 v36, s6, v0, 5
	v_mov_b32_e32 v37, 0
	v_lshlrev_b64 v[2:3], 2, v[36:37]
	s_waitcnt lgkmcnt(0)
	v_mov_b32_e32 v1, s1
	v_add_co_u32_e32 v34, vcc, s0, v2
	v_addc_co_u32_e32 v35, vcc, v1, v3, vcc
	global_load_dwordx4 v[30:33], v[34:35], off
	global_load_dwordx4 v[26:29], v[34:35], off offset:16
	global_load_dwordx4 v[22:25], v[34:35], off offset:32
	;; [unrolled: 1-line block ×7, first 2 shown]
	v_mbcnt_lo_u32_b32 v1, -1, 0
	v_mbcnt_hi_u32_b32 v1, -1, v1
	v_and_b32_e32 v36, 7, v1
	v_cmp_eq_u32_e32 vcc, 0, v36
	s_waitcnt vmcnt(7)
	v_add_f32_e32 v38, v30, v31
	v_add_f32_e32 v38, v38, v32
	v_add_f32_e32 v38, v38, v33
	s_waitcnt vmcnt(6)
	v_add_f32_e32 v38, v38, v26
	v_add_f32_e32 v38, v38, v27
	v_add_f32_e32 v38, v38, v28
	v_add_f32_e32 v38, v38, v29
	s_waitcnt vmcnt(5)
	v_add_f32_e32 v38, v38, v22
	;; [unrolled: 5-line block ×7, first 2 shown]
	v_add_f32_e32 v38, v38, v3
	v_add_f32_e32 v38, v38, v4
	;; [unrolled: 1-line block ×3, first 2 shown]
	s_nop 1
	v_mov_b32_dpp v38, v5 row_shr:1 row_mask:0xf bank_mask:0xf
	v_add_f32_e32 v38, v5, v38
	v_cndmask_b32_e32 v5, v38, v5, vcc
	v_cmp_lt_u32_e32 vcc, 1, v36
	s_nop 0
	v_mov_b32_dpp v38, v5 row_shr:2 row_mask:0xf bank_mask:0xf
	v_add_f32_e32 v38, v5, v38
	v_cndmask_b32_e32 v5, v5, v38, vcc
	v_cmp_lt_u32_e32 vcc, 3, v36
	s_nop 0
	v_mov_b32_dpp v38, v5 row_shr:4 row_mask:0xf bank_mask:0xf
	v_add_f32_e32 v38, v5, v38
	v_cndmask_b32_e32 v5, v5, v38, vcc
	v_cmp_eq_u32_e32 vcc, 5, v0
	s_and_saveexec_b64 s[0:1], vcc
	s_cbranch_execz .LBB237_2
; %bb.1:
	ds_write_b32 v37, v5
.LBB237_2:
	s_or_b64 exec, exec, s[0:1]
	s_load_dword s2, s[4:5], 0x8
	v_add_u32_e32 v36, -1, v1
	v_and_b32_e32 v37, 0x78, v1
	v_cmp_lt_i32_e32 vcc, v36, v37
	v_cndmask_b32_e32 v36, v36, v1, vcc
	s_waitcnt lgkmcnt(0)
	v_add_f32_e32 v5, s2, v5
	v_lshlrev_b32_e32 v36, 2, v36
	ds_bpermute_b32 v5, v36, v5
	v_cmp_eq_u32_e32 vcc, 0, v1
	v_cmp_eq_u32_e64 s[0:1], 0, v0
	v_mov_b32_e32 v0, s2
	s_or_b64 vcc, s[0:1], vcc
	s_waitcnt lgkmcnt(0)
	v_cndmask_b32_e32 v36, v5, v0, vcc
	v_add_f32_e32 v37, v30, v36
	v_add_f32_e32 v38, v31, v37
	;; [unrolled: 1-line block ×30, first 2 shown]
	s_waitcnt lgkmcnt(0)
	; wave barrier
	v_add_f32_e32 v3, v2, v4
	global_store_dwordx4 v[34:35], v[36:39], off
	global_store_dwordx4 v[34:35], v[30:33], off offset:16
	global_store_dwordx4 v[34:35], v[26:29], off offset:32
	;; [unrolled: 1-line block ×7, first 2 shown]
	s_endpgm
	.section	.rodata,"a",@progbits
	.p2align	6, 0x0
	.amdhsa_kernel _Z27exclusive_scan_array_kernelILj6ELj32ELN6hipcub18BlockScanAlgorithmE1EfEvPT2_S2_
		.amdhsa_group_segment_fixed_size 4
		.amdhsa_private_segment_fixed_size 0
		.amdhsa_kernarg_size 12
		.amdhsa_user_sgpr_count 6
		.amdhsa_user_sgpr_private_segment_buffer 1
		.amdhsa_user_sgpr_dispatch_ptr 0
		.amdhsa_user_sgpr_queue_ptr 0
		.amdhsa_user_sgpr_kernarg_segment_ptr 1
		.amdhsa_user_sgpr_dispatch_id 0
		.amdhsa_user_sgpr_flat_scratch_init 0
		.amdhsa_user_sgpr_kernarg_preload_length 0
		.amdhsa_user_sgpr_kernarg_preload_offset 0
		.amdhsa_user_sgpr_private_segment_size 0
		.amdhsa_uses_dynamic_stack 0
		.amdhsa_system_sgpr_private_segment_wavefront_offset 0
		.amdhsa_system_sgpr_workgroup_id_x 1
		.amdhsa_system_sgpr_workgroup_id_y 0
		.amdhsa_system_sgpr_workgroup_id_z 0
		.amdhsa_system_sgpr_workgroup_info 0
		.amdhsa_system_vgpr_workitem_id 0
		.amdhsa_next_free_vgpr 40
		.amdhsa_next_free_sgpr 7
		.amdhsa_accum_offset 40
		.amdhsa_reserve_vcc 1
		.amdhsa_reserve_flat_scratch 0
		.amdhsa_float_round_mode_32 0
		.amdhsa_float_round_mode_16_64 0
		.amdhsa_float_denorm_mode_32 3
		.amdhsa_float_denorm_mode_16_64 3
		.amdhsa_dx10_clamp 1
		.amdhsa_ieee_mode 1
		.amdhsa_fp16_overflow 0
		.amdhsa_tg_split 0
		.amdhsa_exception_fp_ieee_invalid_op 0
		.amdhsa_exception_fp_denorm_src 0
		.amdhsa_exception_fp_ieee_div_zero 0
		.amdhsa_exception_fp_ieee_overflow 0
		.amdhsa_exception_fp_ieee_underflow 0
		.amdhsa_exception_fp_ieee_inexact 0
		.amdhsa_exception_int_div_zero 0
	.end_amdhsa_kernel
	.section	.text._Z27exclusive_scan_array_kernelILj6ELj32ELN6hipcub18BlockScanAlgorithmE1EfEvPT2_S2_,"axG",@progbits,_Z27exclusive_scan_array_kernelILj6ELj32ELN6hipcub18BlockScanAlgorithmE1EfEvPT2_S2_,comdat
.Lfunc_end237:
	.size	_Z27exclusive_scan_array_kernelILj6ELj32ELN6hipcub18BlockScanAlgorithmE1EfEvPT2_S2_, .Lfunc_end237-_Z27exclusive_scan_array_kernelILj6ELj32ELN6hipcub18BlockScanAlgorithmE1EfEvPT2_S2_
                                        ; -- End function
	.section	.AMDGPU.csdata,"",@progbits
; Kernel info:
; codeLenInByte = 656
; NumSgprs: 11
; NumVgprs: 40
; NumAgprs: 0
; TotalNumVgprs: 40
; ScratchSize: 0
; MemoryBound: 0
; FloatMode: 240
; IeeeMode: 1
; LDSByteSize: 4 bytes/workgroup (compile time only)
; SGPRBlocks: 1
; VGPRBlocks: 4
; NumSGPRsForWavesPerEU: 11
; NumVGPRsForWavesPerEU: 40
; AccumOffset: 40
; Occupancy: 8
; WaveLimiterHint : 0
; COMPUTE_PGM_RSRC2:SCRATCH_EN: 0
; COMPUTE_PGM_RSRC2:USER_SGPR: 6
; COMPUTE_PGM_RSRC2:TRAP_HANDLER: 0
; COMPUTE_PGM_RSRC2:TGID_X_EN: 1
; COMPUTE_PGM_RSRC2:TGID_Y_EN: 0
; COMPUTE_PGM_RSRC2:TGID_Z_EN: 0
; COMPUTE_PGM_RSRC2:TIDIG_COMP_CNT: 0
; COMPUTE_PGM_RSRC3_GFX90A:ACCUM_OFFSET: 9
; COMPUTE_PGM_RSRC3_GFX90A:TG_SPLIT: 0
	.section	.text._Z27exclusive_scan_array_kernelILj16ELj5ELN6hipcub18BlockScanAlgorithmE0E12hip_bfloat16EvPT2_S3_,"axG",@progbits,_Z27exclusive_scan_array_kernelILj16ELj5ELN6hipcub18BlockScanAlgorithmE0E12hip_bfloat16EvPT2_S3_,comdat
	.protected	_Z27exclusive_scan_array_kernelILj16ELj5ELN6hipcub18BlockScanAlgorithmE0E12hip_bfloat16EvPT2_S3_ ; -- Begin function _Z27exclusive_scan_array_kernelILj16ELj5ELN6hipcub18BlockScanAlgorithmE0E12hip_bfloat16EvPT2_S3_
	.globl	_Z27exclusive_scan_array_kernelILj16ELj5ELN6hipcub18BlockScanAlgorithmE0E12hip_bfloat16EvPT2_S3_
	.p2align	8
	.type	_Z27exclusive_scan_array_kernelILj16ELj5ELN6hipcub18BlockScanAlgorithmE0E12hip_bfloat16EvPT2_S3_,@function
_Z27exclusive_scan_array_kernelILj16ELj5ELN6hipcub18BlockScanAlgorithmE0E12hip_bfloat16EvPT2_S3_: ; @_Z27exclusive_scan_array_kernelILj16ELj5ELN6hipcub18BlockScanAlgorithmE0E12hip_bfloat16EvPT2_S3_
; %bb.0:
	s_load_dwordx2 s[0:1], s[4:5], 0x0
	v_lshl_or_b32 v1, s6, 4, v0
	v_lshl_add_u32 v10, v1, 2, v1
	v_mov_b32_e32 v11, 0
	v_lshlrev_b64 v[2:3], 1, v[10:11]
	s_waitcnt lgkmcnt(0)
	v_mov_b32_e32 v1, s1
	v_add_co_u32_e32 v2, vcc, s0, v2
	v_add_u32_e32 v4, 1, v10
	v_mov_b32_e32 v5, v11
	v_addc_co_u32_e32 v3, vcc, v1, v3, vcc
	v_lshlrev_b64 v[4:5], 1, v[4:5]
	v_add_co_u32_e32 v4, vcc, s0, v4
	v_add_u32_e32 v6, 3, v10
	v_mov_b32_e32 v7, v11
	v_addc_co_u32_e32 v5, vcc, v1, v5, vcc
	v_lshlrev_b64 v[6:7], 1, v[6:7]
	v_add_u32_e32 v12, 2, v10
	v_add_co_u32_e32 v6, vcc, s0, v6
	v_add_u32_e32 v10, 4, v10
	v_addc_co_u32_e32 v7, vcc, v1, v7, vcc
	v_lshlrev_b64 v[8:9], 1, v[10:11]
	v_add_co_u32_e32 v8, vcc, s0, v8
	v_addc_co_u32_e32 v9, vcc, v1, v9, vcc
	global_load_ushort v16, v[6:7], off
	global_load_ushort v17, v[8:9], off
	;; [unrolled: 1-line block ×4, first 2 shown]
	v_mov_b32_e32 v13, v11
	v_lshlrev_b64 v[10:11], 1, v[12:13]
	v_add_co_u32_e32 v10, vcc, s0, v10
	v_addc_co_u32_e32 v11, vcc, v1, v11, vcc
	global_load_ushort v1, v[10:11], off
	s_mov_b32 s0, 0x7f800000
                                        ; implicit-def: $vgpr18
	s_waitcnt vmcnt(2)
	v_lshlrev_b32_e32 v13, 16, v14
	s_waitcnt vmcnt(1)
	v_lshlrev_b32_e32 v12, 16, v15
	v_mov_b32_e32 v14, v13
	v_pk_add_f32 v[14:15], v[14:15], v[12:13] op_sel_hi:[0,1]
	v_and_b32_e32 v15, 0x7f800000, v14
	v_cmp_ne_u32_e32 vcc, s0, v15
	s_and_saveexec_b64 s[0:1], vcc
	s_xor_b64 s[0:1], exec, s[0:1]
; %bb.1:
	v_bfe_u32 v15, v14, 16, 1
	s_movk_i32 s2, 0x7fff
	v_add3_u32 v18, v14, v15, s2
                                        ; implicit-def: $vgpr14_vgpr15
; %bb.2:
	s_andn2_saveexec_b64 s[0:1], s[0:1]
; %bb.3:
	v_mov_b32_e32 v15, 0
	v_or_b32_e32 v18, 0x10000, v14
	v_cmp_eq_u32_sdwa vcc, v14, v15 src0_sel:WORD_0 src1_sel:DWORD
	v_cndmask_b32_e32 v18, v18, v14, vcc
; %bb.4:
	s_or_b64 exec, exec, s[0:1]
	v_and_b32_e32 v14, 0xffff0000, v18
	s_waitcnt vmcnt(0)
	v_lshlrev_b32_e32 v1, 16, v1
	v_add_f32_e32 v14, v14, v1
	s_mov_b32 s0, 0x7f800000
	v_and_b32_e32 v15, 0x7f800000, v14
	v_cmp_ne_u32_e32 vcc, s0, v15
                                        ; implicit-def: $vgpr15
	s_and_saveexec_b64 s[0:1], vcc
	s_xor_b64 s[0:1], exec, s[0:1]
; %bb.5:
	v_bfe_u32 v15, v14, 16, 1
	s_movk_i32 s2, 0x7fff
	v_add3_u32 v15, v14, v15, s2
                                        ; implicit-def: $vgpr14
; %bb.6:
	s_andn2_saveexec_b64 s[0:1], s[0:1]
; %bb.7:
	v_mov_b32_e32 v15, 0
	v_or_b32_e32 v18, 0x10000, v14
	v_cmp_eq_u32_sdwa vcc, v14, v15 src0_sel:WORD_0 src1_sel:DWORD
	v_cndmask_b32_e32 v15, v18, v14, vcc
; %bb.8:
	s_or_b64 exec, exec, s[0:1]
	v_and_b32_e32 v14, 0xffff0000, v15
	v_lshlrev_b32_e32 v16, 16, v16
	v_add_f32_e32 v14, v14, v16
	s_mov_b32 s0, 0x7f800000
	v_and_b32_e32 v15, 0x7f800000, v14
	v_cmp_ne_u32_e32 vcc, s0, v15
                                        ; implicit-def: $vgpr15
	s_and_saveexec_b64 s[0:1], vcc
	s_xor_b64 s[0:1], exec, s[0:1]
; %bb.9:
	v_bfe_u32 v15, v14, 16, 1
	s_movk_i32 s2, 0x7fff
	v_add3_u32 v15, v14, v15, s2
                                        ; implicit-def: $vgpr14
; %bb.10:
	s_andn2_saveexec_b64 s[0:1], s[0:1]
; %bb.11:
	v_mov_b32_e32 v15, 0
	v_or_b32_e32 v18, 0x10000, v14
	v_cmp_eq_u32_sdwa vcc, v14, v15 src0_sel:WORD_0 src1_sel:DWORD
	v_cndmask_b32_e32 v15, v18, v14, vcc
; %bb.12:
	s_or_b64 exec, exec, s[0:1]
	v_and_b32_e32 v14, 0xffff0000, v15
	v_lshlrev_b32_e32 v15, 16, v17
	v_add_f32_e32 v14, v14, v15
	s_mov_b32 s0, 0x7f800000
	v_and_b32_e32 v15, 0x7f800000, v14
	v_cmp_ne_u32_e32 vcc, s0, v15
                                        ; implicit-def: $vgpr17
	s_and_saveexec_b64 s[0:1], vcc
	s_xor_b64 s[0:1], exec, s[0:1]
; %bb.13:
	v_bfe_u32 v15, v14, 16, 1
	s_movk_i32 s2, 0x7fff
	v_add3_u32 v17, v14, v15, s2
                                        ; implicit-def: $vgpr14
; %bb.14:
	s_andn2_saveexec_b64 s[0:1], s[0:1]
; %bb.15:
	v_mov_b32_e32 v15, 0
	v_or_b32_e32 v17, 0x10000, v14
	v_cmp_eq_u32_sdwa vcc, v14, v15 src0_sel:WORD_0 src1_sel:DWORD
	v_cndmask_b32_e32 v17, v17, v14, vcc
; %bb.16:
	s_or_b64 exec, exec, s[0:1]
	v_lshrrev_b32_e32 v15, 16, v17
	v_and_b32_e32 v18, 0xffff0000, v17
	s_mov_b32 s0, 0x7f800000
	v_mov_b32_dpp v14, v15 row_shr:1 row_mask:0xf bank_mask:0xf
	v_lshlrev_b32_e32 v14, 16, v14
	v_add_f32_e32 v14, v18, v14
	v_and_b32_e32 v17, 0x7f800000, v14
	v_cmp_ne_u32_e32 vcc, s0, v17
                                        ; implicit-def: $vgpr19
	s_and_saveexec_b64 s[0:1], vcc
	s_xor_b64 s[0:1], exec, s[0:1]
; %bb.17:
	v_bfe_u32 v17, v14, 16, 1
	s_movk_i32 s2, 0x7fff
	v_add3_u32 v19, v14, v17, s2
                                        ; implicit-def: $vgpr14
; %bb.18:
	s_andn2_saveexec_b64 s[0:1], s[0:1]
; %bb.19:
	v_mov_b32_e32 v17, 0
	v_or_b32_e32 v19, 0x10000, v14
	v_cmp_eq_u32_sdwa vcc, v14, v17 src0_sel:WORD_0 src1_sel:DWORD
	v_cndmask_b32_e32 v19, v19, v14, vcc
; %bb.20:
	s_or_b64 exec, exec, s[0:1]
	v_mbcnt_lo_u32_b32 v14, -1, 0
	v_mbcnt_hi_u32_b32 v17, -1, v14
	v_and_b32_e32 v14, 15, v17
	v_lshrrev_b32_e32 v20, 16, v19
	v_cmp_eq_u32_e32 vcc, 0, v14
	v_and_b32_e32 v19, 0xffff0000, v19
	v_cndmask_b32_e32 v15, v20, v15, vcc
	v_cndmask_b32_e32 v18, v19, v18, vcc
	s_mov_b32 s0, 0x7f800000
	v_mov_b32_dpp v19, v15 row_shr:2 row_mask:0xf bank_mask:0xf
	v_lshlrev_b32_e32 v19, 16, v19
	v_add_f32_e32 v19, v18, v19
	v_and_b32_e32 v20, 0x7f800000, v19
	v_cmp_ne_u32_e32 vcc, s0, v20
                                        ; implicit-def: $vgpr20
	s_and_saveexec_b64 s[0:1], vcc
	s_xor_b64 s[0:1], exec, s[0:1]
; %bb.21:
	v_bfe_u32 v20, v19, 16, 1
	s_movk_i32 s2, 0x7fff
	v_add3_u32 v20, v19, v20, s2
                                        ; implicit-def: $vgpr19
; %bb.22:
	s_andn2_saveexec_b64 s[0:1], s[0:1]
; %bb.23:
	v_mov_b32_e32 v20, 0
	v_or_b32_e32 v21, 0x10000, v19
	v_cmp_eq_u32_sdwa vcc, v19, v20 src0_sel:WORD_0 src1_sel:DWORD
	v_cndmask_b32_e32 v20, v21, v19, vcc
; %bb.24:
	s_or_b64 exec, exec, s[0:1]
	v_lshrrev_b32_e32 v19, 16, v20
	v_cmp_lt_u32_e32 vcc, 1, v14
	v_cndmask_b32_e32 v15, v15, v19, vcc
	v_and_b32_e32 v20, 0xffff0000, v20
	v_cndmask_b32_e32 v18, v18, v20, vcc
	v_mov_b32_dpp v19, v15 row_shr:4 row_mask:0xf bank_mask:0xf
	v_lshlrev_b32_e32 v19, 16, v19
	v_add_f32_e32 v19, v18, v19
	s_mov_b32 s0, 0x7f800000
	v_and_b32_e32 v20, 0x7f800000, v19
	v_cmp_ne_u32_e32 vcc, s0, v20
                                        ; implicit-def: $vgpr20
	s_and_saveexec_b64 s[0:1], vcc
	s_xor_b64 s[0:1], exec, s[0:1]
; %bb.25:
	v_bfe_u32 v20, v19, 16, 1
	s_movk_i32 s2, 0x7fff
	v_add3_u32 v20, v19, v20, s2
                                        ; implicit-def: $vgpr19
; %bb.26:
	s_andn2_saveexec_b64 s[0:1], s[0:1]
; %bb.27:
	v_mov_b32_e32 v20, 0
	v_or_b32_e32 v21, 0x10000, v19
	v_cmp_eq_u32_sdwa vcc, v19, v20 src0_sel:WORD_0 src1_sel:DWORD
	v_cndmask_b32_e32 v20, v21, v19, vcc
; %bb.28:
	s_or_b64 exec, exec, s[0:1]
	v_lshrrev_b32_e32 v19, 16, v20
	v_cmp_lt_u32_e32 vcc, 3, v14
	v_cndmask_b32_e32 v15, v15, v19, vcc
	v_and_b32_e32 v20, 0xffff0000, v20
	v_cndmask_b32_e32 v18, v18, v20, vcc
	v_mov_b32_dpp v19, v15 row_shr:8 row_mask:0xf bank_mask:0xf
	v_lshlrev_b32_e32 v19, 16, v19
	v_add_f32_e32 v18, v18, v19
	s_mov_b32 s0, 0x7f800000
	v_and_b32_e32 v19, 0x7f800000, v18
	v_cmp_ne_u32_e32 vcc, s0, v19
                                        ; implicit-def: $vgpr19
	s_and_saveexec_b64 s[0:1], vcc
	s_xor_b64 s[0:1], exec, s[0:1]
; %bb.29:
	v_bfe_u32 v19, v18, 16, 1
	s_movk_i32 s2, 0x7fff
	v_add3_u32 v19, v18, v19, s2
                                        ; implicit-def: $vgpr18
; %bb.30:
	s_andn2_saveexec_b64 s[0:1], s[0:1]
; %bb.31:
	v_mov_b32_e32 v19, 0
	v_or_b32_e32 v20, 0x10000, v18
	v_cmp_eq_u32_sdwa vcc, v18, v19 src0_sel:WORD_0 src1_sel:DWORD
	v_cndmask_b32_e32 v19, v20, v18, vcc
; %bb.32:
	s_or_b64 exec, exec, s[0:1]
	v_lshrrev_b32_e32 v18, 16, v19
	v_cmp_lt_u32_e32 vcc, 7, v14
	v_cndmask_b32_e32 v14, v15, v18, vcc
	v_cmp_eq_u32_e32 vcc, 15, v0
	s_and_saveexec_b64 s[0:1], vcc
	s_cbranch_execz .LBB238_34
; %bb.33:
	v_mov_b32_e32 v15, 0
	ds_write_b16 v15, v14
.LBB238_34:
	s_or_b64 exec, exec, s[0:1]
	s_load_dword s2, s[4:5], 0x8
	v_lshlrev_b32_e32 v14, 16, v14
	s_waitcnt lgkmcnt(0)
	; wave barrier
	s_waitcnt lgkmcnt(0)
                                        ; implicit-def: $vgpr18
	s_waitcnt lgkmcnt(0)
	s_lshl_b32 s0, s2, 16
	v_pk_add_f32 v[14:15], v[14:15], s[0:1] op_sel_hi:[0,1]
	s_mov_b32 s0, 0x7f800000
	v_and_b32_e32 v15, 0x7f800000, v14
	v_cmp_ne_u32_e32 vcc, s0, v15
	s_and_saveexec_b64 s[0:1], vcc
	s_xor_b64 s[0:1], exec, s[0:1]
; %bb.35:
	v_bfe_u32 v15, v14, 16, 1
	s_movk_i32 s3, 0x7fff
	v_add3_u32 v18, v14, v15, s3
                                        ; implicit-def: $vgpr14_vgpr15
; %bb.36:
	s_andn2_saveexec_b64 s[0:1], s[0:1]
; %bb.37:
	v_mov_b32_e32 v15, 0
	v_or_b32_e32 v18, 0x10000, v14
	v_cmp_eq_u32_sdwa vcc, v14, v15 src0_sel:WORD_0 src1_sel:DWORD
	v_cndmask_b32_e32 v18, v18, v14, vcc
; %bb.38:
	s_or_b64 exec, exec, s[0:1]
	v_lshrrev_b32_e32 v14, 16, v18
	v_add_u32_e32 v15, -1, v17
	v_and_b32_e32 v18, 0x70, v17
	v_cmp_lt_i32_e32 vcc, v15, v18
	v_cndmask_b32_e32 v15, v15, v17, vcc
	v_lshlrev_b32_e32 v15, 2, v15
	ds_bpermute_b32 v14, v15, v14
	v_cmp_eq_u32_e32 vcc, 0, v17
	v_cmp_eq_u32_e64 s[0:1], 0, v0
	v_mov_b32_e32 v0, s2
	s_or_b64 vcc, s[0:1], vcc
	s_waitcnt lgkmcnt(0)
	v_cndmask_b32_e32 v0, v14, v0, vcc
	v_lshlrev_b32_e32 v14, 16, v0
	v_add_f32_e32 v14, v12, v14
	s_mov_b32 s0, 0x7f800000
	v_and_b32_e32 v12, 0x7f800000, v14
	v_cmp_ne_u32_e32 vcc, s0, v12
                                        ; implicit-def: $vgpr12
	s_and_saveexec_b64 s[0:1], vcc
	s_xor_b64 s[0:1], exec, s[0:1]
; %bb.39:
	v_bfe_u32 v12, v14, 16, 1
	s_movk_i32 s2, 0x7fff
	v_add3_u32 v12, v14, v12, s2
                                        ; implicit-def: $vgpr14
; %bb.40:
	s_andn2_saveexec_b64 s[0:1], s[0:1]
; %bb.41:
	v_mov_b32_e32 v12, 0
	v_or_b32_e32 v15, 0x10000, v14
	v_cmp_eq_u32_sdwa vcc, v14, v12 src0_sel:WORD_0 src1_sel:DWORD
	v_cndmask_b32_e32 v12, v15, v14, vcc
; %bb.42:
	s_or_b64 exec, exec, s[0:1]
	v_and_b32_e32 v14, 0xffff0000, v12
	v_add_f32_e32 v14, v13, v14
	s_mov_b32 s0, 0x7f800000
	v_and_b32_e32 v13, 0x7f800000, v14
	v_cmp_ne_u32_e32 vcc, s0, v13
                                        ; implicit-def: $vgpr13
	s_and_saveexec_b64 s[0:1], vcc
	s_xor_b64 s[0:1], exec, s[0:1]
; %bb.43:
	v_bfe_u32 v13, v14, 16, 1
	s_movk_i32 s2, 0x7fff
	v_add3_u32 v13, v14, v13, s2
                                        ; implicit-def: $vgpr14
; %bb.44:
	s_andn2_saveexec_b64 s[0:1], s[0:1]
; %bb.45:
	v_mov_b32_e32 v13, 0
	v_or_b32_e32 v15, 0x10000, v14
	v_cmp_eq_u32_sdwa vcc, v14, v13 src0_sel:WORD_0 src1_sel:DWORD
	v_cndmask_b32_e32 v13, v15, v14, vcc
; %bb.46:
	s_or_b64 exec, exec, s[0:1]
	v_and_b32_e32 v14, 0xffff0000, v13
	v_add_f32_e32 v14, v14, v1
	s_mov_b32 s0, 0x7f800000
	v_and_b32_e32 v1, 0x7f800000, v14
	v_cmp_ne_u32_e32 vcc, s0, v1
                                        ; implicit-def: $vgpr1
	s_and_saveexec_b64 s[0:1], vcc
	s_xor_b64 s[0:1], exec, s[0:1]
; %bb.47:
	v_bfe_u32 v1, v14, 16, 1
	s_movk_i32 s2, 0x7fff
	v_add3_u32 v1, v14, v1, s2
                                        ; implicit-def: $vgpr14
; %bb.48:
	s_andn2_saveexec_b64 s[0:1], s[0:1]
; %bb.49:
	v_mov_b32_e32 v1, 0
	v_or_b32_e32 v15, 0x10000, v14
	v_cmp_eq_u32_sdwa vcc, v14, v1 src0_sel:WORD_0 src1_sel:DWORD
	v_cndmask_b32_e32 v1, v15, v14, vcc
; %bb.50:
	s_or_b64 exec, exec, s[0:1]
	v_and_b32_e32 v14, 0xffff0000, v1
	v_add_f32_e32 v14, v14, v16
	s_mov_b32 s0, 0x7f800000
	v_and_b32_e32 v15, 0x7f800000, v14
	v_cmp_ne_u32_e32 vcc, s0, v15
                                        ; implicit-def: $vgpr15
	s_and_saveexec_b64 s[0:1], vcc
	s_xor_b64 s[0:1], exec, s[0:1]
; %bb.51:
	v_bfe_u32 v15, v14, 16, 1
	s_movk_i32 s2, 0x7fff
	v_add3_u32 v15, v14, v15, s2
                                        ; implicit-def: $vgpr14
; %bb.52:
	s_andn2_saveexec_b64 s[0:1], s[0:1]
; %bb.53:
	v_mov_b32_e32 v15, 0
	v_or_b32_e32 v16, 0x10000, v14
	v_cmp_eq_u32_sdwa vcc, v14, v15 src0_sel:WORD_0 src1_sel:DWORD
	v_cndmask_b32_e32 v15, v16, v14, vcc
; %bb.54:
	s_or_b64 exec, exec, s[0:1]
	global_store_short v[2:3], v0, off
	global_store_short_d16_hi v[4:5], v12, off
	global_store_short_d16_hi v[10:11], v13, off
	global_store_short_d16_hi v[6:7], v1, off
	global_store_short_d16_hi v[8:9], v15, off
	s_endpgm
	.section	.rodata,"a",@progbits
	.p2align	6, 0x0
	.amdhsa_kernel _Z27exclusive_scan_array_kernelILj16ELj5ELN6hipcub18BlockScanAlgorithmE0E12hip_bfloat16EvPT2_S3_
		.amdhsa_group_segment_fixed_size 2
		.amdhsa_private_segment_fixed_size 0
		.amdhsa_kernarg_size 12
		.amdhsa_user_sgpr_count 6
		.amdhsa_user_sgpr_private_segment_buffer 1
		.amdhsa_user_sgpr_dispatch_ptr 0
		.amdhsa_user_sgpr_queue_ptr 0
		.amdhsa_user_sgpr_kernarg_segment_ptr 1
		.amdhsa_user_sgpr_dispatch_id 0
		.amdhsa_user_sgpr_flat_scratch_init 0
		.amdhsa_user_sgpr_kernarg_preload_length 0
		.amdhsa_user_sgpr_kernarg_preload_offset 0
		.amdhsa_user_sgpr_private_segment_size 0
		.amdhsa_uses_dynamic_stack 0
		.amdhsa_system_sgpr_private_segment_wavefront_offset 0
		.amdhsa_system_sgpr_workgroup_id_x 1
		.amdhsa_system_sgpr_workgroup_id_y 0
		.amdhsa_system_sgpr_workgroup_id_z 0
		.amdhsa_system_sgpr_workgroup_info 0
		.amdhsa_system_vgpr_workitem_id 0
		.amdhsa_next_free_vgpr 22
		.amdhsa_next_free_sgpr 7
		.amdhsa_accum_offset 24
		.amdhsa_reserve_vcc 1
		.amdhsa_reserve_flat_scratch 0
		.amdhsa_float_round_mode_32 0
		.amdhsa_float_round_mode_16_64 0
		.amdhsa_float_denorm_mode_32 3
		.amdhsa_float_denorm_mode_16_64 3
		.amdhsa_dx10_clamp 1
		.amdhsa_ieee_mode 1
		.amdhsa_fp16_overflow 0
		.amdhsa_tg_split 0
		.amdhsa_exception_fp_ieee_invalid_op 0
		.amdhsa_exception_fp_denorm_src 0
		.amdhsa_exception_fp_ieee_div_zero 0
		.amdhsa_exception_fp_ieee_overflow 0
		.amdhsa_exception_fp_ieee_underflow 0
		.amdhsa_exception_fp_ieee_inexact 0
		.amdhsa_exception_int_div_zero 0
	.end_amdhsa_kernel
	.section	.text._Z27exclusive_scan_array_kernelILj16ELj5ELN6hipcub18BlockScanAlgorithmE0E12hip_bfloat16EvPT2_S3_,"axG",@progbits,_Z27exclusive_scan_array_kernelILj16ELj5ELN6hipcub18BlockScanAlgorithmE0E12hip_bfloat16EvPT2_S3_,comdat
.Lfunc_end238:
	.size	_Z27exclusive_scan_array_kernelILj16ELj5ELN6hipcub18BlockScanAlgorithmE0E12hip_bfloat16EvPT2_S3_, .Lfunc_end238-_Z27exclusive_scan_array_kernelILj16ELj5ELN6hipcub18BlockScanAlgorithmE0E12hip_bfloat16EvPT2_S3_
                                        ; -- End function
	.section	.AMDGPU.csdata,"",@progbits
; Kernel info:
; codeLenInByte = 1700
; NumSgprs: 11
; NumVgprs: 22
; NumAgprs: 0
; TotalNumVgprs: 22
; ScratchSize: 0
; MemoryBound: 0
; FloatMode: 240
; IeeeMode: 1
; LDSByteSize: 2 bytes/workgroup (compile time only)
; SGPRBlocks: 1
; VGPRBlocks: 2
; NumSGPRsForWavesPerEU: 11
; NumVGPRsForWavesPerEU: 22
; AccumOffset: 24
; Occupancy: 8
; WaveLimiterHint : 0
; COMPUTE_PGM_RSRC2:SCRATCH_EN: 0
; COMPUTE_PGM_RSRC2:USER_SGPR: 6
; COMPUTE_PGM_RSRC2:TRAP_HANDLER: 0
; COMPUTE_PGM_RSRC2:TGID_X_EN: 1
; COMPUTE_PGM_RSRC2:TGID_Y_EN: 0
; COMPUTE_PGM_RSRC2:TGID_Z_EN: 0
; COMPUTE_PGM_RSRC2:TIDIG_COMP_CNT: 0
; COMPUTE_PGM_RSRC3_GFX90A:ACCUM_OFFSET: 5
; COMPUTE_PGM_RSRC3_GFX90A:TG_SPLIT: 0
	.section	.text._Z27exclusive_scan_array_kernelILj65ELj5ELN6hipcub18BlockScanAlgorithmE0E6__halfEvPT2_S3_,"axG",@progbits,_Z27exclusive_scan_array_kernelILj65ELj5ELN6hipcub18BlockScanAlgorithmE0E6__halfEvPT2_S3_,comdat
	.protected	_Z27exclusive_scan_array_kernelILj65ELj5ELN6hipcub18BlockScanAlgorithmE0E6__halfEvPT2_S3_ ; -- Begin function _Z27exclusive_scan_array_kernelILj65ELj5ELN6hipcub18BlockScanAlgorithmE0E6__halfEvPT2_S3_
	.globl	_Z27exclusive_scan_array_kernelILj65ELj5ELN6hipcub18BlockScanAlgorithmE0E6__halfEvPT2_S3_
	.p2align	8
	.type	_Z27exclusive_scan_array_kernelILj65ELj5ELN6hipcub18BlockScanAlgorithmE0E6__halfEvPT2_S3_,@function
_Z27exclusive_scan_array_kernelILj65ELj5ELN6hipcub18BlockScanAlgorithmE0E6__halfEvPT2_S3_: ; @_Z27exclusive_scan_array_kernelILj65ELj5ELN6hipcub18BlockScanAlgorithmE0E6__halfEvPT2_S3_
; %bb.0:
	s_load_dwordx2 s[0:1], s[4:5], 0x0
	s_load_dword s7, s[4:5], 0x8
	s_mulk_i32 s6, 0x41
	v_add_u32_e32 v1, s6, v0
	v_lshl_add_u32 v10, v1, 2, v1
	v_mov_b32_e32 v11, 0
	v_lshlrev_b64 v[2:3], 1, v[10:11]
	s_waitcnt lgkmcnt(0)
	v_mov_b32_e32 v1, s1
	v_add_co_u32_e32 v2, vcc, s0, v2
	v_add_u32_e32 v4, 1, v10
	v_mov_b32_e32 v5, v11
	v_addc_co_u32_e32 v3, vcc, v1, v3, vcc
	v_lshlrev_b64 v[4:5], 1, v[4:5]
	v_add_co_u32_e32 v4, vcc, s0, v4
	v_add_u32_e32 v6, 2, v10
	v_mov_b32_e32 v7, v11
	v_addc_co_u32_e32 v5, vcc, v1, v5, vcc
	v_lshlrev_b64 v[6:7], 1, v[6:7]
	;; [unrolled: 5-line block ×3, first 2 shown]
	v_add_co_u32_e32 v8, vcc, s0, v8
	v_add_u32_e32 v10, 4, v10
	v_addc_co_u32_e32 v9, vcc, v1, v9, vcc
	v_lshlrev_b64 v[10:11], 1, v[10:11]
	v_add_co_u32_e32 v10, vcc, s0, v10
	v_addc_co_u32_e32 v11, vcc, v1, v11, vcc
	global_load_ushort v1, v[2:3], off
	global_load_ushort v12, v[4:5], off
	;; [unrolled: 1-line block ×5, first 2 shown]
	v_mbcnt_lo_u32_b32 v15, -1, 0
	v_mbcnt_hi_u32_b32 v15, -1, v15
	v_cmp_gt_u32_e64 s[0:1], 64, v0
	v_and_b32_e32 v19, 15, v15
	v_cndmask_b32_e64 v18, 64, 63, s[0:1]
	v_cmp_eq_u32_e64 s[0:1], 0, v19
	v_and_b32_e32 v20, 16, v15
	v_lshrrev_b32_e32 v16, 6, v0
	v_cmp_lt_u32_e32 vcc, 63, v0
	s_waitcnt vmcnt(3)
	v_add_f16_e32 v21, v1, v12
	s_waitcnt vmcnt(2)
	v_add_f16_e32 v21, v21, v13
	s_waitcnt vmcnt(1)
	v_add_f16_e32 v21, v21, v14
	s_waitcnt vmcnt(0)
	v_add_f16_e32 v17, v21, v17
	s_nop 1
	v_mov_b32_dpp v21, v17 row_shr:1 row_mask:0xf bank_mask:0xf
	v_add_f16_e32 v21, v17, v21
	v_cndmask_b32_e64 v17, v21, v17, s[0:1]
	v_and_b32_e32 v21, 0xffff, v17
	v_cmp_lt_u32_e64 s[0:1], 1, v19
	s_nop 0
	v_mov_b32_dpp v21, v21 row_shr:2 row_mask:0xf bank_mask:0xf
	v_add_f16_e32 v21, v17, v21
	v_cndmask_b32_e64 v17, v17, v21, s[0:1]
	v_and_b32_e32 v21, 0xffff, v17
	v_cmp_lt_u32_e64 s[0:1], 3, v19
	;; [unrolled: 6-line block ×3, first 2 shown]
	s_nop 0
	v_mov_b32_dpp v21, v21 row_shr:8 row_mask:0xf bank_mask:0xf
	v_add_f16_e32 v21, v17, v21
	v_cndmask_b32_e64 v17, v17, v21, s[0:1]
	v_and_b32_e32 v19, 0xffff, v17
	v_cmp_eq_u32_e64 s[0:1], 0, v20
	s_nop 0
	v_mov_b32_dpp v19, v19 row_bcast:15 row_mask:0xf bank_mask:0xf
	v_add_f16_e32 v19, v17, v19
	v_cndmask_b32_e64 v17, v19, v17, s[0:1]
	v_and_b32_e32 v19, 0xffff, v17
	v_cmp_lt_u32_e64 s[0:1], 31, v15
	s_nop 0
	v_mov_b32_dpp v19, v19 row_bcast:31 row_mask:0xf bank_mask:0xf
	v_add_f16_e32 v19, v17, v19
	v_cndmask_b32_e64 v17, v17, v19, s[0:1]
	v_cmp_eq_u32_e64 s[0:1], v18, v0
	s_and_saveexec_b64 s[2:3], s[0:1]
	s_cbranch_execz .LBB239_2
; %bb.1:
	v_lshlrev_b32_e32 v18, 1, v16
	ds_write_b16 v18, v17
.LBB239_2:
	s_or_b64 exec, exec, s[2:3]
	v_cmp_gt_u32_e64 s[0:1], 2, v0
	s_waitcnt lgkmcnt(0)
	s_barrier
	s_and_saveexec_b64 s[2:3], s[0:1]
	s_cbranch_execz .LBB239_4
; %bb.3:
	v_lshlrev_b32_e32 v18, 1, v0
	ds_read_u16 v19, v18
	v_and_b32_e32 v20, 1, v15
	v_cmp_eq_u32_e64 s[0:1], 0, v20
	s_waitcnt lgkmcnt(0)
	v_and_b32_e32 v21, 0xffff, v19
	s_nop 1
	v_mov_b32_dpp v21, v21 row_shr:1 row_mask:0xf bank_mask:0xf
	v_add_f16_e32 v21, v19, v21
	v_cndmask_b32_e64 v19, v21, v19, s[0:1]
	ds_write_b16 v18, v19
.LBB239_4:
	s_or_b64 exec, exec, s[2:3]
	v_mov_b32_e32 v18, s7
	s_waitcnt lgkmcnt(0)
	s_barrier
	s_and_saveexec_b64 s[0:1], vcc
	s_cbranch_execz .LBB239_6
; %bb.5:
	v_lshl_add_u32 v16, v16, 1, -2
	ds_read_u16 v16, v16
	s_waitcnt lgkmcnt(0)
	v_add_f16_e32 v18, s7, v16
.LBB239_6:
	s_or_b64 exec, exec, s[0:1]
	v_add_f16_e32 v16, v17, v18
	v_add_u32_e32 v17, -1, v15
	v_and_b32_e32 v19, 64, v15
	v_cmp_lt_i32_e32 vcc, v17, v19
	v_cndmask_b32_e32 v17, v17, v15, vcc
	v_lshlrev_b32_e32 v17, 2, v17
	ds_bpermute_b32 v16, v17, v16
	v_cmp_eq_u32_e32 vcc, 0, v15
	s_waitcnt lgkmcnt(0)
	v_cndmask_b32_e32 v15, v16, v18, vcc
	v_mov_b32_e32 v16, s7
	v_cmp_eq_u32_e32 vcc, 0, v0
	v_cndmask_b32_e32 v0, v15, v16, vcc
	v_add_f16_e32 v1, v1, v0
	v_add_f16_e32 v12, v12, v1
	;; [unrolled: 1-line block ×4, first 2 shown]
	global_store_short v[2:3], v0, off
	global_store_short v[4:5], v1, off
	;; [unrolled: 1-line block ×5, first 2 shown]
	s_endpgm
	.section	.rodata,"a",@progbits
	.p2align	6, 0x0
	.amdhsa_kernel _Z27exclusive_scan_array_kernelILj65ELj5ELN6hipcub18BlockScanAlgorithmE0E6__halfEvPT2_S3_
		.amdhsa_group_segment_fixed_size 4
		.amdhsa_private_segment_fixed_size 0
		.amdhsa_kernarg_size 12
		.amdhsa_user_sgpr_count 6
		.amdhsa_user_sgpr_private_segment_buffer 1
		.amdhsa_user_sgpr_dispatch_ptr 0
		.amdhsa_user_sgpr_queue_ptr 0
		.amdhsa_user_sgpr_kernarg_segment_ptr 1
		.amdhsa_user_sgpr_dispatch_id 0
		.amdhsa_user_sgpr_flat_scratch_init 0
		.amdhsa_user_sgpr_kernarg_preload_length 0
		.amdhsa_user_sgpr_kernarg_preload_offset 0
		.amdhsa_user_sgpr_private_segment_size 0
		.amdhsa_uses_dynamic_stack 0
		.amdhsa_system_sgpr_private_segment_wavefront_offset 0
		.amdhsa_system_sgpr_workgroup_id_x 1
		.amdhsa_system_sgpr_workgroup_id_y 0
		.amdhsa_system_sgpr_workgroup_id_z 0
		.amdhsa_system_sgpr_workgroup_info 0
		.amdhsa_system_vgpr_workitem_id 0
		.amdhsa_next_free_vgpr 22
		.amdhsa_next_free_sgpr 8
		.amdhsa_accum_offset 24
		.amdhsa_reserve_vcc 1
		.amdhsa_reserve_flat_scratch 0
		.amdhsa_float_round_mode_32 0
		.amdhsa_float_round_mode_16_64 0
		.amdhsa_float_denorm_mode_32 3
		.amdhsa_float_denorm_mode_16_64 3
		.amdhsa_dx10_clamp 1
		.amdhsa_ieee_mode 1
		.amdhsa_fp16_overflow 0
		.amdhsa_tg_split 0
		.amdhsa_exception_fp_ieee_invalid_op 0
		.amdhsa_exception_fp_denorm_src 0
		.amdhsa_exception_fp_ieee_div_zero 0
		.amdhsa_exception_fp_ieee_overflow 0
		.amdhsa_exception_fp_ieee_underflow 0
		.amdhsa_exception_fp_ieee_inexact 0
		.amdhsa_exception_int_div_zero 0
	.end_amdhsa_kernel
	.section	.text._Z27exclusive_scan_array_kernelILj65ELj5ELN6hipcub18BlockScanAlgorithmE0E6__halfEvPT2_S3_,"axG",@progbits,_Z27exclusive_scan_array_kernelILj65ELj5ELN6hipcub18BlockScanAlgorithmE0E6__halfEvPT2_S3_,comdat
.Lfunc_end239:
	.size	_Z27exclusive_scan_array_kernelILj65ELj5ELN6hipcub18BlockScanAlgorithmE0E6__halfEvPT2_S3_, .Lfunc_end239-_Z27exclusive_scan_array_kernelILj65ELj5ELN6hipcub18BlockScanAlgorithmE0E6__halfEvPT2_S3_
                                        ; -- End function
	.section	.AMDGPU.csdata,"",@progbits
; Kernel info:
; codeLenInByte = 796
; NumSgprs: 12
; NumVgprs: 22
; NumAgprs: 0
; TotalNumVgprs: 22
; ScratchSize: 0
; MemoryBound: 0
; FloatMode: 240
; IeeeMode: 1
; LDSByteSize: 4 bytes/workgroup (compile time only)
; SGPRBlocks: 1
; VGPRBlocks: 2
; NumSGPRsForWavesPerEU: 12
; NumVGPRsForWavesPerEU: 22
; AccumOffset: 24
; Occupancy: 8
; WaveLimiterHint : 0
; COMPUTE_PGM_RSRC2:SCRATCH_EN: 0
; COMPUTE_PGM_RSRC2:USER_SGPR: 6
; COMPUTE_PGM_RSRC2:TRAP_HANDLER: 0
; COMPUTE_PGM_RSRC2:TGID_X_EN: 1
; COMPUTE_PGM_RSRC2:TGID_Y_EN: 0
; COMPUTE_PGM_RSRC2:TGID_Z_EN: 0
; COMPUTE_PGM_RSRC2:TIDIG_COMP_CNT: 0
; COMPUTE_PGM_RSRC3_GFX90A:ACCUM_OFFSET: 5
; COMPUTE_PGM_RSRC3_GFX90A:TG_SPLIT: 0
	.section	.text._Z27exclusive_scan_array_kernelILj255ELj15ELN6hipcub18BlockScanAlgorithmE0EfEvPT2_S2_,"axG",@progbits,_Z27exclusive_scan_array_kernelILj255ELj15ELN6hipcub18BlockScanAlgorithmE0EfEvPT2_S2_,comdat
	.protected	_Z27exclusive_scan_array_kernelILj255ELj15ELN6hipcub18BlockScanAlgorithmE0EfEvPT2_S2_ ; -- Begin function _Z27exclusive_scan_array_kernelILj255ELj15ELN6hipcub18BlockScanAlgorithmE0EfEvPT2_S2_
	.globl	_Z27exclusive_scan_array_kernelILj255ELj15ELN6hipcub18BlockScanAlgorithmE0EfEvPT2_S2_
	.p2align	8
	.type	_Z27exclusive_scan_array_kernelILj255ELj15ELN6hipcub18BlockScanAlgorithmE0EfEvPT2_S2_,@function
_Z27exclusive_scan_array_kernelILj255ELj15ELN6hipcub18BlockScanAlgorithmE0EfEvPT2_S2_: ; @_Z27exclusive_scan_array_kernelILj255ELj15ELN6hipcub18BlockScanAlgorithmE0EfEvPT2_S2_
; %bb.0:
	s_load_dwordx2 s[0:1], s[4:5], 0x0
	s_mulk_i32 s6, 0xff
	v_add_u32_e32 v1, s6, v0
	v_mul_lo_u32 v30, v1, 15
	v_mov_b32_e32 v31, 0
	v_lshlrev_b64 v[2:3], 2, v[30:31]
	s_waitcnt lgkmcnt(0)
	v_mov_b32_e32 v39, s1
	v_add_co_u32_e32 v2, vcc, s0, v2
	v_add_u32_e32 v4, 1, v30
	v_mov_b32_e32 v5, v31
	v_addc_co_u32_e32 v3, vcc, v39, v3, vcc
	v_lshlrev_b64 v[4:5], 2, v[4:5]
	v_add_co_u32_e32 v4, vcc, s0, v4
	v_add_u32_e32 v6, 2, v30
	v_mov_b32_e32 v7, v31
	v_addc_co_u32_e32 v5, vcc, v39, v5, vcc
	v_lshlrev_b64 v[6:7], 2, v[6:7]
	;; [unrolled: 5-line block ×11, first 2 shown]
	global_load_dword v1, v[2:3], off
	global_load_dword v32, v[4:5], off
	;; [unrolled: 1-line block ×8, first 2 shown]
	v_add_co_u32_e32 v24, vcc, s0, v24
	v_add_u32_e32 v26, 12, v30
	v_mov_b32_e32 v27, v31
	v_addc_co_u32_e32 v25, vcc, v39, v25, vcc
	v_lshlrev_b64 v[26:27], 2, v[26:27]
	v_add_co_u32_e32 v26, vcc, s0, v26
	v_add_u32_e32 v28, 13, v30
	v_mov_b32_e32 v29, v31
	v_addc_co_u32_e32 v27, vcc, v39, v27, vcc
	v_lshlrev_b64 v[28:29], 2, v[28:29]
	v_add_co_u32_e32 v28, vcc, s0, v28
	v_add_u32_e32 v30, 14, v30
	v_addc_co_u32_e32 v29, vcc, v39, v29, vcc
	v_lshlrev_b64 v[30:31], 2, v[30:31]
	v_add_co_u32_e32 v30, vcc, s0, v30
	v_addc_co_u32_e32 v31, vcc, v39, v31, vcc
	global_load_dword v39, v[18:19], off
	global_load_dword v40, v[20:21], off
	;; [unrolled: 1-line block ×7, first 2 shown]
	s_waitcnt vmcnt(13)
	v_add_f32_e32 v46, v1, v32
	s_waitcnt vmcnt(12)
	v_add_f32_e32 v46, v33, v46
	;; [unrolled: 2-line block ×14, first 2 shown]
	v_mbcnt_lo_u32_b32 v45, -1, 0
	v_mbcnt_hi_u32_b32 v45, -1, v45
	v_and_b32_e32 v47, 15, v45
	v_mov_b32_dpp v48, v46 row_shr:1 row_mask:0xf bank_mask:0xf
	v_add_f32_e32 v48, v46, v48
	v_cmp_eq_u32_e32 vcc, 0, v47
	v_cndmask_b32_e32 v46, v48, v46, vcc
	v_cmp_lt_u32_e32 vcc, 1, v47
	s_nop 0
	v_mov_b32_dpp v48, v46 row_shr:2 row_mask:0xf bank_mask:0xf
	v_add_f32_e32 v48, v46, v48
	v_cndmask_b32_e32 v46, v46, v48, vcc
	v_cmp_lt_u32_e32 vcc, 3, v47
	s_nop 0
	v_mov_b32_dpp v48, v46 row_shr:4 row_mask:0xf bank_mask:0xf
	v_add_f32_e32 v48, v46, v48
	;; [unrolled: 5-line block ×3, first 2 shown]
	v_cndmask_b32_e32 v46, v46, v48, vcc
	v_and_b32_e32 v48, 16, v45
	v_cmp_eq_u32_e32 vcc, 0, v48
	v_mov_b32_dpp v47, v46 row_bcast:15 row_mask:0xf bank_mask:0xf
	v_add_f32_e32 v47, v46, v47
	v_cndmask_b32_e32 v46, v47, v46, vcc
	v_and_b32_e32 v48, 0xc0, v0
	v_min_u32_e32 v48, 0xbf, v48
	v_mov_b32_dpp v47, v46 row_bcast:31 row_mask:0xf bank_mask:0xf
	v_add_f32_e32 v47, v46, v47
	v_cmp_lt_u32_e32 vcc, 31, v45
	v_add_u32_e32 v48, 63, v48
	v_cndmask_b32_e32 v46, v46, v47, vcc
	v_lshrrev_b32_e32 v47, 6, v0
	v_cmp_eq_u32_e32 vcc, v48, v0
	s_and_saveexec_b64 s[0:1], vcc
	s_cbranch_execz .LBB240_2
; %bb.1:
	v_lshlrev_b32_e32 v48, 2, v47
	ds_write_b32 v48, v46
.LBB240_2:
	s_or_b64 exec, exec, s[0:1]
	v_cmp_gt_u32_e32 vcc, 4, v0
	s_waitcnt lgkmcnt(0)
	s_barrier
	s_and_saveexec_b64 s[0:1], vcc
	s_cbranch_execz .LBB240_4
; %bb.3:
	v_lshlrev_b32_e32 v48, 2, v0
	ds_read_b32 v49, v48
	v_and_b32_e32 v50, 3, v45
	v_cmp_eq_u32_e32 vcc, 0, v50
	s_waitcnt lgkmcnt(0)
	v_mov_b32_dpp v51, v49 row_shr:1 row_mask:0xf bank_mask:0xf
	v_add_f32_e32 v51, v49, v51
	v_cndmask_b32_e32 v49, v51, v49, vcc
	v_cmp_lt_u32_e32 vcc, 1, v50
	s_nop 0
	v_mov_b32_dpp v51, v49 row_shr:2 row_mask:0xf bank_mask:0xf
	v_add_f32_e32 v51, v49, v51
	v_cndmask_b32_e32 v49, v49, v51, vcc
	ds_write_b32 v48, v49
.LBB240_4:
	s_or_b64 exec, exec, s[0:1]
	s_load_dword s2, s[4:5], 0x8
	v_cmp_lt_u32_e32 vcc, 63, v0
	s_waitcnt lgkmcnt(0)
	s_barrier
	v_mov_b32_e32 v48, s2
	s_and_saveexec_b64 s[0:1], vcc
	s_cbranch_execz .LBB240_6
; %bb.5:
	v_lshl_add_u32 v47, v47, 2, -4
	ds_read_b32 v47, v47
	s_waitcnt lgkmcnt(0)
	v_add_f32_e32 v48, s2, v47
.LBB240_6:
	s_or_b64 exec, exec, s[0:1]
	v_add_u32_e32 v47, -1, v45
	v_and_b32_e32 v49, 64, v45
	v_cmp_lt_i32_e32 vcc, v47, v49
	v_cndmask_b32_e32 v47, v47, v45, vcc
	v_add_f32_e32 v46, v46, v48
	v_lshlrev_b32_e32 v47, 2, v47
	ds_bpermute_b32 v46, v47, v46
	v_cmp_eq_u32_e32 vcc, 0, v45
	s_waitcnt lgkmcnt(0)
	v_cndmask_b32_e32 v45, v46, v48, vcc
	v_mov_b32_e32 v46, s2
	v_cmp_eq_u32_e32 vcc, 0, v0
	v_cndmask_b32_e32 v0, v45, v46, vcc
	v_add_f32_e32 v1, v1, v0
	v_add_f32_e32 v32, v32, v1
	;; [unrolled: 1-line block ×14, first 2 shown]
	global_store_dword v[2:3], v0, off
	global_store_dword v[4:5], v1, off
	;; [unrolled: 1-line block ×15, first 2 shown]
	s_endpgm
	.section	.rodata,"a",@progbits
	.p2align	6, 0x0
	.amdhsa_kernel _Z27exclusive_scan_array_kernelILj255ELj15ELN6hipcub18BlockScanAlgorithmE0EfEvPT2_S2_
		.amdhsa_group_segment_fixed_size 16
		.amdhsa_private_segment_fixed_size 0
		.amdhsa_kernarg_size 12
		.amdhsa_user_sgpr_count 6
		.amdhsa_user_sgpr_private_segment_buffer 1
		.amdhsa_user_sgpr_dispatch_ptr 0
		.amdhsa_user_sgpr_queue_ptr 0
		.amdhsa_user_sgpr_kernarg_segment_ptr 1
		.amdhsa_user_sgpr_dispatch_id 0
		.amdhsa_user_sgpr_flat_scratch_init 0
		.amdhsa_user_sgpr_kernarg_preload_length 0
		.amdhsa_user_sgpr_kernarg_preload_offset 0
		.amdhsa_user_sgpr_private_segment_size 0
		.amdhsa_uses_dynamic_stack 0
		.amdhsa_system_sgpr_private_segment_wavefront_offset 0
		.amdhsa_system_sgpr_workgroup_id_x 1
		.amdhsa_system_sgpr_workgroup_id_y 0
		.amdhsa_system_sgpr_workgroup_id_z 0
		.amdhsa_system_sgpr_workgroup_info 0
		.amdhsa_system_vgpr_workitem_id 0
		.amdhsa_next_free_vgpr 52
		.amdhsa_next_free_sgpr 7
		.amdhsa_accum_offset 52
		.amdhsa_reserve_vcc 1
		.amdhsa_reserve_flat_scratch 0
		.amdhsa_float_round_mode_32 0
		.amdhsa_float_round_mode_16_64 0
		.amdhsa_float_denorm_mode_32 3
		.amdhsa_float_denorm_mode_16_64 3
		.amdhsa_dx10_clamp 1
		.amdhsa_ieee_mode 1
		.amdhsa_fp16_overflow 0
		.amdhsa_tg_split 0
		.amdhsa_exception_fp_ieee_invalid_op 0
		.amdhsa_exception_fp_denorm_src 0
		.amdhsa_exception_fp_ieee_div_zero 0
		.amdhsa_exception_fp_ieee_overflow 0
		.amdhsa_exception_fp_ieee_underflow 0
		.amdhsa_exception_fp_ieee_inexact 0
		.amdhsa_exception_int_div_zero 0
	.end_amdhsa_kernel
	.section	.text._Z27exclusive_scan_array_kernelILj255ELj15ELN6hipcub18BlockScanAlgorithmE0EfEvPT2_S2_,"axG",@progbits,_Z27exclusive_scan_array_kernelILj255ELj15ELN6hipcub18BlockScanAlgorithmE0EfEvPT2_S2_,comdat
.Lfunc_end240:
	.size	_Z27exclusive_scan_array_kernelILj255ELj15ELN6hipcub18BlockScanAlgorithmE0EfEvPT2_S2_, .Lfunc_end240-_Z27exclusive_scan_array_kernelILj255ELj15ELN6hipcub18BlockScanAlgorithmE0EfEvPT2_S2_
                                        ; -- End function
	.section	.AMDGPU.csdata,"",@progbits
; Kernel info:
; codeLenInByte = 1216
; NumSgprs: 11
; NumVgprs: 52
; NumAgprs: 0
; TotalNumVgprs: 52
; ScratchSize: 0
; MemoryBound: 0
; FloatMode: 240
; IeeeMode: 1
; LDSByteSize: 16 bytes/workgroup (compile time only)
; SGPRBlocks: 1
; VGPRBlocks: 6
; NumSGPRsForWavesPerEU: 11
; NumVGPRsForWavesPerEU: 52
; AccumOffset: 52
; Occupancy: 8
; WaveLimiterHint : 0
; COMPUTE_PGM_RSRC2:SCRATCH_EN: 0
; COMPUTE_PGM_RSRC2:USER_SGPR: 6
; COMPUTE_PGM_RSRC2:TRAP_HANDLER: 0
; COMPUTE_PGM_RSRC2:TGID_X_EN: 1
; COMPUTE_PGM_RSRC2:TGID_Y_EN: 0
; COMPUTE_PGM_RSRC2:TGID_Z_EN: 0
; COMPUTE_PGM_RSRC2:TIDIG_COMP_CNT: 0
; COMPUTE_PGM_RSRC3_GFX90A:ACCUM_OFFSET: 12
; COMPUTE_PGM_RSRC3_GFX90A:TG_SPLIT: 0
	.section	.text._Z27exclusive_scan_array_kernelILj162ELj7ELN6hipcub18BlockScanAlgorithmE0EfEvPT2_S2_,"axG",@progbits,_Z27exclusive_scan_array_kernelILj162ELj7ELN6hipcub18BlockScanAlgorithmE0EfEvPT2_S2_,comdat
	.protected	_Z27exclusive_scan_array_kernelILj162ELj7ELN6hipcub18BlockScanAlgorithmE0EfEvPT2_S2_ ; -- Begin function _Z27exclusive_scan_array_kernelILj162ELj7ELN6hipcub18BlockScanAlgorithmE0EfEvPT2_S2_
	.globl	_Z27exclusive_scan_array_kernelILj162ELj7ELN6hipcub18BlockScanAlgorithmE0EfEvPT2_S2_
	.p2align	8
	.type	_Z27exclusive_scan_array_kernelILj162ELj7ELN6hipcub18BlockScanAlgorithmE0EfEvPT2_S2_,@function
_Z27exclusive_scan_array_kernelILj162ELj7ELN6hipcub18BlockScanAlgorithmE0EfEvPT2_S2_: ; @_Z27exclusive_scan_array_kernelILj162ELj7ELN6hipcub18BlockScanAlgorithmE0EfEvPT2_S2_
; %bb.0:
	s_load_dwordx2 s[0:1], s[4:5], 0x0
	s_mulk_i32 s6, 0xa2
	v_add_u32_e32 v1, s6, v0
	v_mul_lo_u32 v14, v1, 7
	v_mov_b32_e32 v15, 0
	v_lshlrev_b64 v[2:3], 2, v[14:15]
	s_waitcnt lgkmcnt(0)
	v_mov_b32_e32 v1, s1
	v_add_co_u32_e32 v2, vcc, s0, v2
	v_add_u32_e32 v4, 1, v14
	v_mov_b32_e32 v5, v15
	v_addc_co_u32_e32 v3, vcc, v1, v3, vcc
	v_lshlrev_b64 v[4:5], 2, v[4:5]
	v_add_co_u32_e32 v4, vcc, s0, v4
	v_add_u32_e32 v6, 2, v14
	v_mov_b32_e32 v7, v15
	v_addc_co_u32_e32 v5, vcc, v1, v5, vcc
	v_lshlrev_b64 v[6:7], 2, v[6:7]
	v_add_co_u32_e32 v6, vcc, s0, v6
	v_add_u32_e32 v8, 3, v14
	v_mov_b32_e32 v9, v15
	v_addc_co_u32_e32 v7, vcc, v1, v7, vcc
	v_lshlrev_b64 v[8:9], 2, v[8:9]
	v_add_co_u32_e32 v8, vcc, s0, v8
	v_add_u32_e32 v10, 4, v14
	v_mov_b32_e32 v11, v15
	v_addc_co_u32_e32 v9, vcc, v1, v9, vcc
	v_lshlrev_b64 v[10:11], 2, v[10:11]
	v_add_co_u32_e32 v10, vcc, s0, v10
	v_add_u32_e32 v12, 5, v14
	v_mov_b32_e32 v13, v15
	v_addc_co_u32_e32 v11, vcc, v1, v11, vcc
	v_lshlrev_b64 v[12:13], 2, v[12:13]
	v_add_co_u32_e32 v12, vcc, s0, v12
	v_add_u32_e32 v14, 6, v14
	v_addc_co_u32_e32 v13, vcc, v1, v13, vcc
	v_lshlrev_b64 v[14:15], 2, v[14:15]
	v_add_co_u32_e32 v14, vcc, s0, v14
	v_addc_co_u32_e32 v15, vcc, v1, v15, vcc
	global_load_dword v1, v[2:3], off
	global_load_dword v16, v[4:5], off
	;; [unrolled: 1-line block ×7, first 2 shown]
	v_mbcnt_lo_u32_b32 v21, -1, 0
	v_mbcnt_hi_u32_b32 v21, -1, v21
	v_and_b32_e32 v25, 15, v21
	v_cmp_eq_u32_e32 vcc, 0, v25
	v_and_b32_e32 v26, 16, v21
	v_and_b32_e32 v24, 0xc0, v0
	v_min_u32_e32 v24, 0x62, v24
	v_add_u32_e32 v24, 63, v24
	v_lshrrev_b32_e32 v22, 6, v0
	s_waitcnt vmcnt(5)
	v_add_f32_e32 v27, v1, v16
	s_waitcnt vmcnt(4)
	v_add_f32_e32 v27, v17, v27
	;; [unrolled: 2-line block ×6, first 2 shown]
	s_nop 1
	v_mov_b32_dpp v27, v23 row_shr:1 row_mask:0xf bank_mask:0xf
	v_add_f32_e32 v27, v23, v27
	v_cndmask_b32_e32 v23, v27, v23, vcc
	v_cmp_lt_u32_e32 vcc, 1, v25
	s_nop 0
	v_mov_b32_dpp v27, v23 row_shr:2 row_mask:0xf bank_mask:0xf
	v_add_f32_e32 v27, v23, v27
	v_cndmask_b32_e32 v23, v23, v27, vcc
	v_cmp_lt_u32_e32 vcc, 3, v25
	;; [unrolled: 5-line block ×3, first 2 shown]
	s_nop 0
	v_mov_b32_dpp v27, v23 row_shr:8 row_mask:0xf bank_mask:0xf
	v_add_f32_e32 v27, v23, v27
	v_cndmask_b32_e32 v23, v23, v27, vcc
	v_cmp_eq_u32_e32 vcc, 0, v26
	s_nop 0
	v_mov_b32_dpp v25, v23 row_bcast:15 row_mask:0xf bank_mask:0xf
	v_add_f32_e32 v25, v23, v25
	v_cndmask_b32_e32 v23, v25, v23, vcc
	v_cmp_lt_u32_e32 vcc, 31, v21
	s_nop 0
	v_mov_b32_dpp v25, v23 row_bcast:31 row_mask:0xf bank_mask:0xf
	v_add_f32_e32 v25, v23, v25
	v_cndmask_b32_e32 v23, v23, v25, vcc
	v_cmp_eq_u32_e32 vcc, v24, v0
	s_and_saveexec_b64 s[0:1], vcc
	s_cbranch_execz .LBB241_2
; %bb.1:
	v_lshlrev_b32_e32 v24, 2, v22
	ds_write_b32 v24, v23
.LBB241_2:
	s_or_b64 exec, exec, s[0:1]
	v_cmp_gt_u32_e32 vcc, 3, v0
	s_waitcnt lgkmcnt(0)
	s_barrier
	s_and_saveexec_b64 s[0:1], vcc
	s_cbranch_execz .LBB241_4
; %bb.3:
	v_lshlrev_b32_e32 v24, 2, v0
	ds_read_b32 v25, v24
	v_and_b32_e32 v26, 3, v21
	v_cmp_eq_u32_e32 vcc, 0, v26
	s_waitcnt lgkmcnt(0)
	v_mov_b32_dpp v27, v25 row_shr:1 row_mask:0xf bank_mask:0xf
	v_add_f32_e32 v27, v25, v27
	v_cndmask_b32_e32 v25, v27, v25, vcc
	v_cmp_lt_u32_e32 vcc, 1, v26
	s_nop 0
	v_mov_b32_dpp v27, v25 row_shr:2 row_mask:0xf bank_mask:0xf
	v_add_f32_e32 v27, v25, v27
	v_cndmask_b32_e32 v25, v25, v27, vcc
	ds_write_b32 v24, v25
.LBB241_4:
	s_or_b64 exec, exec, s[0:1]
	s_load_dword s2, s[4:5], 0x8
	v_cmp_lt_u32_e32 vcc, 63, v0
	s_waitcnt lgkmcnt(0)
	s_barrier
	v_mov_b32_e32 v24, s2
	s_and_saveexec_b64 s[0:1], vcc
	s_cbranch_execz .LBB241_6
; %bb.5:
	v_lshl_add_u32 v22, v22, 2, -4
	ds_read_b32 v22, v22
	s_waitcnt lgkmcnt(0)
	v_add_f32_e32 v24, s2, v22
.LBB241_6:
	s_or_b64 exec, exec, s[0:1]
	v_add_f32_e32 v22, v23, v24
	v_add_u32_e32 v23, -1, v21
	v_and_b32_e32 v25, 64, v21
	v_cmp_lt_i32_e32 vcc, v23, v25
	v_cndmask_b32_e32 v23, v23, v21, vcc
	v_lshlrev_b32_e32 v23, 2, v23
	ds_bpermute_b32 v22, v23, v22
	v_cmp_eq_u32_e32 vcc, 0, v21
	s_waitcnt lgkmcnt(0)
	v_cndmask_b32_e32 v21, v22, v24, vcc
	v_mov_b32_e32 v22, s2
	v_cmp_eq_u32_e32 vcc, 0, v0
	v_cndmask_b32_e32 v0, v21, v22, vcc
	v_add_f32_e32 v1, v1, v0
	v_add_f32_e32 v16, v16, v1
	;; [unrolled: 1-line block ×6, first 2 shown]
	global_store_dword v[2:3], v0, off
	global_store_dword v[4:5], v1, off
	;; [unrolled: 1-line block ×7, first 2 shown]
	s_endpgm
	.section	.rodata,"a",@progbits
	.p2align	6, 0x0
	.amdhsa_kernel _Z27exclusive_scan_array_kernelILj162ELj7ELN6hipcub18BlockScanAlgorithmE0EfEvPT2_S2_
		.amdhsa_group_segment_fixed_size 12
		.amdhsa_private_segment_fixed_size 0
		.amdhsa_kernarg_size 12
		.amdhsa_user_sgpr_count 6
		.amdhsa_user_sgpr_private_segment_buffer 1
		.amdhsa_user_sgpr_dispatch_ptr 0
		.amdhsa_user_sgpr_queue_ptr 0
		.amdhsa_user_sgpr_kernarg_segment_ptr 1
		.amdhsa_user_sgpr_dispatch_id 0
		.amdhsa_user_sgpr_flat_scratch_init 0
		.amdhsa_user_sgpr_kernarg_preload_length 0
		.amdhsa_user_sgpr_kernarg_preload_offset 0
		.amdhsa_user_sgpr_private_segment_size 0
		.amdhsa_uses_dynamic_stack 0
		.amdhsa_system_sgpr_private_segment_wavefront_offset 0
		.amdhsa_system_sgpr_workgroup_id_x 1
		.amdhsa_system_sgpr_workgroup_id_y 0
		.amdhsa_system_sgpr_workgroup_id_z 0
		.amdhsa_system_sgpr_workgroup_info 0
		.amdhsa_system_vgpr_workitem_id 0
		.amdhsa_next_free_vgpr 28
		.amdhsa_next_free_sgpr 7
		.amdhsa_accum_offset 28
		.amdhsa_reserve_vcc 1
		.amdhsa_reserve_flat_scratch 0
		.amdhsa_float_round_mode_32 0
		.amdhsa_float_round_mode_16_64 0
		.amdhsa_float_denorm_mode_32 3
		.amdhsa_float_denorm_mode_16_64 3
		.amdhsa_dx10_clamp 1
		.amdhsa_ieee_mode 1
		.amdhsa_fp16_overflow 0
		.amdhsa_tg_split 0
		.amdhsa_exception_fp_ieee_invalid_op 0
		.amdhsa_exception_fp_denorm_src 0
		.amdhsa_exception_fp_ieee_div_zero 0
		.amdhsa_exception_fp_ieee_overflow 0
		.amdhsa_exception_fp_ieee_underflow 0
		.amdhsa_exception_fp_ieee_inexact 0
		.amdhsa_exception_int_div_zero 0
	.end_amdhsa_kernel
	.section	.text._Z27exclusive_scan_array_kernelILj162ELj7ELN6hipcub18BlockScanAlgorithmE0EfEvPT2_S2_,"axG",@progbits,_Z27exclusive_scan_array_kernelILj162ELj7ELN6hipcub18BlockScanAlgorithmE0EfEvPT2_S2_,comdat
.Lfunc_end241:
	.size	_Z27exclusive_scan_array_kernelILj162ELj7ELN6hipcub18BlockScanAlgorithmE0EfEvPT2_S2_, .Lfunc_end241-_Z27exclusive_scan_array_kernelILj162ELj7ELN6hipcub18BlockScanAlgorithmE0EfEvPT2_S2_
                                        ; -- End function
	.section	.AMDGPU.csdata,"",@progbits
; Kernel info:
; codeLenInByte = 812
; NumSgprs: 11
; NumVgprs: 28
; NumAgprs: 0
; TotalNumVgprs: 28
; ScratchSize: 0
; MemoryBound: 0
; FloatMode: 240
; IeeeMode: 1
; LDSByteSize: 12 bytes/workgroup (compile time only)
; SGPRBlocks: 1
; VGPRBlocks: 3
; NumSGPRsForWavesPerEU: 11
; NumVGPRsForWavesPerEU: 28
; AccumOffset: 28
; Occupancy: 8
; WaveLimiterHint : 0
; COMPUTE_PGM_RSRC2:SCRATCH_EN: 0
; COMPUTE_PGM_RSRC2:USER_SGPR: 6
; COMPUTE_PGM_RSRC2:TRAP_HANDLER: 0
; COMPUTE_PGM_RSRC2:TGID_X_EN: 1
; COMPUTE_PGM_RSRC2:TGID_Y_EN: 0
; COMPUTE_PGM_RSRC2:TGID_Z_EN: 0
; COMPUTE_PGM_RSRC2:TIDIG_COMP_CNT: 0
; COMPUTE_PGM_RSRC3_GFX90A:ACCUM_OFFSET: 6
; COMPUTE_PGM_RSRC3_GFX90A:TG_SPLIT: 0
	.section	.text._Z27exclusive_scan_array_kernelILj65ELj5ELN6hipcub18BlockScanAlgorithmE0EfEvPT2_S2_,"axG",@progbits,_Z27exclusive_scan_array_kernelILj65ELj5ELN6hipcub18BlockScanAlgorithmE0EfEvPT2_S2_,comdat
	.protected	_Z27exclusive_scan_array_kernelILj65ELj5ELN6hipcub18BlockScanAlgorithmE0EfEvPT2_S2_ ; -- Begin function _Z27exclusive_scan_array_kernelILj65ELj5ELN6hipcub18BlockScanAlgorithmE0EfEvPT2_S2_
	.globl	_Z27exclusive_scan_array_kernelILj65ELj5ELN6hipcub18BlockScanAlgorithmE0EfEvPT2_S2_
	.p2align	8
	.type	_Z27exclusive_scan_array_kernelILj65ELj5ELN6hipcub18BlockScanAlgorithmE0EfEvPT2_S2_,@function
_Z27exclusive_scan_array_kernelILj65ELj5ELN6hipcub18BlockScanAlgorithmE0EfEvPT2_S2_: ; @_Z27exclusive_scan_array_kernelILj65ELj5ELN6hipcub18BlockScanAlgorithmE0EfEvPT2_S2_
; %bb.0:
	s_load_dwordx2 s[0:1], s[4:5], 0x0
	s_mulk_i32 s6, 0x41
	v_add_u32_e32 v1, s6, v0
	v_lshl_add_u32 v10, v1, 2, v1
	v_mov_b32_e32 v11, 0
	v_lshlrev_b64 v[2:3], 2, v[10:11]
	s_waitcnt lgkmcnt(0)
	v_mov_b32_e32 v1, s1
	v_add_co_u32_e32 v2, vcc, s0, v2
	v_add_u32_e32 v4, 1, v10
	v_mov_b32_e32 v5, v11
	v_addc_co_u32_e32 v3, vcc, v1, v3, vcc
	v_lshlrev_b64 v[4:5], 2, v[4:5]
	v_add_co_u32_e32 v4, vcc, s0, v4
	v_add_u32_e32 v6, 2, v10
	v_mov_b32_e32 v7, v11
	v_addc_co_u32_e32 v5, vcc, v1, v5, vcc
	v_lshlrev_b64 v[6:7], 2, v[6:7]
	;; [unrolled: 5-line block ×3, first 2 shown]
	v_add_co_u32_e32 v8, vcc, s0, v8
	v_add_u32_e32 v10, 4, v10
	v_addc_co_u32_e32 v9, vcc, v1, v9, vcc
	v_lshlrev_b64 v[10:11], 2, v[10:11]
	v_add_co_u32_e32 v10, vcc, s0, v10
	v_addc_co_u32_e32 v11, vcc, v1, v11, vcc
	global_load_dword v1, v[2:3], off
	global_load_dword v12, v[4:5], off
	;; [unrolled: 1-line block ×5, first 2 shown]
	v_mbcnt_lo_u32_b32 v15, -1, 0
	v_mbcnt_hi_u32_b32 v15, -1, v15
	v_cmp_gt_u32_e64 s[0:1], 64, v0
	v_and_b32_e32 v19, 15, v15
	v_cndmask_b32_e64 v18, 64, 63, s[0:1]
	v_cmp_eq_u32_e64 s[0:1], 0, v19
	v_and_b32_e32 v20, 16, v15
	v_lshrrev_b32_e32 v16, 6, v0
	v_cmp_lt_u32_e32 vcc, 63, v0
	s_waitcnt vmcnt(3)
	v_add_f32_e32 v21, v1, v12
	s_waitcnt vmcnt(2)
	v_add_f32_e32 v21, v13, v21
	;; [unrolled: 2-line block ×4, first 2 shown]
	s_nop 1
	v_mov_b32_dpp v21, v17 row_shr:1 row_mask:0xf bank_mask:0xf
	v_add_f32_e32 v21, v17, v21
	v_cndmask_b32_e64 v17, v21, v17, s[0:1]
	v_cmp_lt_u32_e64 s[0:1], 1, v19
	s_nop 0
	v_mov_b32_dpp v21, v17 row_shr:2 row_mask:0xf bank_mask:0xf
	v_add_f32_e32 v21, v17, v21
	v_cndmask_b32_e64 v17, v17, v21, s[0:1]
	v_cmp_lt_u32_e64 s[0:1], 3, v19
	;; [unrolled: 5-line block ×3, first 2 shown]
	s_nop 0
	v_mov_b32_dpp v21, v17 row_shr:8 row_mask:0xf bank_mask:0xf
	v_add_f32_e32 v21, v17, v21
	v_cndmask_b32_e64 v17, v17, v21, s[0:1]
	v_cmp_eq_u32_e64 s[0:1], 0, v20
	s_nop 0
	v_mov_b32_dpp v19, v17 row_bcast:15 row_mask:0xf bank_mask:0xf
	v_add_f32_e32 v19, v17, v19
	v_cndmask_b32_e64 v17, v19, v17, s[0:1]
	v_cmp_lt_u32_e64 s[0:1], 31, v15
	s_nop 0
	v_mov_b32_dpp v19, v17 row_bcast:31 row_mask:0xf bank_mask:0xf
	v_add_f32_e32 v19, v17, v19
	v_cndmask_b32_e64 v17, v17, v19, s[0:1]
	v_cmp_eq_u32_e64 s[0:1], v18, v0
	s_and_saveexec_b64 s[2:3], s[0:1]
	s_cbranch_execz .LBB242_2
; %bb.1:
	v_lshlrev_b32_e32 v18, 2, v16
	ds_write_b32 v18, v17
.LBB242_2:
	s_or_b64 exec, exec, s[2:3]
	v_cmp_gt_u32_e64 s[0:1], 2, v0
	s_waitcnt lgkmcnt(0)
	s_barrier
	s_and_saveexec_b64 s[2:3], s[0:1]
	s_cbranch_execz .LBB242_4
; %bb.3:
	v_lshlrev_b32_e32 v18, 2, v0
	ds_read_b32 v19, v18
	v_and_b32_e32 v20, 1, v15
	v_cmp_eq_u32_e64 s[0:1], 0, v20
	s_waitcnt lgkmcnt(0)
	v_mov_b32_dpp v21, v19 row_shr:1 row_mask:0xf bank_mask:0xf
	v_add_f32_e32 v21, v19, v21
	v_cndmask_b32_e64 v19, v21, v19, s[0:1]
	ds_write_b32 v18, v19
.LBB242_4:
	s_or_b64 exec, exec, s[2:3]
	s_load_dword s2, s[4:5], 0x8
	s_waitcnt lgkmcnt(0)
	s_barrier
	v_mov_b32_e32 v18, s2
	s_and_saveexec_b64 s[0:1], vcc
	s_cbranch_execz .LBB242_6
; %bb.5:
	v_lshl_add_u32 v16, v16, 2, -4
	ds_read_b32 v16, v16
	s_waitcnt lgkmcnt(0)
	v_add_f32_e32 v18, s2, v16
.LBB242_6:
	s_or_b64 exec, exec, s[0:1]
	v_add_f32_e32 v16, v17, v18
	v_add_u32_e32 v17, -1, v15
	v_and_b32_e32 v19, 64, v15
	v_cmp_lt_i32_e32 vcc, v17, v19
	v_cndmask_b32_e32 v17, v17, v15, vcc
	v_lshlrev_b32_e32 v17, 2, v17
	ds_bpermute_b32 v16, v17, v16
	v_cmp_eq_u32_e32 vcc, 0, v15
	s_waitcnt lgkmcnt(0)
	v_cndmask_b32_e32 v15, v16, v18, vcc
	v_mov_b32_e32 v16, s2
	v_cmp_eq_u32_e32 vcc, 0, v0
	v_cndmask_b32_e32 v0, v15, v16, vcc
	v_add_f32_e32 v1, v1, v0
	v_add_f32_e32 v12, v12, v1
	;; [unrolled: 1-line block ×4, first 2 shown]
	global_store_dword v[2:3], v0, off
	global_store_dword v[4:5], v1, off
	global_store_dword v[6:7], v12, off
	global_store_dword v[8:9], v13, off
	global_store_dword v[10:11], v14, off
	s_endpgm
	.section	.rodata,"a",@progbits
	.p2align	6, 0x0
	.amdhsa_kernel _Z27exclusive_scan_array_kernelILj65ELj5ELN6hipcub18BlockScanAlgorithmE0EfEvPT2_S2_
		.amdhsa_group_segment_fixed_size 8
		.amdhsa_private_segment_fixed_size 0
		.amdhsa_kernarg_size 12
		.amdhsa_user_sgpr_count 6
		.amdhsa_user_sgpr_private_segment_buffer 1
		.amdhsa_user_sgpr_dispatch_ptr 0
		.amdhsa_user_sgpr_queue_ptr 0
		.amdhsa_user_sgpr_kernarg_segment_ptr 1
		.amdhsa_user_sgpr_dispatch_id 0
		.amdhsa_user_sgpr_flat_scratch_init 0
		.amdhsa_user_sgpr_kernarg_preload_length 0
		.amdhsa_user_sgpr_kernarg_preload_offset 0
		.amdhsa_user_sgpr_private_segment_size 0
		.amdhsa_uses_dynamic_stack 0
		.amdhsa_system_sgpr_private_segment_wavefront_offset 0
		.amdhsa_system_sgpr_workgroup_id_x 1
		.amdhsa_system_sgpr_workgroup_id_y 0
		.amdhsa_system_sgpr_workgroup_id_z 0
		.amdhsa_system_sgpr_workgroup_info 0
		.amdhsa_system_vgpr_workitem_id 0
		.amdhsa_next_free_vgpr 22
		.amdhsa_next_free_sgpr 7
		.amdhsa_accum_offset 24
		.amdhsa_reserve_vcc 1
		.amdhsa_reserve_flat_scratch 0
		.amdhsa_float_round_mode_32 0
		.amdhsa_float_round_mode_16_64 0
		.amdhsa_float_denorm_mode_32 3
		.amdhsa_float_denorm_mode_16_64 3
		.amdhsa_dx10_clamp 1
		.amdhsa_ieee_mode 1
		.amdhsa_fp16_overflow 0
		.amdhsa_tg_split 0
		.amdhsa_exception_fp_ieee_invalid_op 0
		.amdhsa_exception_fp_denorm_src 0
		.amdhsa_exception_fp_ieee_div_zero 0
		.amdhsa_exception_fp_ieee_overflow 0
		.amdhsa_exception_fp_ieee_underflow 0
		.amdhsa_exception_fp_ieee_inexact 0
		.amdhsa_exception_int_div_zero 0
	.end_amdhsa_kernel
	.section	.text._Z27exclusive_scan_array_kernelILj65ELj5ELN6hipcub18BlockScanAlgorithmE0EfEvPT2_S2_,"axG",@progbits,_Z27exclusive_scan_array_kernelILj65ELj5ELN6hipcub18BlockScanAlgorithmE0EfEvPT2_S2_,comdat
.Lfunc_end242:
	.size	_Z27exclusive_scan_array_kernelILj65ELj5ELN6hipcub18BlockScanAlgorithmE0EfEvPT2_S2_, .Lfunc_end242-_Z27exclusive_scan_array_kernelILj65ELj5ELN6hipcub18BlockScanAlgorithmE0EfEvPT2_S2_
                                        ; -- End function
	.section	.AMDGPU.csdata,"",@progbits
; Kernel info:
; codeLenInByte = 744
; NumSgprs: 11
; NumVgprs: 22
; NumAgprs: 0
; TotalNumVgprs: 22
; ScratchSize: 0
; MemoryBound: 0
; FloatMode: 240
; IeeeMode: 1
; LDSByteSize: 8 bytes/workgroup (compile time only)
; SGPRBlocks: 1
; VGPRBlocks: 2
; NumSGPRsForWavesPerEU: 11
; NumVGPRsForWavesPerEU: 22
; AccumOffset: 24
; Occupancy: 8
; WaveLimiterHint : 0
; COMPUTE_PGM_RSRC2:SCRATCH_EN: 0
; COMPUTE_PGM_RSRC2:USER_SGPR: 6
; COMPUTE_PGM_RSRC2:TRAP_HANDLER: 0
; COMPUTE_PGM_RSRC2:TGID_X_EN: 1
; COMPUTE_PGM_RSRC2:TGID_Y_EN: 0
; COMPUTE_PGM_RSRC2:TGID_Z_EN: 0
; COMPUTE_PGM_RSRC2:TIDIG_COMP_CNT: 0
; COMPUTE_PGM_RSRC3_GFX90A:ACCUM_OFFSET: 5
; COMPUTE_PGM_RSRC3_GFX90A:TG_SPLIT: 0
	.section	.text._Z27exclusive_scan_array_kernelILj37ELj2ELN6hipcub18BlockScanAlgorithmE0EfEvPT2_S2_,"axG",@progbits,_Z27exclusive_scan_array_kernelILj37ELj2ELN6hipcub18BlockScanAlgorithmE0EfEvPT2_S2_,comdat
	.protected	_Z27exclusive_scan_array_kernelILj37ELj2ELN6hipcub18BlockScanAlgorithmE0EfEvPT2_S2_ ; -- Begin function _Z27exclusive_scan_array_kernelILj37ELj2ELN6hipcub18BlockScanAlgorithmE0EfEvPT2_S2_
	.globl	_Z27exclusive_scan_array_kernelILj37ELj2ELN6hipcub18BlockScanAlgorithmE0EfEvPT2_S2_
	.p2align	8
	.type	_Z27exclusive_scan_array_kernelILj37ELj2ELN6hipcub18BlockScanAlgorithmE0EfEvPT2_S2_,@function
_Z27exclusive_scan_array_kernelILj37ELj2ELN6hipcub18BlockScanAlgorithmE0EfEvPT2_S2_: ; @_Z27exclusive_scan_array_kernelILj37ELj2ELN6hipcub18BlockScanAlgorithmE0EfEvPT2_S2_
; %bb.0:
	s_load_dwordx2 s[0:1], s[4:5], 0x0
	s_mul_i32 s6, s6, 37
	v_add_lshl_u32 v6, s6, v0, 1
	v_mov_b32_e32 v7, 0
	v_lshlrev_b64 v[2:3], 2, v[6:7]
	s_waitcnt lgkmcnt(0)
	v_mov_b32_e32 v1, s1
	v_add_co_u32_e32 v2, vcc, s0, v2
	v_addc_co_u32_e32 v3, vcc, v1, v3, vcc
	global_load_dwordx2 v[4:5], v[2:3], off
	v_mbcnt_lo_u32_b32 v1, -1, 0
	v_mbcnt_hi_u32_b32 v1, -1, v1
	v_and_b32_e32 v6, 15, v1
	v_cmp_eq_u32_e32 vcc, 0, v6
	v_and_b32_e32 v8, 16, v1
	s_waitcnt vmcnt(0)
	v_add_f32_e32 v5, v4, v5
	s_nop 1
	v_mov_b32_dpp v9, v5 row_shr:1 row_mask:0xf bank_mask:0xf
	v_add_f32_e32 v9, v5, v9
	v_cndmask_b32_e32 v5, v9, v5, vcc
	v_cmp_lt_u32_e32 vcc, 1, v6
	s_nop 0
	v_mov_b32_dpp v9, v5 row_shr:2 row_mask:0xf bank_mask:0xf
	v_add_f32_e32 v9, v5, v9
	v_cndmask_b32_e32 v5, v5, v9, vcc
	v_cmp_lt_u32_e32 vcc, 3, v6
	;; [unrolled: 5-line block ×3, first 2 shown]
	s_nop 0
	v_mov_b32_dpp v9, v5 row_shr:8 row_mask:0xf bank_mask:0xf
	v_add_f32_e32 v9, v5, v9
	v_cndmask_b32_e32 v5, v5, v9, vcc
	v_cmp_eq_u32_e32 vcc, 0, v8
	s_nop 0
	v_mov_b32_dpp v6, v5 row_bcast:15 row_mask:0xf bank_mask:0xf
	v_add_f32_e32 v6, v5, v6
	v_cndmask_b32_e32 v5, v6, v5, vcc
	v_cmp_lt_u32_e32 vcc, 31, v1
	s_nop 0
	v_mov_b32_dpp v6, v5 row_bcast:31 row_mask:0xf bank_mask:0xf
	v_add_f32_e32 v6, v5, v6
	v_cndmask_b32_e32 v5, v5, v6, vcc
	v_cmp_eq_u32_e32 vcc, 36, v0
	s_and_saveexec_b64 s[0:1], vcc
	s_cbranch_execz .LBB243_2
; %bb.1:
	ds_write_b32 v7, v5
.LBB243_2:
	s_or_b64 exec, exec, s[0:1]
	s_load_dword s2, s[4:5], 0x8
	v_add_u32_e32 v6, -1, v1
	v_and_b32_e32 v7, 64, v1
	v_cmp_lt_i32_e32 vcc, v6, v7
	v_cndmask_b32_e32 v6, v6, v1, vcc
	s_waitcnt lgkmcnt(0)
	v_add_f32_e32 v5, s2, v5
	v_lshlrev_b32_e32 v6, 2, v6
	ds_bpermute_b32 v5, v6, v5
	v_cmp_eq_u32_e32 vcc, 0, v1
	v_cmp_eq_u32_e64 s[0:1], 0, v0
	v_mov_b32_e32 v0, s2
	s_or_b64 vcc, s[0:1], vcc
	s_waitcnt lgkmcnt(0)
	v_cndmask_b32_e32 v0, v5, v0, vcc
	v_add_f32_e32 v1, v4, v0
	s_waitcnt lgkmcnt(0)
	; wave barrier
	global_store_dwordx2 v[2:3], v[0:1], off
	s_endpgm
	.section	.rodata,"a",@progbits
	.p2align	6, 0x0
	.amdhsa_kernel _Z27exclusive_scan_array_kernelILj37ELj2ELN6hipcub18BlockScanAlgorithmE0EfEvPT2_S2_
		.amdhsa_group_segment_fixed_size 4
		.amdhsa_private_segment_fixed_size 0
		.amdhsa_kernarg_size 12
		.amdhsa_user_sgpr_count 6
		.amdhsa_user_sgpr_private_segment_buffer 1
		.amdhsa_user_sgpr_dispatch_ptr 0
		.amdhsa_user_sgpr_queue_ptr 0
		.amdhsa_user_sgpr_kernarg_segment_ptr 1
		.amdhsa_user_sgpr_dispatch_id 0
		.amdhsa_user_sgpr_flat_scratch_init 0
		.amdhsa_user_sgpr_kernarg_preload_length 0
		.amdhsa_user_sgpr_kernarg_preload_offset 0
		.amdhsa_user_sgpr_private_segment_size 0
		.amdhsa_uses_dynamic_stack 0
		.amdhsa_system_sgpr_private_segment_wavefront_offset 0
		.amdhsa_system_sgpr_workgroup_id_x 1
		.amdhsa_system_sgpr_workgroup_id_y 0
		.amdhsa_system_sgpr_workgroup_id_z 0
		.amdhsa_system_sgpr_workgroup_info 0
		.amdhsa_system_vgpr_workitem_id 0
		.amdhsa_next_free_vgpr 10
		.amdhsa_next_free_sgpr 7
		.amdhsa_accum_offset 12
		.amdhsa_reserve_vcc 1
		.amdhsa_reserve_flat_scratch 0
		.amdhsa_float_round_mode_32 0
		.amdhsa_float_round_mode_16_64 0
		.amdhsa_float_denorm_mode_32 3
		.amdhsa_float_denorm_mode_16_64 3
		.amdhsa_dx10_clamp 1
		.amdhsa_ieee_mode 1
		.amdhsa_fp16_overflow 0
		.amdhsa_tg_split 0
		.amdhsa_exception_fp_ieee_invalid_op 0
		.amdhsa_exception_fp_denorm_src 0
		.amdhsa_exception_fp_ieee_div_zero 0
		.amdhsa_exception_fp_ieee_overflow 0
		.amdhsa_exception_fp_ieee_underflow 0
		.amdhsa_exception_fp_ieee_inexact 0
		.amdhsa_exception_int_div_zero 0
	.end_amdhsa_kernel
	.section	.text._Z27exclusive_scan_array_kernelILj37ELj2ELN6hipcub18BlockScanAlgorithmE0EfEvPT2_S2_,"axG",@progbits,_Z27exclusive_scan_array_kernelILj37ELj2ELN6hipcub18BlockScanAlgorithmE0EfEvPT2_S2_,comdat
.Lfunc_end243:
	.size	_Z27exclusive_scan_array_kernelILj37ELj2ELN6hipcub18BlockScanAlgorithmE0EfEvPT2_S2_, .Lfunc_end243-_Z27exclusive_scan_array_kernelILj37ELj2ELN6hipcub18BlockScanAlgorithmE0EfEvPT2_S2_
                                        ; -- End function
	.section	.AMDGPU.csdata,"",@progbits
; Kernel info:
; codeLenInByte = 348
; NumSgprs: 11
; NumVgprs: 10
; NumAgprs: 0
; TotalNumVgprs: 10
; ScratchSize: 0
; MemoryBound: 0
; FloatMode: 240
; IeeeMode: 1
; LDSByteSize: 4 bytes/workgroup (compile time only)
; SGPRBlocks: 1
; VGPRBlocks: 1
; NumSGPRsForWavesPerEU: 11
; NumVGPRsForWavesPerEU: 10
; AccumOffset: 12
; Occupancy: 8
; WaveLimiterHint : 0
; COMPUTE_PGM_RSRC2:SCRATCH_EN: 0
; COMPUTE_PGM_RSRC2:USER_SGPR: 6
; COMPUTE_PGM_RSRC2:TRAP_HANDLER: 0
; COMPUTE_PGM_RSRC2:TGID_X_EN: 1
; COMPUTE_PGM_RSRC2:TGID_Y_EN: 0
; COMPUTE_PGM_RSRC2:TGID_Z_EN: 0
; COMPUTE_PGM_RSRC2:TIDIG_COMP_CNT: 0
; COMPUTE_PGM_RSRC3_GFX90A:ACCUM_OFFSET: 2
; COMPUTE_PGM_RSRC3_GFX90A:TG_SPLIT: 0
	.section	.text._Z27exclusive_scan_array_kernelILj512ELj4ELN6hipcub18BlockScanAlgorithmE0EiEvPT2_S2_,"axG",@progbits,_Z27exclusive_scan_array_kernelILj512ELj4ELN6hipcub18BlockScanAlgorithmE0EiEvPT2_S2_,comdat
	.protected	_Z27exclusive_scan_array_kernelILj512ELj4ELN6hipcub18BlockScanAlgorithmE0EiEvPT2_S2_ ; -- Begin function _Z27exclusive_scan_array_kernelILj512ELj4ELN6hipcub18BlockScanAlgorithmE0EiEvPT2_S2_
	.globl	_Z27exclusive_scan_array_kernelILj512ELj4ELN6hipcub18BlockScanAlgorithmE0EiEvPT2_S2_
	.p2align	8
	.type	_Z27exclusive_scan_array_kernelILj512ELj4ELN6hipcub18BlockScanAlgorithmE0EiEvPT2_S2_,@function
_Z27exclusive_scan_array_kernelILj512ELj4ELN6hipcub18BlockScanAlgorithmE0EiEvPT2_S2_: ; @_Z27exclusive_scan_array_kernelILj512ELj4ELN6hipcub18BlockScanAlgorithmE0EiEvPT2_S2_
; %bb.0:
	s_load_dwordx2 s[0:1], s[4:5], 0x0
	v_lshlrev_b32_e32 v8, 2, v0
	v_lshl_or_b32 v2, s6, 11, v8
	v_mov_b32_e32 v3, 0
	v_lshlrev_b64 v[2:3], 2, v[2:3]
	s_waitcnt lgkmcnt(0)
	v_mov_b32_e32 v1, s1
	v_add_co_u32_e32 v6, vcc, s0, v2
	v_addc_co_u32_e32 v7, vcc, v1, v3, vcc
	global_load_dwordx4 v[2:5], v[6:7], off
	v_mbcnt_lo_u32_b32 v1, -1, 0
	v_mbcnt_hi_u32_b32 v1, -1, v1
	v_and_b32_e32 v11, 15, v1
	v_cmp_ne_u32_e32 vcc, 0, v11
	v_bfe_i32 v12, v1, 4, 1
	v_or_b32_e32 v10, 63, v0
	v_lshrrev_b32_e32 v9, 6, v0
	s_waitcnt vmcnt(0)
	v_add_u32_e32 v13, v3, v2
	v_add3_u32 v5, v13, v4, v5
	s_nop 1
	v_mov_b32_dpp v13, v5 row_shr:1 row_mask:0xf bank_mask:0xf
	v_cndmask_b32_e32 v13, 0, v13, vcc
	v_add_u32_e32 v5, v13, v5
	v_cmp_lt_u32_e32 vcc, 1, v11
	s_nop 0
	v_mov_b32_dpp v13, v5 row_shr:2 row_mask:0xf bank_mask:0xf
	v_cndmask_b32_e32 v13, 0, v13, vcc
	v_add_u32_e32 v5, v5, v13
	v_cmp_lt_u32_e32 vcc, 3, v11
	;; [unrolled: 5-line block ×4, first 2 shown]
	s_nop 0
	v_mov_b32_dpp v11, v5 row_bcast:15 row_mask:0xf bank_mask:0xf
	v_and_b32_e32 v11, v12, v11
	v_add_u32_e32 v5, v5, v11
	s_nop 1
	v_mov_b32_dpp v11, v5 row_bcast:31 row_mask:0xf bank_mask:0xf
	v_cndmask_b32_e32 v11, 0, v11, vcc
	v_add_u32_e32 v5, v5, v11
	v_cmp_eq_u32_e32 vcc, v10, v0
	s_and_saveexec_b64 s[0:1], vcc
	s_cbranch_execz .LBB244_2
; %bb.1:
	v_lshlrev_b32_e32 v10, 2, v9
	ds_write_b32 v10, v5
.LBB244_2:
	s_or_b64 exec, exec, s[0:1]
	v_cmp_gt_u32_e32 vcc, 8, v0
	s_waitcnt lgkmcnt(0)
	s_barrier
	s_and_saveexec_b64 s[0:1], vcc
	s_cbranch_execz .LBB244_4
; %bb.3:
	ds_read_b32 v10, v8
	v_and_b32_e32 v11, 7, v1
	v_cmp_ne_u32_e32 vcc, 0, v11
	s_waitcnt lgkmcnt(0)
	v_mov_b32_dpp v12, v10 row_shr:1 row_mask:0xf bank_mask:0xf
	v_cndmask_b32_e32 v12, 0, v12, vcc
	v_add_u32_e32 v10, v12, v10
	v_cmp_lt_u32_e32 vcc, 1, v11
	s_nop 0
	v_mov_b32_dpp v12, v10 row_shr:2 row_mask:0xf bank_mask:0xf
	v_cndmask_b32_e32 v12, 0, v12, vcc
	v_add_u32_e32 v10, v10, v12
	v_cmp_lt_u32_e32 vcc, 3, v11
	s_nop 0
	v_mov_b32_dpp v12, v10 row_shr:4 row_mask:0xf bank_mask:0xf
	v_cndmask_b32_e32 v11, 0, v12, vcc
	v_add_u32_e32 v10, v10, v11
	ds_write_b32 v8, v10
.LBB244_4:
	s_or_b64 exec, exec, s[0:1]
	s_load_dword s2, s[4:5], 0x8
	v_cmp_lt_u32_e32 vcc, 63, v0
	s_waitcnt lgkmcnt(0)
	s_barrier
	v_mov_b32_e32 v8, s2
	s_and_saveexec_b64 s[0:1], vcc
	s_cbranch_execz .LBB244_6
; %bb.5:
	v_lshl_add_u32 v8, v9, 2, -4
	ds_read_b32 v8, v8
	s_waitcnt lgkmcnt(0)
	v_add_u32_e32 v8, s2, v8
.LBB244_6:
	s_or_b64 exec, exec, s[0:1]
	v_add_u32_e32 v9, -1, v1
	v_and_b32_e32 v10, 64, v1
	v_cmp_lt_i32_e32 vcc, v9, v10
	v_cndmask_b32_e32 v9, v9, v1, vcc
	v_add_u32_e32 v5, v8, v5
	v_lshlrev_b32_e32 v9, 2, v9
	ds_bpermute_b32 v5, v9, v5
	v_cmp_eq_u32_e32 vcc, 0, v1
	s_waitcnt lgkmcnt(0)
	v_cndmask_b32_e32 v1, v5, v8, vcc
	v_mov_b32_e32 v5, s2
	v_cmp_eq_u32_e32 vcc, 0, v0
	v_cndmask_b32_e32 v0, v1, v5, vcc
	v_add_u32_e32 v1, v0, v2
	v_add_u32_e32 v2, v1, v3
	;; [unrolled: 1-line block ×3, first 2 shown]
	global_store_dwordx4 v[6:7], v[0:3], off
	s_endpgm
	.section	.rodata,"a",@progbits
	.p2align	6, 0x0
	.amdhsa_kernel _Z27exclusive_scan_array_kernelILj512ELj4ELN6hipcub18BlockScanAlgorithmE0EiEvPT2_S2_
		.amdhsa_group_segment_fixed_size 32
		.amdhsa_private_segment_fixed_size 0
		.amdhsa_kernarg_size 12
		.amdhsa_user_sgpr_count 6
		.amdhsa_user_sgpr_private_segment_buffer 1
		.amdhsa_user_sgpr_dispatch_ptr 0
		.amdhsa_user_sgpr_queue_ptr 0
		.amdhsa_user_sgpr_kernarg_segment_ptr 1
		.amdhsa_user_sgpr_dispatch_id 0
		.amdhsa_user_sgpr_flat_scratch_init 0
		.amdhsa_user_sgpr_kernarg_preload_length 0
		.amdhsa_user_sgpr_kernarg_preload_offset 0
		.amdhsa_user_sgpr_private_segment_size 0
		.amdhsa_uses_dynamic_stack 0
		.amdhsa_system_sgpr_private_segment_wavefront_offset 0
		.amdhsa_system_sgpr_workgroup_id_x 1
		.amdhsa_system_sgpr_workgroup_id_y 0
		.amdhsa_system_sgpr_workgroup_id_z 0
		.amdhsa_system_sgpr_workgroup_info 0
		.amdhsa_system_vgpr_workitem_id 0
		.amdhsa_next_free_vgpr 14
		.amdhsa_next_free_sgpr 7
		.amdhsa_accum_offset 16
		.amdhsa_reserve_vcc 1
		.amdhsa_reserve_flat_scratch 0
		.amdhsa_float_round_mode_32 0
		.amdhsa_float_round_mode_16_64 0
		.amdhsa_float_denorm_mode_32 3
		.amdhsa_float_denorm_mode_16_64 3
		.amdhsa_dx10_clamp 1
		.amdhsa_ieee_mode 1
		.amdhsa_fp16_overflow 0
		.amdhsa_tg_split 0
		.amdhsa_exception_fp_ieee_invalid_op 0
		.amdhsa_exception_fp_denorm_src 0
		.amdhsa_exception_fp_ieee_div_zero 0
		.amdhsa_exception_fp_ieee_overflow 0
		.amdhsa_exception_fp_ieee_underflow 0
		.amdhsa_exception_fp_ieee_inexact 0
		.amdhsa_exception_int_div_zero 0
	.end_amdhsa_kernel
	.section	.text._Z27exclusive_scan_array_kernelILj512ELj4ELN6hipcub18BlockScanAlgorithmE0EiEvPT2_S2_,"axG",@progbits,_Z27exclusive_scan_array_kernelILj512ELj4ELN6hipcub18BlockScanAlgorithmE0EiEvPT2_S2_,comdat
.Lfunc_end244:
	.size	_Z27exclusive_scan_array_kernelILj512ELj4ELN6hipcub18BlockScanAlgorithmE0EiEvPT2_S2_, .Lfunc_end244-_Z27exclusive_scan_array_kernelILj512ELj4ELN6hipcub18BlockScanAlgorithmE0EiEvPT2_S2_
                                        ; -- End function
	.section	.AMDGPU.csdata,"",@progbits
; Kernel info:
; codeLenInByte = 532
; NumSgprs: 11
; NumVgprs: 14
; NumAgprs: 0
; TotalNumVgprs: 14
; ScratchSize: 0
; MemoryBound: 0
; FloatMode: 240
; IeeeMode: 1
; LDSByteSize: 32 bytes/workgroup (compile time only)
; SGPRBlocks: 1
; VGPRBlocks: 1
; NumSGPRsForWavesPerEU: 11
; NumVGPRsForWavesPerEU: 14
; AccumOffset: 16
; Occupancy: 8
; WaveLimiterHint : 0
; COMPUTE_PGM_RSRC2:SCRATCH_EN: 0
; COMPUTE_PGM_RSRC2:USER_SGPR: 6
; COMPUTE_PGM_RSRC2:TRAP_HANDLER: 0
; COMPUTE_PGM_RSRC2:TGID_X_EN: 1
; COMPUTE_PGM_RSRC2:TGID_Y_EN: 0
; COMPUTE_PGM_RSRC2:TGID_Z_EN: 0
; COMPUTE_PGM_RSRC2:TIDIG_COMP_CNT: 0
; COMPUTE_PGM_RSRC3_GFX90A:ACCUM_OFFSET: 3
; COMPUTE_PGM_RSRC3_GFX90A:TG_SPLIT: 0
	.section	.text._Z27exclusive_scan_array_kernelILj256ELj3ELN6hipcub18BlockScanAlgorithmE0EjEvPT2_S2_,"axG",@progbits,_Z27exclusive_scan_array_kernelILj256ELj3ELN6hipcub18BlockScanAlgorithmE0EjEvPT2_S2_,comdat
	.protected	_Z27exclusive_scan_array_kernelILj256ELj3ELN6hipcub18BlockScanAlgorithmE0EjEvPT2_S2_ ; -- Begin function _Z27exclusive_scan_array_kernelILj256ELj3ELN6hipcub18BlockScanAlgorithmE0EjEvPT2_S2_
	.globl	_Z27exclusive_scan_array_kernelILj256ELj3ELN6hipcub18BlockScanAlgorithmE0EjEvPT2_S2_
	.p2align	8
	.type	_Z27exclusive_scan_array_kernelILj256ELj3ELN6hipcub18BlockScanAlgorithmE0EjEvPT2_S2_,@function
_Z27exclusive_scan_array_kernelILj256ELj3ELN6hipcub18BlockScanAlgorithmE0EjEvPT2_S2_: ; @_Z27exclusive_scan_array_kernelILj256ELj3ELN6hipcub18BlockScanAlgorithmE0EjEvPT2_S2_
; %bb.0:
	s_load_dwordx2 s[0:1], s[4:5], 0x0
	v_lshl_or_b32 v1, s6, 8, v0
	v_lshl_add_u32 v6, v1, 1, v1
	v_mov_b32_e32 v7, 0
	v_lshlrev_b64 v[2:3], 2, v[6:7]
	s_waitcnt lgkmcnt(0)
	v_mov_b32_e32 v1, s1
	v_add_co_u32_e32 v2, vcc, s0, v2
	v_add_u32_e32 v4, 1, v6
	v_mov_b32_e32 v5, v7
	v_addc_co_u32_e32 v3, vcc, v1, v3, vcc
	v_lshlrev_b64 v[4:5], 2, v[4:5]
	v_add_co_u32_e32 v4, vcc, s0, v4
	v_add_u32_e32 v6, 2, v6
	v_addc_co_u32_e32 v5, vcc, v1, v5, vcc
	v_lshlrev_b64 v[6:7], 2, v[6:7]
	v_add_co_u32_e32 v6, vcc, s0, v6
	v_addc_co_u32_e32 v7, vcc, v1, v7, vcc
	global_load_dword v1, v[2:3], off
	global_load_dword v8, v[4:5], off
	;; [unrolled: 1-line block ×3, first 2 shown]
	v_mbcnt_lo_u32_b32 v9, -1, 0
	v_mbcnt_hi_u32_b32 v9, -1, v9
	v_and_b32_e32 v13, 15, v9
	v_cmp_ne_u32_e32 vcc, 0, v13
	v_bfe_i32 v14, v9, 4, 1
	v_or_b32_e32 v12, 63, v0
	v_lshrrev_b32_e32 v10, 6, v0
	s_waitcnt vmcnt(0)
	v_add3_u32 v11, v8, v1, v11
	s_nop 1
	v_mov_b32_dpp v15, v11 row_shr:1 row_mask:0xf bank_mask:0xf
	v_cndmask_b32_e32 v15, 0, v15, vcc
	v_add_u32_e32 v11, v15, v11
	v_cmp_lt_u32_e32 vcc, 1, v13
	s_nop 0
	v_mov_b32_dpp v15, v11 row_shr:2 row_mask:0xf bank_mask:0xf
	v_cndmask_b32_e32 v15, 0, v15, vcc
	v_add_u32_e32 v11, v11, v15
	v_cmp_lt_u32_e32 vcc, 3, v13
	;; [unrolled: 5-line block ×4, first 2 shown]
	s_nop 0
	v_mov_b32_dpp v13, v11 row_bcast:15 row_mask:0xf bank_mask:0xf
	v_and_b32_e32 v13, v14, v13
	v_add_u32_e32 v11, v11, v13
	s_nop 1
	v_mov_b32_dpp v13, v11 row_bcast:31 row_mask:0xf bank_mask:0xf
	v_cndmask_b32_e32 v13, 0, v13, vcc
	v_add_u32_e32 v11, v11, v13
	v_cmp_eq_u32_e32 vcc, v12, v0
	s_and_saveexec_b64 s[0:1], vcc
	s_cbranch_execz .LBB245_2
; %bb.1:
	v_lshlrev_b32_e32 v12, 2, v10
	ds_write_b32 v12, v11
.LBB245_2:
	s_or_b64 exec, exec, s[0:1]
	v_cmp_gt_u32_e32 vcc, 4, v0
	s_waitcnt lgkmcnt(0)
	s_barrier
	s_and_saveexec_b64 s[0:1], vcc
	s_cbranch_execz .LBB245_4
; %bb.3:
	v_lshlrev_b32_e32 v12, 2, v0
	ds_read_b32 v13, v12
	v_and_b32_e32 v14, 3, v9
	v_cmp_ne_u32_e32 vcc, 0, v14
	s_waitcnt lgkmcnt(0)
	v_mov_b32_dpp v15, v13 row_shr:1 row_mask:0xf bank_mask:0xf
	v_cndmask_b32_e32 v15, 0, v15, vcc
	v_add_u32_e32 v13, v15, v13
	v_cmp_lt_u32_e32 vcc, 1, v14
	s_nop 0
	v_mov_b32_dpp v15, v13 row_shr:2 row_mask:0xf bank_mask:0xf
	v_cndmask_b32_e32 v14, 0, v15, vcc
	v_add_u32_e32 v13, v13, v14
	ds_write_b32 v12, v13
.LBB245_4:
	s_or_b64 exec, exec, s[0:1]
	s_load_dword s2, s[4:5], 0x8
	v_cmp_lt_u32_e32 vcc, 63, v0
	s_waitcnt lgkmcnt(0)
	s_barrier
	v_mov_b32_e32 v12, s2
	s_and_saveexec_b64 s[0:1], vcc
	s_cbranch_execz .LBB245_6
; %bb.5:
	v_lshl_add_u32 v10, v10, 2, -4
	ds_read_b32 v10, v10
	s_waitcnt lgkmcnt(0)
	v_add_u32_e32 v12, s2, v10
.LBB245_6:
	s_or_b64 exec, exec, s[0:1]
	v_add_u32_e32 v10, v12, v11
	v_add_u32_e32 v11, -1, v9
	v_and_b32_e32 v13, 64, v9
	v_cmp_lt_i32_e32 vcc, v11, v13
	v_cndmask_b32_e32 v11, v11, v9, vcc
	v_lshlrev_b32_e32 v11, 2, v11
	ds_bpermute_b32 v10, v11, v10
	v_cmp_eq_u32_e32 vcc, 0, v9
	s_waitcnt lgkmcnt(0)
	v_cndmask_b32_e32 v9, v10, v12, vcc
	v_mov_b32_e32 v10, s2
	v_cmp_eq_u32_e32 vcc, 0, v0
	v_cndmask_b32_e32 v0, v9, v10, vcc
	v_add_u32_e32 v1, v0, v1
	v_add_u32_e32 v8, v1, v8
	global_store_dword v[2:3], v0, off
	global_store_dword v[4:5], v1, off
	;; [unrolled: 1-line block ×3, first 2 shown]
	s_endpgm
	.section	.rodata,"a",@progbits
	.p2align	6, 0x0
	.amdhsa_kernel _Z27exclusive_scan_array_kernelILj256ELj3ELN6hipcub18BlockScanAlgorithmE0EjEvPT2_S2_
		.amdhsa_group_segment_fixed_size 16
		.amdhsa_private_segment_fixed_size 0
		.amdhsa_kernarg_size 12
		.amdhsa_user_sgpr_count 6
		.amdhsa_user_sgpr_private_segment_buffer 1
		.amdhsa_user_sgpr_dispatch_ptr 0
		.amdhsa_user_sgpr_queue_ptr 0
		.amdhsa_user_sgpr_kernarg_segment_ptr 1
		.amdhsa_user_sgpr_dispatch_id 0
		.amdhsa_user_sgpr_flat_scratch_init 0
		.amdhsa_user_sgpr_kernarg_preload_length 0
		.amdhsa_user_sgpr_kernarg_preload_offset 0
		.amdhsa_user_sgpr_private_segment_size 0
		.amdhsa_uses_dynamic_stack 0
		.amdhsa_system_sgpr_private_segment_wavefront_offset 0
		.amdhsa_system_sgpr_workgroup_id_x 1
		.amdhsa_system_sgpr_workgroup_id_y 0
		.amdhsa_system_sgpr_workgroup_id_z 0
		.amdhsa_system_sgpr_workgroup_info 0
		.amdhsa_system_vgpr_workitem_id 0
		.amdhsa_next_free_vgpr 16
		.amdhsa_next_free_sgpr 7
		.amdhsa_accum_offset 16
		.amdhsa_reserve_vcc 1
		.amdhsa_reserve_flat_scratch 0
		.amdhsa_float_round_mode_32 0
		.amdhsa_float_round_mode_16_64 0
		.amdhsa_float_denorm_mode_32 3
		.amdhsa_float_denorm_mode_16_64 3
		.amdhsa_dx10_clamp 1
		.amdhsa_ieee_mode 1
		.amdhsa_fp16_overflow 0
		.amdhsa_tg_split 0
		.amdhsa_exception_fp_ieee_invalid_op 0
		.amdhsa_exception_fp_denorm_src 0
		.amdhsa_exception_fp_ieee_div_zero 0
		.amdhsa_exception_fp_ieee_overflow 0
		.amdhsa_exception_fp_ieee_underflow 0
		.amdhsa_exception_fp_ieee_inexact 0
		.amdhsa_exception_int_div_zero 0
	.end_amdhsa_kernel
	.section	.text._Z27exclusive_scan_array_kernelILj256ELj3ELN6hipcub18BlockScanAlgorithmE0EjEvPT2_S2_,"axG",@progbits,_Z27exclusive_scan_array_kernelILj256ELj3ELN6hipcub18BlockScanAlgorithmE0EjEvPT2_S2_,comdat
.Lfunc_end245:
	.size	_Z27exclusive_scan_array_kernelILj256ELj3ELN6hipcub18BlockScanAlgorithmE0EjEvPT2_S2_, .Lfunc_end245-_Z27exclusive_scan_array_kernelILj256ELj3ELN6hipcub18BlockScanAlgorithmE0EjEvPT2_S2_
                                        ; -- End function
	.section	.AMDGPU.csdata,"",@progbits
; Kernel info:
; codeLenInByte = 584
; NumSgprs: 11
; NumVgprs: 16
; NumAgprs: 0
; TotalNumVgprs: 16
; ScratchSize: 0
; MemoryBound: 0
; FloatMode: 240
; IeeeMode: 1
; LDSByteSize: 16 bytes/workgroup (compile time only)
; SGPRBlocks: 1
; VGPRBlocks: 1
; NumSGPRsForWavesPerEU: 11
; NumVGPRsForWavesPerEU: 16
; AccumOffset: 16
; Occupancy: 8
; WaveLimiterHint : 0
; COMPUTE_PGM_RSRC2:SCRATCH_EN: 0
; COMPUTE_PGM_RSRC2:USER_SGPR: 6
; COMPUTE_PGM_RSRC2:TRAP_HANDLER: 0
; COMPUTE_PGM_RSRC2:TGID_X_EN: 1
; COMPUTE_PGM_RSRC2:TGID_Y_EN: 0
; COMPUTE_PGM_RSRC2:TGID_Z_EN: 0
; COMPUTE_PGM_RSRC2:TIDIG_COMP_CNT: 0
; COMPUTE_PGM_RSRC3_GFX90A:ACCUM_OFFSET: 3
; COMPUTE_PGM_RSRC3_GFX90A:TG_SPLIT: 0
	.section	.text._Z27exclusive_scan_array_kernelILj32ELj2ELN6hipcub18BlockScanAlgorithmE0EfEvPT2_S2_,"axG",@progbits,_Z27exclusive_scan_array_kernelILj32ELj2ELN6hipcub18BlockScanAlgorithmE0EfEvPT2_S2_,comdat
	.protected	_Z27exclusive_scan_array_kernelILj32ELj2ELN6hipcub18BlockScanAlgorithmE0EfEvPT2_S2_ ; -- Begin function _Z27exclusive_scan_array_kernelILj32ELj2ELN6hipcub18BlockScanAlgorithmE0EfEvPT2_S2_
	.globl	_Z27exclusive_scan_array_kernelILj32ELj2ELN6hipcub18BlockScanAlgorithmE0EfEvPT2_S2_
	.p2align	8
	.type	_Z27exclusive_scan_array_kernelILj32ELj2ELN6hipcub18BlockScanAlgorithmE0EfEvPT2_S2_,@function
_Z27exclusive_scan_array_kernelILj32ELj2ELN6hipcub18BlockScanAlgorithmE0EfEvPT2_S2_: ; @_Z27exclusive_scan_array_kernelILj32ELj2ELN6hipcub18BlockScanAlgorithmE0EfEvPT2_S2_
; %bb.0:
	s_load_dwordx2 s[0:1], s[4:5], 0x0
	v_lshlrev_b32_e32 v1, 1, v0
	v_lshl_or_b32 v6, s6, 6, v1
	v_mov_b32_e32 v7, 0
	v_lshlrev_b64 v[2:3], 2, v[6:7]
	s_waitcnt lgkmcnt(0)
	v_mov_b32_e32 v1, s1
	v_add_co_u32_e32 v2, vcc, s0, v2
	v_addc_co_u32_e32 v3, vcc, v1, v3, vcc
	global_load_dwordx2 v[4:5], v[2:3], off
	v_mbcnt_lo_u32_b32 v1, -1, 0
	v_mbcnt_hi_u32_b32 v1, -1, v1
	v_and_b32_e32 v6, 15, v1
	v_cmp_eq_u32_e32 vcc, 0, v6
	v_and_b32_e32 v8, 16, v1
	s_waitcnt vmcnt(0)
	v_add_f32_e32 v5, v4, v5
	s_nop 1
	v_mov_b32_dpp v9, v5 row_shr:1 row_mask:0xf bank_mask:0xf
	v_add_f32_e32 v9, v5, v9
	v_cndmask_b32_e32 v5, v9, v5, vcc
	v_cmp_lt_u32_e32 vcc, 1, v6
	s_nop 0
	v_mov_b32_dpp v9, v5 row_shr:2 row_mask:0xf bank_mask:0xf
	v_add_f32_e32 v9, v5, v9
	v_cndmask_b32_e32 v5, v5, v9, vcc
	v_cmp_lt_u32_e32 vcc, 3, v6
	;; [unrolled: 5-line block ×3, first 2 shown]
	s_nop 0
	v_mov_b32_dpp v9, v5 row_shr:8 row_mask:0xf bank_mask:0xf
	v_add_f32_e32 v9, v5, v9
	v_cndmask_b32_e32 v5, v5, v9, vcc
	v_cmp_eq_u32_e32 vcc, 0, v8
	s_nop 0
	v_mov_b32_dpp v6, v5 row_bcast:15 row_mask:0xf bank_mask:0xf
	v_add_f32_e32 v6, v5, v6
	v_cndmask_b32_e32 v5, v6, v5, vcc
	v_cmp_eq_u32_e32 vcc, 31, v0
	s_and_saveexec_b64 s[0:1], vcc
	s_cbranch_execz .LBB246_2
; %bb.1:
	ds_write_b32 v7, v5
.LBB246_2:
	s_or_b64 exec, exec, s[0:1]
	s_load_dword s2, s[4:5], 0x8
	v_add_u32_e32 v6, -1, v1
	v_and_b32_e32 v7, 0x60, v1
	v_cmp_lt_i32_e32 vcc, v6, v7
	v_cndmask_b32_e32 v6, v6, v1, vcc
	s_waitcnt lgkmcnt(0)
	v_add_f32_e32 v5, s2, v5
	v_lshlrev_b32_e32 v6, 2, v6
	ds_bpermute_b32 v5, v6, v5
	v_cmp_eq_u32_e32 vcc, 0, v1
	v_cmp_eq_u32_e64 s[0:1], 0, v0
	v_mov_b32_e32 v0, s2
	s_or_b64 vcc, s[0:1], vcc
	s_waitcnt lgkmcnt(0)
	v_cndmask_b32_e32 v0, v5, v0, vcc
	v_add_f32_e32 v1, v4, v0
	s_waitcnt lgkmcnt(0)
	; wave barrier
	global_store_dwordx2 v[2:3], v[0:1], off
	s_endpgm
	.section	.rodata,"a",@progbits
	.p2align	6, 0x0
	.amdhsa_kernel _Z27exclusive_scan_array_kernelILj32ELj2ELN6hipcub18BlockScanAlgorithmE0EfEvPT2_S2_
		.amdhsa_group_segment_fixed_size 4
		.amdhsa_private_segment_fixed_size 0
		.amdhsa_kernarg_size 12
		.amdhsa_user_sgpr_count 6
		.amdhsa_user_sgpr_private_segment_buffer 1
		.amdhsa_user_sgpr_dispatch_ptr 0
		.amdhsa_user_sgpr_queue_ptr 0
		.amdhsa_user_sgpr_kernarg_segment_ptr 1
		.amdhsa_user_sgpr_dispatch_id 0
		.amdhsa_user_sgpr_flat_scratch_init 0
		.amdhsa_user_sgpr_kernarg_preload_length 0
		.amdhsa_user_sgpr_kernarg_preload_offset 0
		.amdhsa_user_sgpr_private_segment_size 0
		.amdhsa_uses_dynamic_stack 0
		.amdhsa_system_sgpr_private_segment_wavefront_offset 0
		.amdhsa_system_sgpr_workgroup_id_x 1
		.amdhsa_system_sgpr_workgroup_id_y 0
		.amdhsa_system_sgpr_workgroup_id_z 0
		.amdhsa_system_sgpr_workgroup_info 0
		.amdhsa_system_vgpr_workitem_id 0
		.amdhsa_next_free_vgpr 10
		.amdhsa_next_free_sgpr 7
		.amdhsa_accum_offset 12
		.amdhsa_reserve_vcc 1
		.amdhsa_reserve_flat_scratch 0
		.amdhsa_float_round_mode_32 0
		.amdhsa_float_round_mode_16_64 0
		.amdhsa_float_denorm_mode_32 3
		.amdhsa_float_denorm_mode_16_64 3
		.amdhsa_dx10_clamp 1
		.amdhsa_ieee_mode 1
		.amdhsa_fp16_overflow 0
		.amdhsa_tg_split 0
		.amdhsa_exception_fp_ieee_invalid_op 0
		.amdhsa_exception_fp_denorm_src 0
		.amdhsa_exception_fp_ieee_div_zero 0
		.amdhsa_exception_fp_ieee_overflow 0
		.amdhsa_exception_fp_ieee_underflow 0
		.amdhsa_exception_fp_ieee_inexact 0
		.amdhsa_exception_int_div_zero 0
	.end_amdhsa_kernel
	.section	.text._Z27exclusive_scan_array_kernelILj32ELj2ELN6hipcub18BlockScanAlgorithmE0EfEvPT2_S2_,"axG",@progbits,_Z27exclusive_scan_array_kernelILj32ELj2ELN6hipcub18BlockScanAlgorithmE0EfEvPT2_S2_,comdat
.Lfunc_end246:
	.size	_Z27exclusive_scan_array_kernelILj32ELj2ELN6hipcub18BlockScanAlgorithmE0EfEvPT2_S2_, .Lfunc_end246-_Z27exclusive_scan_array_kernelILj32ELj2ELN6hipcub18BlockScanAlgorithmE0EfEvPT2_S2_
                                        ; -- End function
	.section	.AMDGPU.csdata,"",@progbits
; Kernel info:
; codeLenInByte = 328
; NumSgprs: 11
; NumVgprs: 10
; NumAgprs: 0
; TotalNumVgprs: 10
; ScratchSize: 0
; MemoryBound: 0
; FloatMode: 240
; IeeeMode: 1
; LDSByteSize: 4 bytes/workgroup (compile time only)
; SGPRBlocks: 1
; VGPRBlocks: 1
; NumSGPRsForWavesPerEU: 11
; NumVGPRsForWavesPerEU: 10
; AccumOffset: 12
; Occupancy: 8
; WaveLimiterHint : 0
; COMPUTE_PGM_RSRC2:SCRATCH_EN: 0
; COMPUTE_PGM_RSRC2:USER_SGPR: 6
; COMPUTE_PGM_RSRC2:TRAP_HANDLER: 0
; COMPUTE_PGM_RSRC2:TGID_X_EN: 1
; COMPUTE_PGM_RSRC2:TGID_Y_EN: 0
; COMPUTE_PGM_RSRC2:TGID_Z_EN: 0
; COMPUTE_PGM_RSRC2:TIDIG_COMP_CNT: 0
; COMPUTE_PGM_RSRC3_GFX90A:ACCUM_OFFSET: 2
; COMPUTE_PGM_RSRC3_GFX90A:TG_SPLIT: 0
	.section	.text._Z27exclusive_scan_array_kernelILj6ELj32ELN6hipcub18BlockScanAlgorithmE0EfEvPT2_S2_,"axG",@progbits,_Z27exclusive_scan_array_kernelILj6ELj32ELN6hipcub18BlockScanAlgorithmE0EfEvPT2_S2_,comdat
	.protected	_Z27exclusive_scan_array_kernelILj6ELj32ELN6hipcub18BlockScanAlgorithmE0EfEvPT2_S2_ ; -- Begin function _Z27exclusive_scan_array_kernelILj6ELj32ELN6hipcub18BlockScanAlgorithmE0EfEvPT2_S2_
	.globl	_Z27exclusive_scan_array_kernelILj6ELj32ELN6hipcub18BlockScanAlgorithmE0EfEvPT2_S2_
	.p2align	8
	.type	_Z27exclusive_scan_array_kernelILj6ELj32ELN6hipcub18BlockScanAlgorithmE0EfEvPT2_S2_,@function
_Z27exclusive_scan_array_kernelILj6ELj32ELN6hipcub18BlockScanAlgorithmE0EfEvPT2_S2_: ; @_Z27exclusive_scan_array_kernelILj6ELj32ELN6hipcub18BlockScanAlgorithmE0EfEvPT2_S2_
; %bb.0:
	s_load_dwordx2 s[0:1], s[4:5], 0x0
	s_mul_i32 s6, s6, 6
	v_add_lshl_u32 v36, s6, v0, 5
	v_mov_b32_e32 v37, 0
	v_lshlrev_b64 v[2:3], 2, v[36:37]
	s_waitcnt lgkmcnt(0)
	v_mov_b32_e32 v1, s1
	v_add_co_u32_e32 v34, vcc, s0, v2
	v_addc_co_u32_e32 v35, vcc, v1, v3, vcc
	global_load_dwordx4 v[30:33], v[34:35], off
	global_load_dwordx4 v[26:29], v[34:35], off offset:16
	global_load_dwordx4 v[22:25], v[34:35], off offset:32
	;; [unrolled: 1-line block ×7, first 2 shown]
	v_mbcnt_lo_u32_b32 v1, -1, 0
	v_mbcnt_hi_u32_b32 v1, -1, v1
	v_and_b32_e32 v36, 7, v1
	v_cmp_eq_u32_e32 vcc, 0, v36
	s_waitcnt vmcnt(7)
	v_add_f32_e32 v38, v30, v31
	v_add_f32_e32 v38, v38, v32
	v_add_f32_e32 v38, v38, v33
	s_waitcnt vmcnt(6)
	v_add_f32_e32 v38, v38, v26
	v_add_f32_e32 v38, v38, v27
	v_add_f32_e32 v38, v38, v28
	v_add_f32_e32 v38, v38, v29
	s_waitcnt vmcnt(5)
	v_add_f32_e32 v38, v38, v22
	;; [unrolled: 5-line block ×7, first 2 shown]
	v_add_f32_e32 v38, v38, v3
	v_add_f32_e32 v38, v38, v4
	v_add_f32_e32 v5, v38, v5
	s_nop 1
	v_mov_b32_dpp v38, v5 row_shr:1 row_mask:0xf bank_mask:0xf
	v_add_f32_e32 v38, v5, v38
	v_cndmask_b32_e32 v5, v38, v5, vcc
	v_cmp_lt_u32_e32 vcc, 1, v36
	s_nop 0
	v_mov_b32_dpp v38, v5 row_shr:2 row_mask:0xf bank_mask:0xf
	v_add_f32_e32 v38, v5, v38
	v_cndmask_b32_e32 v5, v5, v38, vcc
	v_cmp_lt_u32_e32 vcc, 3, v36
	s_nop 0
	v_mov_b32_dpp v38, v5 row_shr:4 row_mask:0xf bank_mask:0xf
	v_add_f32_e32 v38, v5, v38
	v_cndmask_b32_e32 v5, v5, v38, vcc
	v_cmp_eq_u32_e32 vcc, 5, v0
	s_and_saveexec_b64 s[0:1], vcc
	s_cbranch_execz .LBB247_2
; %bb.1:
	ds_write_b32 v37, v5
.LBB247_2:
	s_or_b64 exec, exec, s[0:1]
	s_load_dword s2, s[4:5], 0x8
	v_add_u32_e32 v36, -1, v1
	v_and_b32_e32 v37, 0x78, v1
	v_cmp_lt_i32_e32 vcc, v36, v37
	v_cndmask_b32_e32 v36, v36, v1, vcc
	s_waitcnt lgkmcnt(0)
	v_add_f32_e32 v5, s2, v5
	v_lshlrev_b32_e32 v36, 2, v36
	ds_bpermute_b32 v5, v36, v5
	v_cmp_eq_u32_e32 vcc, 0, v1
	v_cmp_eq_u32_e64 s[0:1], 0, v0
	v_mov_b32_e32 v0, s2
	s_or_b64 vcc, s[0:1], vcc
	s_waitcnt lgkmcnt(0)
	v_cndmask_b32_e32 v36, v5, v0, vcc
	v_add_f32_e32 v37, v30, v36
	v_add_f32_e32 v38, v31, v37
	v_add_f32_e32 v39, v38, v32
	v_add_f32_e32 v30, v39, v33
	v_add_f32_e32 v31, v30, v26
	v_add_f32_e32 v32, v31, v27
	v_add_f32_e32 v33, v32, v28
	v_add_f32_e32 v26, v33, v29
	v_add_f32_e32 v27, v26, v22
	v_add_f32_e32 v28, v27, v23
	v_add_f32_e32 v29, v28, v24
	v_add_f32_e32 v22, v29, v25
	v_add_f32_e32 v23, v22, v14
	v_add_f32_e32 v24, v23, v15
	v_add_f32_e32 v25, v24, v16
	v_add_f32_e32 v14, v25, v17
	v_add_f32_e32 v15, v14, v18
	v_add_f32_e32 v16, v15, v19
	v_add_f32_e32 v17, v16, v20
	v_add_f32_e32 v18, v17, v21
	v_add_f32_e32 v19, v18, v10
	v_add_f32_e32 v20, v19, v11
	v_add_f32_e32 v21, v20, v12
	v_add_f32_e32 v10, v21, v13
	v_add_f32_e32 v11, v10, v6
	v_add_f32_e32 v12, v11, v7
	v_add_f32_e32 v13, v12, v8
	v_add_f32_e32 v0, v13, v9
	v_add_f32_e32 v1, v0, v2
	v_add_f32_e32 v2, v1, v3
	s_waitcnt lgkmcnt(0)
	; wave barrier
	v_add_f32_e32 v3, v2, v4
	global_store_dwordx4 v[34:35], v[36:39], off
	global_store_dwordx4 v[34:35], v[30:33], off offset:16
	global_store_dwordx4 v[34:35], v[26:29], off offset:32
	;; [unrolled: 1-line block ×7, first 2 shown]
	s_endpgm
	.section	.rodata,"a",@progbits
	.p2align	6, 0x0
	.amdhsa_kernel _Z27exclusive_scan_array_kernelILj6ELj32ELN6hipcub18BlockScanAlgorithmE0EfEvPT2_S2_
		.amdhsa_group_segment_fixed_size 4
		.amdhsa_private_segment_fixed_size 0
		.amdhsa_kernarg_size 12
		.amdhsa_user_sgpr_count 6
		.amdhsa_user_sgpr_private_segment_buffer 1
		.amdhsa_user_sgpr_dispatch_ptr 0
		.amdhsa_user_sgpr_queue_ptr 0
		.amdhsa_user_sgpr_kernarg_segment_ptr 1
		.amdhsa_user_sgpr_dispatch_id 0
		.amdhsa_user_sgpr_flat_scratch_init 0
		.amdhsa_user_sgpr_kernarg_preload_length 0
		.amdhsa_user_sgpr_kernarg_preload_offset 0
		.amdhsa_user_sgpr_private_segment_size 0
		.amdhsa_uses_dynamic_stack 0
		.amdhsa_system_sgpr_private_segment_wavefront_offset 0
		.amdhsa_system_sgpr_workgroup_id_x 1
		.amdhsa_system_sgpr_workgroup_id_y 0
		.amdhsa_system_sgpr_workgroup_id_z 0
		.amdhsa_system_sgpr_workgroup_info 0
		.amdhsa_system_vgpr_workitem_id 0
		.amdhsa_next_free_vgpr 40
		.amdhsa_next_free_sgpr 7
		.amdhsa_accum_offset 40
		.amdhsa_reserve_vcc 1
		.amdhsa_reserve_flat_scratch 0
		.amdhsa_float_round_mode_32 0
		.amdhsa_float_round_mode_16_64 0
		.amdhsa_float_denorm_mode_32 3
		.amdhsa_float_denorm_mode_16_64 3
		.amdhsa_dx10_clamp 1
		.amdhsa_ieee_mode 1
		.amdhsa_fp16_overflow 0
		.amdhsa_tg_split 0
		.amdhsa_exception_fp_ieee_invalid_op 0
		.amdhsa_exception_fp_denorm_src 0
		.amdhsa_exception_fp_ieee_div_zero 0
		.amdhsa_exception_fp_ieee_overflow 0
		.amdhsa_exception_fp_ieee_underflow 0
		.amdhsa_exception_fp_ieee_inexact 0
		.amdhsa_exception_int_div_zero 0
	.end_amdhsa_kernel
	.section	.text._Z27exclusive_scan_array_kernelILj6ELj32ELN6hipcub18BlockScanAlgorithmE0EfEvPT2_S2_,"axG",@progbits,_Z27exclusive_scan_array_kernelILj6ELj32ELN6hipcub18BlockScanAlgorithmE0EfEvPT2_S2_,comdat
.Lfunc_end247:
	.size	_Z27exclusive_scan_array_kernelILj6ELj32ELN6hipcub18BlockScanAlgorithmE0EfEvPT2_S2_, .Lfunc_end247-_Z27exclusive_scan_array_kernelILj6ELj32ELN6hipcub18BlockScanAlgorithmE0EfEvPT2_S2_
                                        ; -- End function
	.section	.AMDGPU.csdata,"",@progbits
; Kernel info:
; codeLenInByte = 656
; NumSgprs: 11
; NumVgprs: 40
; NumAgprs: 0
; TotalNumVgprs: 40
; ScratchSize: 0
; MemoryBound: 0
; FloatMode: 240
; IeeeMode: 1
; LDSByteSize: 4 bytes/workgroup (compile time only)
; SGPRBlocks: 1
; VGPRBlocks: 4
; NumSGPRsForWavesPerEU: 11
; NumVGPRsForWavesPerEU: 40
; AccumOffset: 40
; Occupancy: 8
; WaveLimiterHint : 0
; COMPUTE_PGM_RSRC2:SCRATCH_EN: 0
; COMPUTE_PGM_RSRC2:USER_SGPR: 6
; COMPUTE_PGM_RSRC2:TRAP_HANDLER: 0
; COMPUTE_PGM_RSRC2:TGID_X_EN: 1
; COMPUTE_PGM_RSRC2:TGID_Y_EN: 0
; COMPUTE_PGM_RSRC2:TGID_Z_EN: 0
; COMPUTE_PGM_RSRC2:TIDIG_COMP_CNT: 0
; COMPUTE_PGM_RSRC3_GFX90A:ACCUM_OFFSET: 9
; COMPUTE_PGM_RSRC3_GFX90A:TG_SPLIT: 0
	.section	.text._Z34exclusive_scan_reduce_array_kernelILj16ELj5ELN6hipcub18BlockScanAlgorithmE1E12hip_bfloat16EvPT2_S4_S3_,"axG",@progbits,_Z34exclusive_scan_reduce_array_kernelILj16ELj5ELN6hipcub18BlockScanAlgorithmE1E12hip_bfloat16EvPT2_S4_S3_,comdat
	.protected	_Z34exclusive_scan_reduce_array_kernelILj16ELj5ELN6hipcub18BlockScanAlgorithmE1E12hip_bfloat16EvPT2_S4_S3_ ; -- Begin function _Z34exclusive_scan_reduce_array_kernelILj16ELj5ELN6hipcub18BlockScanAlgorithmE1E12hip_bfloat16EvPT2_S4_S3_
	.globl	_Z34exclusive_scan_reduce_array_kernelILj16ELj5ELN6hipcub18BlockScanAlgorithmE1E12hip_bfloat16EvPT2_S4_S3_
	.p2align	8
	.type	_Z34exclusive_scan_reduce_array_kernelILj16ELj5ELN6hipcub18BlockScanAlgorithmE1E12hip_bfloat16EvPT2_S4_S3_,@function
_Z34exclusive_scan_reduce_array_kernelILj16ELj5ELN6hipcub18BlockScanAlgorithmE1E12hip_bfloat16EvPT2_S4_S3_: ; @_Z34exclusive_scan_reduce_array_kernelILj16ELj5ELN6hipcub18BlockScanAlgorithmE1E12hip_bfloat16EvPT2_S4_S3_
; %bb.0:
	s_load_dwordx4 s[0:3], s[4:5], 0x0
	v_lshl_or_b32 v1, s6, 4, v0
	v_lshl_add_u32 v8, v1, 2, v1
	v_mov_b32_e32 v9, 0
	v_lshlrev_b64 v[2:3], 1, v[8:9]
	s_waitcnt lgkmcnt(0)
	v_mov_b32_e32 v1, s1
	v_add_co_u32_e32 v2, vcc, s0, v2
	v_add_u32_e32 v4, 1, v8
	v_mov_b32_e32 v5, v9
	v_addc_co_u32_e32 v3, vcc, v1, v3, vcc
	v_lshlrev_b64 v[4:5], 1, v[4:5]
	v_add_co_u32_e32 v4, vcc, s0, v4
	v_add_u32_e32 v6, 3, v8
	v_mov_b32_e32 v7, v9
	v_addc_co_u32_e32 v5, vcc, v1, v5, vcc
	v_lshlrev_b64 v[6:7], 1, v[6:7]
	v_add_u32_e32 v10, 2, v8
	v_add_co_u32_e32 v6, vcc, s0, v6
	v_add_u32_e32 v8, 4, v8
	v_mov_b32_e32 v11, v9
	v_addc_co_u32_e32 v7, vcc, v1, v7, vcc
	v_lshlrev_b64 v[8:9], 1, v[8:9]
	v_add_co_u32_e32 v8, vcc, s0, v8
	v_addc_co_u32_e32 v9, vcc, v1, v9, vcc
	global_load_ushort v16, v[6:7], off
	global_load_ushort v17, v[8:9], off
	;; [unrolled: 1-line block ×4, first 2 shown]
	v_lshlrev_b64 v[10:11], 1, v[10:11]
	v_add_co_u32_e32 v10, vcc, s0, v10
	v_addc_co_u32_e32 v11, vcc, v1, v11, vcc
	global_load_ushort v1, v[10:11], off
	s_mov_b32 s0, 0x7f800000
                                        ; implicit-def: $vgpr18
	s_waitcnt vmcnt(2)
	v_lshlrev_b32_e32 v13, 16, v13
	s_waitcnt vmcnt(1)
	v_lshlrev_b32_e32 v12, 16, v12
	v_mov_b32_e32 v14, v13
	v_pk_add_f32 v[14:15], v[14:15], v[12:13] op_sel_hi:[0,1]
	v_and_b32_e32 v15, 0x7f800000, v14
	v_cmp_ne_u32_e32 vcc, s0, v15
	s_and_saveexec_b64 s[0:1], vcc
	s_xor_b64 s[0:1], exec, s[0:1]
; %bb.1:
	v_bfe_u32 v15, v14, 16, 1
	s_movk_i32 s7, 0x7fff
	v_add3_u32 v18, v14, v15, s7
                                        ; implicit-def: $vgpr14_vgpr15
; %bb.2:
	s_andn2_saveexec_b64 s[0:1], s[0:1]
; %bb.3:
	v_mov_b32_e32 v15, 0
	v_or_b32_e32 v18, 0x10000, v14
	v_cmp_eq_u32_sdwa vcc, v14, v15 src0_sel:WORD_0 src1_sel:DWORD
	v_cndmask_b32_e32 v18, v18, v14, vcc
; %bb.4:
	s_or_b64 exec, exec, s[0:1]
	v_and_b32_e32 v14, 0xffff0000, v18
	s_waitcnt vmcnt(0)
	v_lshlrev_b32_e32 v1, 16, v1
	v_add_f32_e32 v14, v14, v1
	s_mov_b32 s0, 0x7f800000
	v_and_b32_e32 v15, 0x7f800000, v14
	v_cmp_ne_u32_e32 vcc, s0, v15
                                        ; implicit-def: $vgpr15
	s_and_saveexec_b64 s[0:1], vcc
	s_xor_b64 s[0:1], exec, s[0:1]
; %bb.5:
	v_bfe_u32 v15, v14, 16, 1
	s_movk_i32 s7, 0x7fff
	v_add3_u32 v15, v14, v15, s7
                                        ; implicit-def: $vgpr14
; %bb.6:
	s_andn2_saveexec_b64 s[0:1], s[0:1]
; %bb.7:
	v_mov_b32_e32 v15, 0
	v_or_b32_e32 v18, 0x10000, v14
	v_cmp_eq_u32_sdwa vcc, v14, v15 src0_sel:WORD_0 src1_sel:DWORD
	v_cndmask_b32_e32 v15, v18, v14, vcc
; %bb.8:
	s_or_b64 exec, exec, s[0:1]
	v_and_b32_e32 v14, 0xffff0000, v15
	v_lshlrev_b32_e32 v16, 16, v16
	v_add_f32_e32 v14, v14, v16
	s_mov_b32 s0, 0x7f800000
	v_and_b32_e32 v15, 0x7f800000, v14
	v_cmp_ne_u32_e32 vcc, s0, v15
                                        ; implicit-def: $vgpr15
	s_and_saveexec_b64 s[0:1], vcc
	s_xor_b64 s[0:1], exec, s[0:1]
; %bb.9:
	v_bfe_u32 v15, v14, 16, 1
	s_movk_i32 s7, 0x7fff
	v_add3_u32 v15, v14, v15, s7
                                        ; implicit-def: $vgpr14
; %bb.10:
	s_andn2_saveexec_b64 s[0:1], s[0:1]
; %bb.11:
	v_mov_b32_e32 v15, 0
	v_or_b32_e32 v18, 0x10000, v14
	v_cmp_eq_u32_sdwa vcc, v14, v15 src0_sel:WORD_0 src1_sel:DWORD
	v_cndmask_b32_e32 v15, v18, v14, vcc
; %bb.12:
	s_or_b64 exec, exec, s[0:1]
	v_and_b32_e32 v14, 0xffff0000, v15
	v_lshlrev_b32_e32 v15, 16, v17
	v_add_f32_e32 v14, v14, v15
	s_mov_b32 s0, 0x7f800000
	v_and_b32_e32 v15, 0x7f800000, v14
	v_cmp_ne_u32_e32 vcc, s0, v15
                                        ; implicit-def: $vgpr17
	s_and_saveexec_b64 s[0:1], vcc
	s_xor_b64 s[0:1], exec, s[0:1]
; %bb.13:
	v_bfe_u32 v15, v14, 16, 1
	s_movk_i32 s7, 0x7fff
	v_add3_u32 v17, v14, v15, s7
                                        ; implicit-def: $vgpr14
; %bb.14:
	s_andn2_saveexec_b64 s[0:1], s[0:1]
; %bb.15:
	v_mov_b32_e32 v15, 0
	v_or_b32_e32 v17, 0x10000, v14
	v_cmp_eq_u32_sdwa vcc, v14, v15 src0_sel:WORD_0 src1_sel:DWORD
	v_cndmask_b32_e32 v17, v17, v14, vcc
; %bb.16:
	s_or_b64 exec, exec, s[0:1]
	v_lshrrev_b32_e32 v15, 16, v17
	v_and_b32_e32 v18, 0xffff0000, v17
	s_mov_b32 s0, 0x7f800000
	v_mov_b32_dpp v14, v15 row_shr:1 row_mask:0xf bank_mask:0xf
	v_lshlrev_b32_e32 v14, 16, v14
	v_add_f32_e32 v14, v18, v14
	v_and_b32_e32 v17, 0x7f800000, v14
	v_cmp_ne_u32_e32 vcc, s0, v17
                                        ; implicit-def: $vgpr19
	s_and_saveexec_b64 s[0:1], vcc
	s_xor_b64 s[0:1], exec, s[0:1]
; %bb.17:
	v_bfe_u32 v17, v14, 16, 1
	s_movk_i32 s7, 0x7fff
	v_add3_u32 v19, v14, v17, s7
                                        ; implicit-def: $vgpr14
; %bb.18:
	s_andn2_saveexec_b64 s[0:1], s[0:1]
; %bb.19:
	v_mov_b32_e32 v17, 0
	v_or_b32_e32 v19, 0x10000, v14
	v_cmp_eq_u32_sdwa vcc, v14, v17 src0_sel:WORD_0 src1_sel:DWORD
	v_cndmask_b32_e32 v19, v19, v14, vcc
; %bb.20:
	s_or_b64 exec, exec, s[0:1]
	v_mbcnt_lo_u32_b32 v14, -1, 0
	v_mbcnt_hi_u32_b32 v17, -1, v14
	v_and_b32_e32 v14, 15, v17
	v_lshrrev_b32_e32 v20, 16, v19
	v_cmp_eq_u32_e32 vcc, 0, v14
	v_and_b32_e32 v19, 0xffff0000, v19
	v_cndmask_b32_e32 v15, v20, v15, vcc
	v_cndmask_b32_e32 v18, v19, v18, vcc
	s_mov_b32 s0, 0x7f800000
	v_mov_b32_dpp v19, v15 row_shr:2 row_mask:0xf bank_mask:0xf
	v_lshlrev_b32_e32 v19, 16, v19
	v_add_f32_e32 v19, v18, v19
	v_and_b32_e32 v20, 0x7f800000, v19
	v_cmp_ne_u32_e32 vcc, s0, v20
                                        ; implicit-def: $vgpr20
	s_and_saveexec_b64 s[0:1], vcc
	s_xor_b64 s[0:1], exec, s[0:1]
; %bb.21:
	v_bfe_u32 v20, v19, 16, 1
	s_movk_i32 s7, 0x7fff
	v_add3_u32 v20, v19, v20, s7
                                        ; implicit-def: $vgpr19
; %bb.22:
	s_andn2_saveexec_b64 s[0:1], s[0:1]
; %bb.23:
	v_mov_b32_e32 v20, 0
	v_or_b32_e32 v21, 0x10000, v19
	v_cmp_eq_u32_sdwa vcc, v19, v20 src0_sel:WORD_0 src1_sel:DWORD
	v_cndmask_b32_e32 v20, v21, v19, vcc
; %bb.24:
	s_or_b64 exec, exec, s[0:1]
	v_lshrrev_b32_e32 v19, 16, v20
	v_cmp_lt_u32_e32 vcc, 1, v14
	v_cndmask_b32_e32 v15, v15, v19, vcc
	v_and_b32_e32 v20, 0xffff0000, v20
	v_cndmask_b32_e32 v18, v18, v20, vcc
	v_mov_b32_dpp v19, v15 row_shr:4 row_mask:0xf bank_mask:0xf
	v_lshlrev_b32_e32 v19, 16, v19
	v_add_f32_e32 v19, v18, v19
	s_mov_b32 s0, 0x7f800000
	v_and_b32_e32 v20, 0x7f800000, v19
	v_cmp_ne_u32_e32 vcc, s0, v20
                                        ; implicit-def: $vgpr20
	s_and_saveexec_b64 s[0:1], vcc
	s_xor_b64 s[0:1], exec, s[0:1]
; %bb.25:
	v_bfe_u32 v20, v19, 16, 1
	s_movk_i32 s7, 0x7fff
	v_add3_u32 v20, v19, v20, s7
                                        ; implicit-def: $vgpr19
; %bb.26:
	s_andn2_saveexec_b64 s[0:1], s[0:1]
; %bb.27:
	v_mov_b32_e32 v20, 0
	v_or_b32_e32 v21, 0x10000, v19
	v_cmp_eq_u32_sdwa vcc, v19, v20 src0_sel:WORD_0 src1_sel:DWORD
	v_cndmask_b32_e32 v20, v21, v19, vcc
; %bb.28:
	s_or_b64 exec, exec, s[0:1]
	v_lshrrev_b32_e32 v19, 16, v20
	v_cmp_lt_u32_e32 vcc, 3, v14
	v_cndmask_b32_e32 v15, v15, v19, vcc
	v_and_b32_e32 v20, 0xffff0000, v20
	v_cndmask_b32_e32 v18, v18, v20, vcc
	v_mov_b32_dpp v19, v15 row_shr:8 row_mask:0xf bank_mask:0xf
	v_lshlrev_b32_e32 v19, 16, v19
	v_add_f32_e32 v18, v18, v19
	s_mov_b32 s0, 0x7f800000
	v_and_b32_e32 v19, 0x7f800000, v18
	v_cmp_ne_u32_e32 vcc, s0, v19
                                        ; implicit-def: $vgpr19
	s_and_saveexec_b64 s[0:1], vcc
	s_xor_b64 s[0:1], exec, s[0:1]
; %bb.29:
	v_bfe_u32 v19, v18, 16, 1
	s_movk_i32 s7, 0x7fff
	v_add3_u32 v19, v18, v19, s7
                                        ; implicit-def: $vgpr18
; %bb.30:
	s_andn2_saveexec_b64 s[0:1], s[0:1]
; %bb.31:
	v_mov_b32_e32 v19, 0
	v_or_b32_e32 v20, 0x10000, v18
	v_cmp_eq_u32_sdwa vcc, v18, v19 src0_sel:WORD_0 src1_sel:DWORD
	v_cndmask_b32_e32 v19, v20, v18, vcc
; %bb.32:
	s_or_b64 exec, exec, s[0:1]
	v_lshrrev_b32_e32 v18, 16, v19
	v_cmp_lt_u32_e32 vcc, 7, v14
	v_cndmask_b32_e32 v14, v15, v18, vcc
	v_cmp_eq_u32_e32 vcc, 15, v0
	s_and_saveexec_b64 s[0:1], vcc
	s_cbranch_execz .LBB248_34
; %bb.33:
	v_mov_b32_e32 v15, 0
	ds_write_b16 v15, v14
.LBB248_34:
	s_or_b64 exec, exec, s[0:1]
	s_load_dword s4, s[4:5], 0x10
	v_lshlrev_b32_e32 v14, 16, v14
	s_waitcnt lgkmcnt(0)
	; wave barrier
	s_waitcnt lgkmcnt(0)
                                        ; implicit-def: $vgpr18
	s_waitcnt lgkmcnt(0)
	s_lshl_b32 s0, s4, 16
	v_pk_add_f32 v[14:15], v[14:15], s[0:1] op_sel_hi:[0,1]
	s_mov_b32 s0, 0x7f800000
	v_and_b32_e32 v15, 0x7f800000, v14
	v_cmp_ne_u32_e32 vcc, s0, v15
	s_and_saveexec_b64 s[0:1], vcc
	s_xor_b64 s[0:1], exec, s[0:1]
; %bb.35:
	v_bfe_u32 v15, v14, 16, 1
	s_movk_i32 s5, 0x7fff
	v_add3_u32 v18, v14, v15, s5
                                        ; implicit-def: $vgpr14_vgpr15
; %bb.36:
	s_andn2_saveexec_b64 s[0:1], s[0:1]
; %bb.37:
	v_mov_b32_e32 v15, 0
	v_or_b32_e32 v18, 0x10000, v14
	v_cmp_eq_u32_sdwa vcc, v14, v15 src0_sel:WORD_0 src1_sel:DWORD
	v_cndmask_b32_e32 v18, v18, v14, vcc
; %bb.38:
	s_or_b64 exec, exec, s[0:1]
	v_lshrrev_b32_e32 v14, 16, v18
	v_add_u32_e32 v15, -1, v17
	v_and_b32_e32 v18, 0x70, v17
	v_cmp_lt_i32_e32 vcc, v15, v18
	v_cndmask_b32_e32 v15, v15, v17, vcc
	v_lshlrev_b32_e32 v15, 2, v15
	ds_bpermute_b32 v14, v15, v14
	v_cmp_eq_u32_e64 s[0:1], 0, v17
	v_cmp_eq_u32_e32 vcc, 0, v0
	v_mov_b32_e32 v0, s4
	s_or_b64 s[0:1], vcc, s[0:1]
	s_waitcnt lgkmcnt(0)
	v_cndmask_b32_e64 v0, v14, v0, s[0:1]
	v_lshlrev_b32_e32 v14, 16, v0
	v_add_f32_e32 v14, v12, v14
	s_mov_b32 s0, 0x7f800000
	v_and_b32_e32 v12, 0x7f800000, v14
	v_cmp_ne_u32_e64 s[0:1], s0, v12
                                        ; implicit-def: $vgpr12
	s_and_saveexec_b64 s[4:5], s[0:1]
	s_xor_b64 s[0:1], exec, s[4:5]
; %bb.39:
	v_bfe_u32 v12, v14, 16, 1
	s_movk_i32 s4, 0x7fff
	v_add3_u32 v12, v14, v12, s4
                                        ; implicit-def: $vgpr14
; %bb.40:
	s_andn2_saveexec_b64 s[4:5], s[0:1]
; %bb.41:
	v_mov_b32_e32 v12, 0
	v_or_b32_e32 v15, 0x10000, v14
	v_cmp_eq_u32_sdwa s[0:1], v14, v12 src0_sel:WORD_0 src1_sel:DWORD
	v_cndmask_b32_e64 v12, v15, v14, s[0:1]
; %bb.42:
	s_or_b64 exec, exec, s[4:5]
	v_and_b32_e32 v14, 0xffff0000, v12
	v_add_f32_e32 v14, v13, v14
	s_mov_b32 s0, 0x7f800000
	v_and_b32_e32 v13, 0x7f800000, v14
	v_cmp_ne_u32_e64 s[0:1], s0, v13
                                        ; implicit-def: $vgpr13
	s_and_saveexec_b64 s[4:5], s[0:1]
	s_xor_b64 s[0:1], exec, s[4:5]
; %bb.43:
	v_bfe_u32 v13, v14, 16, 1
	s_movk_i32 s4, 0x7fff
	v_add3_u32 v13, v14, v13, s4
                                        ; implicit-def: $vgpr14
; %bb.44:
	s_andn2_saveexec_b64 s[4:5], s[0:1]
; %bb.45:
	v_mov_b32_e32 v13, 0
	v_or_b32_e32 v15, 0x10000, v14
	v_cmp_eq_u32_sdwa s[0:1], v14, v13 src0_sel:WORD_0 src1_sel:DWORD
	v_cndmask_b32_e64 v13, v15, v14, s[0:1]
; %bb.46:
	s_or_b64 exec, exec, s[4:5]
	v_and_b32_e32 v14, 0xffff0000, v13
	v_add_f32_e32 v14, v14, v1
	s_mov_b32 s0, 0x7f800000
	v_and_b32_e32 v1, 0x7f800000, v14
	v_cmp_ne_u32_e64 s[0:1], s0, v1
                                        ; implicit-def: $vgpr1
	s_and_saveexec_b64 s[4:5], s[0:1]
	s_xor_b64 s[0:1], exec, s[4:5]
; %bb.47:
	v_bfe_u32 v1, v14, 16, 1
	s_movk_i32 s4, 0x7fff
	v_add3_u32 v1, v14, v1, s4
                                        ; implicit-def: $vgpr14
; %bb.48:
	s_andn2_saveexec_b64 s[4:5], s[0:1]
; %bb.49:
	v_mov_b32_e32 v1, 0
	v_or_b32_e32 v15, 0x10000, v14
	v_cmp_eq_u32_sdwa s[0:1], v14, v1 src0_sel:WORD_0 src1_sel:DWORD
	v_cndmask_b32_e64 v1, v15, v14, s[0:1]
; %bb.50:
	s_or_b64 exec, exec, s[4:5]
	v_and_b32_e32 v14, 0xffff0000, v1
	v_add_f32_e32 v14, v14, v16
	s_mov_b32 s0, 0x7f800000
	v_and_b32_e32 v15, 0x7f800000, v14
	v_cmp_ne_u32_e64 s[0:1], s0, v15
                                        ; implicit-def: $vgpr15
	s_and_saveexec_b64 s[4:5], s[0:1]
	s_xor_b64 s[0:1], exec, s[4:5]
; %bb.51:
	v_bfe_u32 v15, v14, 16, 1
	s_movk_i32 s4, 0x7fff
	v_add3_u32 v15, v14, v15, s4
                                        ; implicit-def: $vgpr14
; %bb.52:
	s_andn2_saveexec_b64 s[4:5], s[0:1]
; %bb.53:
	v_mov_b32_e32 v15, 0
	v_or_b32_e32 v16, 0x10000, v14
	v_cmp_eq_u32_sdwa s[0:1], v14, v15 src0_sel:WORD_0 src1_sel:DWORD
	v_cndmask_b32_e64 v15, v16, v14, s[0:1]
; %bb.54:
	s_or_b64 exec, exec, s[4:5]
	global_store_short v[2:3], v0, off
	global_store_short_d16_hi v[4:5], v12, off
	global_store_short_d16_hi v[10:11], v13, off
	;; [unrolled: 1-line block ×4, first 2 shown]
	s_and_saveexec_b64 s[0:1], vcc
	s_cbranch_execz .LBB248_56
; %bb.55:
	v_mov_b32_e32 v0, 0
	ds_read_u16 v1, v0
	s_mov_b32 s7, 0
	s_lshl_b64 s[0:1], s[6:7], 1
	s_add_u32 s0, s2, s0
	s_addc_u32 s1, s3, s1
	s_waitcnt lgkmcnt(0)
	global_store_short v0, v1, s[0:1]
.LBB248_56:
	s_endpgm
	.section	.rodata,"a",@progbits
	.p2align	6, 0x0
	.amdhsa_kernel _Z34exclusive_scan_reduce_array_kernelILj16ELj5ELN6hipcub18BlockScanAlgorithmE1E12hip_bfloat16EvPT2_S4_S3_
		.amdhsa_group_segment_fixed_size 2
		.amdhsa_private_segment_fixed_size 0
		.amdhsa_kernarg_size 20
		.amdhsa_user_sgpr_count 6
		.amdhsa_user_sgpr_private_segment_buffer 1
		.amdhsa_user_sgpr_dispatch_ptr 0
		.amdhsa_user_sgpr_queue_ptr 0
		.amdhsa_user_sgpr_kernarg_segment_ptr 1
		.amdhsa_user_sgpr_dispatch_id 0
		.amdhsa_user_sgpr_flat_scratch_init 0
		.amdhsa_user_sgpr_kernarg_preload_length 0
		.amdhsa_user_sgpr_kernarg_preload_offset 0
		.amdhsa_user_sgpr_private_segment_size 0
		.amdhsa_uses_dynamic_stack 0
		.amdhsa_system_sgpr_private_segment_wavefront_offset 0
		.amdhsa_system_sgpr_workgroup_id_x 1
		.amdhsa_system_sgpr_workgroup_id_y 0
		.amdhsa_system_sgpr_workgroup_id_z 0
		.amdhsa_system_sgpr_workgroup_info 0
		.amdhsa_system_vgpr_workitem_id 0
		.amdhsa_next_free_vgpr 22
		.amdhsa_next_free_sgpr 8
		.amdhsa_accum_offset 24
		.amdhsa_reserve_vcc 1
		.amdhsa_reserve_flat_scratch 0
		.amdhsa_float_round_mode_32 0
		.amdhsa_float_round_mode_16_64 0
		.amdhsa_float_denorm_mode_32 3
		.amdhsa_float_denorm_mode_16_64 3
		.amdhsa_dx10_clamp 1
		.amdhsa_ieee_mode 1
		.amdhsa_fp16_overflow 0
		.amdhsa_tg_split 0
		.amdhsa_exception_fp_ieee_invalid_op 0
		.amdhsa_exception_fp_denorm_src 0
		.amdhsa_exception_fp_ieee_div_zero 0
		.amdhsa_exception_fp_ieee_overflow 0
		.amdhsa_exception_fp_ieee_underflow 0
		.amdhsa_exception_fp_ieee_inexact 0
		.amdhsa_exception_int_div_zero 0
	.end_amdhsa_kernel
	.section	.text._Z34exclusive_scan_reduce_array_kernelILj16ELj5ELN6hipcub18BlockScanAlgorithmE1E12hip_bfloat16EvPT2_S4_S3_,"axG",@progbits,_Z34exclusive_scan_reduce_array_kernelILj16ELj5ELN6hipcub18BlockScanAlgorithmE1E12hip_bfloat16EvPT2_S4_S3_,comdat
.Lfunc_end248:
	.size	_Z34exclusive_scan_reduce_array_kernelILj16ELj5ELN6hipcub18BlockScanAlgorithmE1E12hip_bfloat16EvPT2_S4_S3_, .Lfunc_end248-_Z34exclusive_scan_reduce_array_kernelILj16ELj5ELN6hipcub18BlockScanAlgorithmE1E12hip_bfloat16EvPT2_S4_S3_
                                        ; -- End function
	.section	.AMDGPU.csdata,"",@progbits
; Kernel info:
; codeLenInByte = 1784
; NumSgprs: 12
; NumVgprs: 22
; NumAgprs: 0
; TotalNumVgprs: 22
; ScratchSize: 0
; MemoryBound: 0
; FloatMode: 240
; IeeeMode: 1
; LDSByteSize: 2 bytes/workgroup (compile time only)
; SGPRBlocks: 1
; VGPRBlocks: 2
; NumSGPRsForWavesPerEU: 12
; NumVGPRsForWavesPerEU: 22
; AccumOffset: 24
; Occupancy: 8
; WaveLimiterHint : 0
; COMPUTE_PGM_RSRC2:SCRATCH_EN: 0
; COMPUTE_PGM_RSRC2:USER_SGPR: 6
; COMPUTE_PGM_RSRC2:TRAP_HANDLER: 0
; COMPUTE_PGM_RSRC2:TGID_X_EN: 1
; COMPUTE_PGM_RSRC2:TGID_Y_EN: 0
; COMPUTE_PGM_RSRC2:TGID_Z_EN: 0
; COMPUTE_PGM_RSRC2:TIDIG_COMP_CNT: 0
; COMPUTE_PGM_RSRC3_GFX90A:ACCUM_OFFSET: 5
; COMPUTE_PGM_RSRC3_GFX90A:TG_SPLIT: 0
	.section	.text._Z34exclusive_scan_reduce_array_kernelILj65ELj5ELN6hipcub18BlockScanAlgorithmE1E6__halfEvPT2_S4_S3_,"axG",@progbits,_Z34exclusive_scan_reduce_array_kernelILj65ELj5ELN6hipcub18BlockScanAlgorithmE1E6__halfEvPT2_S4_S3_,comdat
	.protected	_Z34exclusive_scan_reduce_array_kernelILj65ELj5ELN6hipcub18BlockScanAlgorithmE1E6__halfEvPT2_S4_S3_ ; -- Begin function _Z34exclusive_scan_reduce_array_kernelILj65ELj5ELN6hipcub18BlockScanAlgorithmE1E6__halfEvPT2_S4_S3_
	.globl	_Z34exclusive_scan_reduce_array_kernelILj65ELj5ELN6hipcub18BlockScanAlgorithmE1E6__halfEvPT2_S4_S3_
	.p2align	8
	.type	_Z34exclusive_scan_reduce_array_kernelILj65ELj5ELN6hipcub18BlockScanAlgorithmE1E6__halfEvPT2_S4_S3_,@function
_Z34exclusive_scan_reduce_array_kernelILj65ELj5ELN6hipcub18BlockScanAlgorithmE1E6__halfEvPT2_S4_S3_: ; @_Z34exclusive_scan_reduce_array_kernelILj65ELj5ELN6hipcub18BlockScanAlgorithmE1E6__halfEvPT2_S4_S3_
; %bb.0:
	s_load_dwordx4 s[0:3], s[4:5], 0x0
	s_load_dword s7, s[4:5], 0x10
	s_mul_i32 s4, s6, 0x41
	v_add_u32_e32 v1, s4, v0
	v_lshl_add_u32 v10, v1, 2, v1
	v_mov_b32_e32 v11, 0
	v_lshlrev_b64 v[2:3], 1, v[10:11]
	s_waitcnt lgkmcnt(0)
	v_mov_b32_e32 v1, s1
	v_add_co_u32_e32 v2, vcc, s0, v2
	v_add_u32_e32 v4, 1, v10
	v_mov_b32_e32 v5, v11
	v_addc_co_u32_e32 v3, vcc, v1, v3, vcc
	v_lshlrev_b64 v[4:5], 1, v[4:5]
	v_add_co_u32_e32 v4, vcc, s0, v4
	v_add_u32_e32 v6, 2, v10
	v_mov_b32_e32 v7, v11
	v_addc_co_u32_e32 v5, vcc, v1, v5, vcc
	v_lshlrev_b64 v[6:7], 1, v[6:7]
	v_add_co_u32_e32 v6, vcc, s0, v6
	v_add_u32_e32 v8, 3, v10
	v_mov_b32_e32 v9, v11
	v_addc_co_u32_e32 v7, vcc, v1, v7, vcc
	v_lshlrev_b64 v[8:9], 1, v[8:9]
	v_add_co_u32_e32 v8, vcc, s0, v8
	v_add_u32_e32 v10, 4, v10
	v_addc_co_u32_e32 v9, vcc, v1, v9, vcc
	v_lshlrev_b64 v[10:11], 1, v[10:11]
	v_add_co_u32_e32 v10, vcc, s0, v10
	v_addc_co_u32_e32 v11, vcc, v1, v11, vcc
	global_load_ushort v1, v[2:3], off
	global_load_ushort v12, v[4:5], off
	global_load_ushort v13, v[6:7], off
	global_load_ushort v14, v[8:9], off
	global_load_ushort v15, v[10:11], off
	v_lshrrev_b32_e32 v16, 5, v0
	v_add_lshl_u32 v16, v16, v0, 1
	v_cmp_gt_u32_e32 vcc, 64, v0
	s_waitcnt vmcnt(3)
	v_add_f16_e32 v17, v1, v12
	s_waitcnt vmcnt(2)
	v_add_f16_e32 v17, v17, v13
	s_waitcnt vmcnt(1)
	v_add_f16_e32 v17, v17, v14
	s_waitcnt vmcnt(0)
	v_add_f16_e32 v15, v17, v15
	ds_write_b16 v16, v15
	s_waitcnt lgkmcnt(0)
	s_barrier
	s_and_saveexec_b64 s[0:1], vcc
	s_cbranch_execz .LBB249_2
; %bb.1:
	v_lshlrev_b32_e32 v16, 1, v0
	v_lshrrev_b32_e32 v17, 4, v0
	v_add_lshl_u32 v16, v17, v16, 1
	ds_read_u16 v17, v16
	ds_read_u16 v18, v16 offset:2
	v_mbcnt_lo_u32_b32 v19, -1, 0
	v_mbcnt_hi_u32_b32 v19, -1, v19
	v_and_b32_e32 v21, 15, v19
	v_cmp_eq_u32_e32 vcc, 0, v21
	s_waitcnt lgkmcnt(0)
	v_add_f16_e32 v20, v17, v18
	s_nop 1
	v_mov_b32_dpp v22, v20 row_shr:1 row_mask:0xf bank_mask:0xf
	v_add_f16_e32 v22, v20, v22
	v_cndmask_b32_e32 v20, v22, v20, vcc
	v_and_b32_e32 v22, 0xffff, v20
	v_cmp_lt_u32_e32 vcc, 1, v21
	s_nop 0
	v_mov_b32_dpp v22, v22 row_shr:2 row_mask:0xf bank_mask:0xf
	v_add_f16_e32 v22, v20, v22
	v_cndmask_b32_e32 v20, v20, v22, vcc
	v_and_b32_e32 v22, 0xffff, v20
	v_cmp_lt_u32_e32 vcc, 3, v21
	;; [unrolled: 6-line block ×3, first 2 shown]
	s_nop 0
	v_mov_b32_dpp v22, v22 row_shr:8 row_mask:0xf bank_mask:0xf
	v_add_f16_e32 v22, v20, v22
	v_cndmask_b32_e32 v20, v20, v22, vcc
	v_and_b32_e32 v21, 0xffff, v20
	v_and_b32_e32 v22, 16, v19
	v_cmp_eq_u32_e32 vcc, 0, v22
	v_mov_b32_dpp v21, v21 row_bcast:15 row_mask:0xf bank_mask:0xf
	v_add_f16_e32 v21, v20, v21
	v_cndmask_b32_e32 v20, v21, v20, vcc
	v_and_b32_e32 v21, 0xffff, v20
	v_cmp_lt_u32_e32 vcc, 31, v19
	v_and_b32_e32 v22, 64, v19
	v_mov_b32_dpp v21, v21 row_bcast:31 row_mask:0xf bank_mask:0xf
	v_add_f16_e32 v21, v20, v21
	v_cndmask_b32_e32 v20, v20, v21, vcc
	v_add_u32_e32 v21, -1, v19
	v_cmp_lt_i32_e32 vcc, v21, v22
	v_cndmask_b32_e32 v19, v21, v19, vcc
	v_and_b32_e32 v20, 0xffff, v20
	v_lshlrev_b32_e32 v19, 2, v19
	ds_bpermute_b32 v19, v19, v20
	v_cmp_eq_u32_e32 vcc, 0, v0
	s_waitcnt lgkmcnt(0)
	v_add_f16_e32 v17, v17, v19
	v_cndmask_b32_e32 v15, v17, v15, vcc
	ds_write_b16 v16, v15
	v_add_f16_e32 v15, v18, v15
	ds_write_b16 v16, v15 offset:2
.LBB249_2:
	s_or_b64 exec, exec, s[0:1]
	v_cmp_eq_u32_e32 vcc, 0, v0
	v_cmp_ne_u32_e64 s[0:1], 0, v0
	v_mov_b32_e32 v15, s7
	s_waitcnt lgkmcnt(0)
	s_barrier
	s_and_saveexec_b64 s[4:5], s[0:1]
	s_cbranch_execz .LBB249_4
; %bb.3:
	v_add_u32_e32 v0, -1, v0
	v_lshrrev_b32_e32 v15, 5, v0
	v_add_lshl_u32 v0, v15, v0, 1
	ds_read_u16 v0, v0
	s_waitcnt lgkmcnt(0)
	v_add_f16_e32 v15, s7, v0
.LBB249_4:
	s_or_b64 exec, exec, s[4:5]
	v_add_f16_e32 v0, v1, v15
	v_add_f16_e32 v1, v0, v12
	;; [unrolled: 1-line block ×4, first 2 shown]
	global_store_short v[2:3], v15, off
	global_store_short v[4:5], v0, off
	;; [unrolled: 1-line block ×5, first 2 shown]
	s_and_saveexec_b64 s[0:1], vcc
	s_cbranch_execz .LBB249_6
; %bb.5:
	v_mov_b32_e32 v0, 0
	ds_read_u16 v1, v0 offset:132
	s_mov_b32 s7, 0
	s_lshl_b64 s[0:1], s[6:7], 1
	s_add_u32 s0, s2, s0
	s_addc_u32 s1, s3, s1
	s_waitcnt lgkmcnt(0)
	global_store_short v0, v1, s[0:1]
.LBB249_6:
	s_endpgm
	.section	.rodata,"a",@progbits
	.p2align	6, 0x0
	.amdhsa_kernel _Z34exclusive_scan_reduce_array_kernelILj65ELj5ELN6hipcub18BlockScanAlgorithmE1E6__halfEvPT2_S4_S3_
		.amdhsa_group_segment_fixed_size 264
		.amdhsa_private_segment_fixed_size 0
		.amdhsa_kernarg_size 20
		.amdhsa_user_sgpr_count 6
		.amdhsa_user_sgpr_private_segment_buffer 1
		.amdhsa_user_sgpr_dispatch_ptr 0
		.amdhsa_user_sgpr_queue_ptr 0
		.amdhsa_user_sgpr_kernarg_segment_ptr 1
		.amdhsa_user_sgpr_dispatch_id 0
		.amdhsa_user_sgpr_flat_scratch_init 0
		.amdhsa_user_sgpr_kernarg_preload_length 0
		.amdhsa_user_sgpr_kernarg_preload_offset 0
		.amdhsa_user_sgpr_private_segment_size 0
		.amdhsa_uses_dynamic_stack 0
		.amdhsa_system_sgpr_private_segment_wavefront_offset 0
		.amdhsa_system_sgpr_workgroup_id_x 1
		.amdhsa_system_sgpr_workgroup_id_y 0
		.amdhsa_system_sgpr_workgroup_id_z 0
		.amdhsa_system_sgpr_workgroup_info 0
		.amdhsa_system_vgpr_workitem_id 0
		.amdhsa_next_free_vgpr 23
		.amdhsa_next_free_sgpr 8
		.amdhsa_accum_offset 24
		.amdhsa_reserve_vcc 1
		.amdhsa_reserve_flat_scratch 0
		.amdhsa_float_round_mode_32 0
		.amdhsa_float_round_mode_16_64 0
		.amdhsa_float_denorm_mode_32 3
		.amdhsa_float_denorm_mode_16_64 3
		.amdhsa_dx10_clamp 1
		.amdhsa_ieee_mode 1
		.amdhsa_fp16_overflow 0
		.amdhsa_tg_split 0
		.amdhsa_exception_fp_ieee_invalid_op 0
		.amdhsa_exception_fp_denorm_src 0
		.amdhsa_exception_fp_ieee_div_zero 0
		.amdhsa_exception_fp_ieee_overflow 0
		.amdhsa_exception_fp_ieee_underflow 0
		.amdhsa_exception_fp_ieee_inexact 0
		.amdhsa_exception_int_div_zero 0
	.end_amdhsa_kernel
	.section	.text._Z34exclusive_scan_reduce_array_kernelILj65ELj5ELN6hipcub18BlockScanAlgorithmE1E6__halfEvPT2_S4_S3_,"axG",@progbits,_Z34exclusive_scan_reduce_array_kernelILj65ELj5ELN6hipcub18BlockScanAlgorithmE1E6__halfEvPT2_S4_S3_,comdat
.Lfunc_end249:
	.size	_Z34exclusive_scan_reduce_array_kernelILj65ELj5ELN6hipcub18BlockScanAlgorithmE1E6__halfEvPT2_S4_S3_, .Lfunc_end249-_Z34exclusive_scan_reduce_array_kernelILj65ELj5ELN6hipcub18BlockScanAlgorithmE1E6__halfEvPT2_S4_S3_
                                        ; -- End function
	.section	.AMDGPU.csdata,"",@progbits
; Kernel info:
; codeLenInByte = 760
; NumSgprs: 12
; NumVgprs: 23
; NumAgprs: 0
; TotalNumVgprs: 23
; ScratchSize: 0
; MemoryBound: 0
; FloatMode: 240
; IeeeMode: 1
; LDSByteSize: 264 bytes/workgroup (compile time only)
; SGPRBlocks: 1
; VGPRBlocks: 2
; NumSGPRsForWavesPerEU: 12
; NumVGPRsForWavesPerEU: 23
; AccumOffset: 24
; Occupancy: 8
; WaveLimiterHint : 0
; COMPUTE_PGM_RSRC2:SCRATCH_EN: 0
; COMPUTE_PGM_RSRC2:USER_SGPR: 6
; COMPUTE_PGM_RSRC2:TRAP_HANDLER: 0
; COMPUTE_PGM_RSRC2:TGID_X_EN: 1
; COMPUTE_PGM_RSRC2:TGID_Y_EN: 0
; COMPUTE_PGM_RSRC2:TGID_Z_EN: 0
; COMPUTE_PGM_RSRC2:TIDIG_COMP_CNT: 0
; COMPUTE_PGM_RSRC3_GFX90A:ACCUM_OFFSET: 5
; COMPUTE_PGM_RSRC3_GFX90A:TG_SPLIT: 0
	.section	.text._Z34exclusive_scan_reduce_array_kernelILj255ELj15ELN6hipcub18BlockScanAlgorithmE1EfEvPT2_S3_S2_,"axG",@progbits,_Z34exclusive_scan_reduce_array_kernelILj255ELj15ELN6hipcub18BlockScanAlgorithmE1EfEvPT2_S3_S2_,comdat
	.protected	_Z34exclusive_scan_reduce_array_kernelILj255ELj15ELN6hipcub18BlockScanAlgorithmE1EfEvPT2_S3_S2_ ; -- Begin function _Z34exclusive_scan_reduce_array_kernelILj255ELj15ELN6hipcub18BlockScanAlgorithmE1EfEvPT2_S3_S2_
	.globl	_Z34exclusive_scan_reduce_array_kernelILj255ELj15ELN6hipcub18BlockScanAlgorithmE1EfEvPT2_S3_S2_
	.p2align	8
	.type	_Z34exclusive_scan_reduce_array_kernelILj255ELj15ELN6hipcub18BlockScanAlgorithmE1EfEvPT2_S3_S2_,@function
_Z34exclusive_scan_reduce_array_kernelILj255ELj15ELN6hipcub18BlockScanAlgorithmE1EfEvPT2_S3_S2_: ; @_Z34exclusive_scan_reduce_array_kernelILj255ELj15ELN6hipcub18BlockScanAlgorithmE1EfEvPT2_S3_S2_
; %bb.0:
	s_load_dwordx4 s[0:3], s[4:5], 0x0
	s_mul_i32 s7, s6, 0xff
	v_add_u32_e32 v1, s7, v0
	v_mul_lo_u32 v30, v1, 15
	v_mov_b32_e32 v31, 0
	v_lshlrev_b64 v[2:3], 2, v[30:31]
	s_waitcnt lgkmcnt(0)
	v_mov_b32_e32 v1, s1
	v_add_co_u32_e32 v2, vcc, s0, v2
	v_add_u32_e32 v4, 1, v30
	v_mov_b32_e32 v5, v31
	v_addc_co_u32_e32 v3, vcc, v1, v3, vcc
	v_lshlrev_b64 v[4:5], 2, v[4:5]
	v_add_co_u32_e32 v4, vcc, s0, v4
	v_add_u32_e32 v6, 2, v30
	v_mov_b32_e32 v7, v31
	v_addc_co_u32_e32 v5, vcc, v1, v5, vcc
	v_lshlrev_b64 v[6:7], 2, v[6:7]
	;; [unrolled: 5-line block ×8, first 2 shown]
	v_mov_b32_e32 v20, s1
	v_add_co_u32_e32 v18, vcc, s0, v18
	v_addc_co_u32_e32 v19, vcc, v20, v19, vcc
	v_add_u32_e32 v20, 9, v30
	v_mov_b32_e32 v21, v31
	v_lshlrev_b64 v[20:21], 2, v[20:21]
	v_mov_b32_e32 v22, s1
	v_add_co_u32_e32 v20, vcc, s0, v20
	v_addc_co_u32_e32 v21, vcc, v22, v21, vcc
	v_add_u32_e32 v22, 10, v30
	v_mov_b32_e32 v23, v31
	v_lshlrev_b64 v[22:23], 2, v[22:23]
	;; [unrolled: 6-line block ×3, first 2 shown]
	v_mov_b32_e32 v26, s1
	v_add_co_u32_e32 v24, vcc, s0, v24
	v_addc_co_u32_e32 v25, vcc, v26, v25, vcc
	v_add_u32_e32 v26, 12, v30
	v_mov_b32_e32 v27, v31
	global_load_dword v1, v[2:3], off
	global_load_dword v32, v[4:5], off
	;; [unrolled: 1-line block ×8, first 2 shown]
	v_lshlrev_b64 v[26:27], 2, v[26:27]
	v_mov_b32_e32 v28, s1
	v_add_co_u32_e32 v26, vcc, s0, v26
	v_addc_co_u32_e32 v27, vcc, v28, v27, vcc
	v_add_u32_e32 v28, 13, v30
	v_mov_b32_e32 v29, v31
	v_lshlrev_b64 v[28:29], 2, v[28:29]
	v_mov_b32_e32 v39, s1
	v_add_co_u32_e32 v28, vcc, s0, v28
	v_add_u32_e32 v30, 14, v30
	v_addc_co_u32_e32 v29, vcc, v39, v29, vcc
	v_lshlrev_b64 v[30:31], 2, v[30:31]
	v_add_co_u32_e32 v30, vcc, s0, v30
	v_addc_co_u32_e32 v31, vcc, v39, v31, vcc
	global_load_dword v39, v[18:19], off
	global_load_dword v40, v[20:21], off
	;; [unrolled: 1-line block ×7, first 2 shown]
	v_cmp_gt_u32_e32 vcc, 64, v0
	s_waitcnt vmcnt(13)
	v_add_f32_e32 v46, v1, v32
	s_waitcnt vmcnt(12)
	v_add_f32_e32 v46, v33, v46
	;; [unrolled: 2-line block ×14, first 2 shown]
	v_lshrrev_b32_e32 v46, 5, v0
	v_add_lshl_u32 v46, v46, v0, 2
	ds_write_b32 v46, v45
	s_waitcnt lgkmcnt(0)
	s_barrier
	s_and_saveexec_b64 s[0:1], vcc
	s_cbranch_execz .LBB250_2
; %bb.1:
	v_lshlrev_b32_e32 v46, 2, v0
	v_lshrrev_b32_e32 v47, 3, v0
	v_add_lshl_u32 v50, v47, v46, 2
	ds_read2_b32 v[46:47], v50 offset1:1
	ds_read2_b32 v[48:49], v50 offset0:2 offset1:3
	v_mbcnt_lo_u32_b32 v51, -1, 0
	v_mbcnt_hi_u32_b32 v51, -1, v51
	v_and_b32_e32 v53, 15, v51
	s_waitcnt lgkmcnt(1)
	v_add_f32_e32 v52, v46, v47
	s_waitcnt lgkmcnt(0)
	v_add_f32_e32 v52, v52, v48
	v_add_f32_e32 v52, v52, v49
	v_cmp_eq_u32_e32 vcc, 0, v53
	s_nop 0
	v_mov_b32_dpp v54, v52 row_shr:1 row_mask:0xf bank_mask:0xf
	v_add_f32_e32 v54, v52, v54
	v_cndmask_b32_e32 v52, v54, v52, vcc
	v_cmp_lt_u32_e32 vcc, 1, v53
	s_nop 0
	v_mov_b32_dpp v54, v52 row_shr:2 row_mask:0xf bank_mask:0xf
	v_add_f32_e32 v54, v52, v54
	v_cndmask_b32_e32 v52, v52, v54, vcc
	v_cmp_lt_u32_e32 vcc, 3, v53
	;; [unrolled: 5-line block ×3, first 2 shown]
	s_nop 0
	v_mov_b32_dpp v54, v52 row_shr:8 row_mask:0xf bank_mask:0xf
	v_add_f32_e32 v54, v52, v54
	v_cndmask_b32_e32 v52, v52, v54, vcc
	v_and_b32_e32 v54, 16, v51
	v_cmp_eq_u32_e32 vcc, 0, v54
	v_mov_b32_dpp v53, v52 row_bcast:15 row_mask:0xf bank_mask:0xf
	v_add_f32_e32 v53, v52, v53
	v_cndmask_b32_e32 v52, v53, v52, vcc
	v_cmp_lt_u32_e32 vcc, 31, v51
	v_and_b32_e32 v54, 64, v51
	v_mov_b32_dpp v53, v52 row_bcast:31 row_mask:0xf bank_mask:0xf
	v_add_f32_e32 v53, v52, v53
	v_cndmask_b32_e32 v52, v52, v53, vcc
	v_add_u32_e32 v53, -1, v51
	v_cmp_lt_i32_e32 vcc, v53, v54
	v_cndmask_b32_e32 v51, v53, v51, vcc
	v_lshlrev_b32_e32 v51, 2, v51
	ds_bpermute_b32 v51, v51, v52
	v_cmp_eq_u32_e32 vcc, 0, v0
	s_waitcnt lgkmcnt(0)
	v_add_f32_e32 v46, v46, v51
	v_cndmask_b32_e32 v45, v46, v45, vcc
	v_add_f32_e32 v46, v47, v45
	ds_write2_b32 v50, v45, v46 offset1:1
	v_add_f32_e32 v45, v48, v46
	v_add_f32_e32 v46, v49, v45
	ds_write2_b32 v50, v45, v46 offset0:2 offset1:3
.LBB250_2:
	s_or_b64 exec, exec, s[0:1]
	s_load_dword s7, s[4:5], 0x10
	v_cmp_eq_u32_e32 vcc, 0, v0
	v_cmp_ne_u32_e64 s[0:1], 0, v0
	s_waitcnt lgkmcnt(0)
	s_barrier
	v_mov_b32_e32 v45, s7
	s_and_saveexec_b64 s[4:5], s[0:1]
	s_cbranch_execz .LBB250_4
; %bb.3:
	v_add_u32_e32 v0, -1, v0
	v_lshrrev_b32_e32 v45, 5, v0
	v_add_lshl_u32 v0, v45, v0, 2
	ds_read_b32 v0, v0
	s_waitcnt lgkmcnt(0)
	v_add_f32_e32 v45, s7, v0
.LBB250_4:
	s_or_b64 exec, exec, s[4:5]
	v_add_f32_e32 v0, v1, v45
	v_add_f32_e32 v1, v32, v0
	;; [unrolled: 1-line block ×14, first 2 shown]
	global_store_dword v[2:3], v45, off
	global_store_dword v[4:5], v0, off
	;; [unrolled: 1-line block ×15, first 2 shown]
	s_and_saveexec_b64 s[0:1], vcc
	s_cbranch_execz .LBB250_6
; %bb.5:
	v_mov_b32_e32 v0, 0
	ds_read_b32 v1, v0 offset:1044
	s_mov_b32 s7, 0
	s_lshl_b64 s[0:1], s[6:7], 2
	s_add_u32 s0, s2, s0
	s_addc_u32 s1, s3, s1
	s_waitcnt lgkmcnt(0)
	global_store_dword v0, v1, s[0:1]
.LBB250_6:
	s_endpgm
	.section	.rodata,"a",@progbits
	.p2align	6, 0x0
	.amdhsa_kernel _Z34exclusive_scan_reduce_array_kernelILj255ELj15ELN6hipcub18BlockScanAlgorithmE1EfEvPT2_S3_S2_
		.amdhsa_group_segment_fixed_size 1056
		.amdhsa_private_segment_fixed_size 0
		.amdhsa_kernarg_size 20
		.amdhsa_user_sgpr_count 6
		.amdhsa_user_sgpr_private_segment_buffer 1
		.amdhsa_user_sgpr_dispatch_ptr 0
		.amdhsa_user_sgpr_queue_ptr 0
		.amdhsa_user_sgpr_kernarg_segment_ptr 1
		.amdhsa_user_sgpr_dispatch_id 0
		.amdhsa_user_sgpr_flat_scratch_init 0
		.amdhsa_user_sgpr_kernarg_preload_length 0
		.amdhsa_user_sgpr_kernarg_preload_offset 0
		.amdhsa_user_sgpr_private_segment_size 0
		.amdhsa_uses_dynamic_stack 0
		.amdhsa_system_sgpr_private_segment_wavefront_offset 0
		.amdhsa_system_sgpr_workgroup_id_x 1
		.amdhsa_system_sgpr_workgroup_id_y 0
		.amdhsa_system_sgpr_workgroup_id_z 0
		.amdhsa_system_sgpr_workgroup_info 0
		.amdhsa_system_vgpr_workitem_id 0
		.amdhsa_next_free_vgpr 55
		.amdhsa_next_free_sgpr 8
		.amdhsa_accum_offset 56
		.amdhsa_reserve_vcc 1
		.amdhsa_reserve_flat_scratch 0
		.amdhsa_float_round_mode_32 0
		.amdhsa_float_round_mode_16_64 0
		.amdhsa_float_denorm_mode_32 3
		.amdhsa_float_denorm_mode_16_64 3
		.amdhsa_dx10_clamp 1
		.amdhsa_ieee_mode 1
		.amdhsa_fp16_overflow 0
		.amdhsa_tg_split 0
		.amdhsa_exception_fp_ieee_invalid_op 0
		.amdhsa_exception_fp_denorm_src 0
		.amdhsa_exception_fp_ieee_div_zero 0
		.amdhsa_exception_fp_ieee_overflow 0
		.amdhsa_exception_fp_ieee_underflow 0
		.amdhsa_exception_fp_ieee_inexact 0
		.amdhsa_exception_int_div_zero 0
	.end_amdhsa_kernel
	.section	.text._Z34exclusive_scan_reduce_array_kernelILj255ELj15ELN6hipcub18BlockScanAlgorithmE1EfEvPT2_S3_S2_,"axG",@progbits,_Z34exclusive_scan_reduce_array_kernelILj255ELj15ELN6hipcub18BlockScanAlgorithmE1EfEvPT2_S3_S2_,comdat
.Lfunc_end250:
	.size	_Z34exclusive_scan_reduce_array_kernelILj255ELj15ELN6hipcub18BlockScanAlgorithmE1EfEvPT2_S3_S2_, .Lfunc_end250-_Z34exclusive_scan_reduce_array_kernelILj255ELj15ELN6hipcub18BlockScanAlgorithmE1EfEvPT2_S3_S2_
                                        ; -- End function
	.section	.AMDGPU.csdata,"",@progbits
; Kernel info:
; codeLenInByte = 1276
; NumSgprs: 12
; NumVgprs: 55
; NumAgprs: 0
; TotalNumVgprs: 55
; ScratchSize: 0
; MemoryBound: 0
; FloatMode: 240
; IeeeMode: 1
; LDSByteSize: 1056 bytes/workgroup (compile time only)
; SGPRBlocks: 1
; VGPRBlocks: 6
; NumSGPRsForWavesPerEU: 12
; NumVGPRsForWavesPerEU: 55
; AccumOffset: 56
; Occupancy: 8
; WaveLimiterHint : 0
; COMPUTE_PGM_RSRC2:SCRATCH_EN: 0
; COMPUTE_PGM_RSRC2:USER_SGPR: 6
; COMPUTE_PGM_RSRC2:TRAP_HANDLER: 0
; COMPUTE_PGM_RSRC2:TGID_X_EN: 1
; COMPUTE_PGM_RSRC2:TGID_Y_EN: 0
; COMPUTE_PGM_RSRC2:TGID_Z_EN: 0
; COMPUTE_PGM_RSRC2:TIDIG_COMP_CNT: 0
; COMPUTE_PGM_RSRC3_GFX90A:ACCUM_OFFSET: 13
; COMPUTE_PGM_RSRC3_GFX90A:TG_SPLIT: 0
	.section	.text._Z34exclusive_scan_reduce_array_kernelILj162ELj7ELN6hipcub18BlockScanAlgorithmE1EfEvPT2_S3_S2_,"axG",@progbits,_Z34exclusive_scan_reduce_array_kernelILj162ELj7ELN6hipcub18BlockScanAlgorithmE1EfEvPT2_S3_S2_,comdat
	.protected	_Z34exclusive_scan_reduce_array_kernelILj162ELj7ELN6hipcub18BlockScanAlgorithmE1EfEvPT2_S3_S2_ ; -- Begin function _Z34exclusive_scan_reduce_array_kernelILj162ELj7ELN6hipcub18BlockScanAlgorithmE1EfEvPT2_S3_S2_
	.globl	_Z34exclusive_scan_reduce_array_kernelILj162ELj7ELN6hipcub18BlockScanAlgorithmE1EfEvPT2_S3_S2_
	.p2align	8
	.type	_Z34exclusive_scan_reduce_array_kernelILj162ELj7ELN6hipcub18BlockScanAlgorithmE1EfEvPT2_S3_S2_,@function
_Z34exclusive_scan_reduce_array_kernelILj162ELj7ELN6hipcub18BlockScanAlgorithmE1EfEvPT2_S3_S2_: ; @_Z34exclusive_scan_reduce_array_kernelILj162ELj7ELN6hipcub18BlockScanAlgorithmE1EfEvPT2_S3_S2_
; %bb.0:
	s_load_dwordx4 s[0:3], s[4:5], 0x0
	s_mul_i32 s7, s6, 0xa2
	v_add_u32_e32 v1, s7, v0
	v_mul_lo_u32 v14, v1, 7
	v_mov_b32_e32 v15, 0
	v_lshlrev_b64 v[2:3], 2, v[14:15]
	s_waitcnt lgkmcnt(0)
	v_mov_b32_e32 v1, s1
	v_add_co_u32_e32 v2, vcc, s0, v2
	v_add_u32_e32 v4, 1, v14
	v_mov_b32_e32 v5, v15
	v_addc_co_u32_e32 v3, vcc, v1, v3, vcc
	v_lshlrev_b64 v[4:5], 2, v[4:5]
	v_add_co_u32_e32 v4, vcc, s0, v4
	v_add_u32_e32 v6, 2, v14
	v_mov_b32_e32 v7, v15
	v_addc_co_u32_e32 v5, vcc, v1, v5, vcc
	v_lshlrev_b64 v[6:7], 2, v[6:7]
	v_add_co_u32_e32 v6, vcc, s0, v6
	v_add_u32_e32 v8, 3, v14
	v_mov_b32_e32 v9, v15
	v_addc_co_u32_e32 v7, vcc, v1, v7, vcc
	v_lshlrev_b64 v[8:9], 2, v[8:9]
	v_add_co_u32_e32 v8, vcc, s0, v8
	v_add_u32_e32 v10, 4, v14
	v_mov_b32_e32 v11, v15
	v_addc_co_u32_e32 v9, vcc, v1, v9, vcc
	v_lshlrev_b64 v[10:11], 2, v[10:11]
	v_add_co_u32_e32 v10, vcc, s0, v10
	v_add_u32_e32 v12, 5, v14
	v_mov_b32_e32 v13, v15
	v_addc_co_u32_e32 v11, vcc, v1, v11, vcc
	v_lshlrev_b64 v[12:13], 2, v[12:13]
	v_add_co_u32_e32 v12, vcc, s0, v12
	v_add_u32_e32 v14, 6, v14
	v_addc_co_u32_e32 v13, vcc, v1, v13, vcc
	v_lshlrev_b64 v[14:15], 2, v[14:15]
	v_add_co_u32_e32 v14, vcc, s0, v14
	v_addc_co_u32_e32 v15, vcc, v1, v15, vcc
	global_load_dword v1, v[2:3], off
	global_load_dword v16, v[4:5], off
	;; [unrolled: 1-line block ×7, first 2 shown]
	v_lshlrev_b32_e32 v21, 2, v0
	v_cmp_gt_u32_e32 vcc, 64, v0
	s_waitcnt vmcnt(5)
	v_add_f32_e32 v23, v1, v16
	s_waitcnt vmcnt(4)
	v_add_f32_e32 v23, v17, v23
	;; [unrolled: 2-line block ×6, first 2 shown]
	ds_write_b32 v21, v22
	s_waitcnt lgkmcnt(0)
	s_barrier
	s_and_saveexec_b64 s[0:1], vcc
	s_cbranch_execz .LBB251_2
; %bb.1:
	v_mul_u32_u24_e32 v23, 3, v0
	v_lshlrev_b32_e32 v23, 2, v23
	ds_read2_b32 v[24:25], v23 offset1:1
	ds_read_b32 v26, v23 offset:8
	v_mbcnt_lo_u32_b32 v27, -1, 0
	v_mbcnt_hi_u32_b32 v27, -1, v27
	v_and_b32_e32 v28, 15, v27
	s_waitcnt lgkmcnt(1)
	v_add_f32_e32 v29, v24, v25
	s_waitcnt lgkmcnt(0)
	v_add_f32_e32 v29, v29, v26
	v_cmp_eq_u32_e32 vcc, 0, v28
	s_nop 0
	v_mov_b32_dpp v30, v29 row_shr:1 row_mask:0xf bank_mask:0xf
	v_add_f32_e32 v30, v29, v30
	v_cndmask_b32_e32 v29, v30, v29, vcc
	v_cmp_lt_u32_e32 vcc, 1, v28
	s_nop 0
	v_mov_b32_dpp v30, v29 row_shr:2 row_mask:0xf bank_mask:0xf
	v_add_f32_e32 v30, v29, v30
	v_cndmask_b32_e32 v29, v29, v30, vcc
	v_cmp_lt_u32_e32 vcc, 3, v28
	;; [unrolled: 5-line block ×3, first 2 shown]
	s_nop 0
	v_mov_b32_dpp v30, v29 row_shr:8 row_mask:0xf bank_mask:0xf
	v_add_f32_e32 v30, v29, v30
	v_cndmask_b32_e32 v28, v29, v30, vcc
	v_and_b32_e32 v30, 16, v27
	v_cmp_eq_u32_e32 vcc, 0, v30
	v_mov_b32_dpp v29, v28 row_bcast:15 row_mask:0xf bank_mask:0xf
	v_add_f32_e32 v29, v28, v29
	v_cndmask_b32_e32 v28, v29, v28, vcc
	v_cmp_lt_u32_e32 vcc, 31, v27
	v_and_b32_e32 v30, 64, v27
	v_mov_b32_dpp v29, v28 row_bcast:31 row_mask:0xf bank_mask:0xf
	v_add_f32_e32 v29, v28, v29
	v_cndmask_b32_e32 v28, v28, v29, vcc
	v_add_u32_e32 v29, -1, v27
	v_cmp_lt_i32_e32 vcc, v29, v30
	v_cndmask_b32_e32 v27, v29, v27, vcc
	v_lshlrev_b32_e32 v27, 2, v27
	ds_bpermute_b32 v27, v27, v28
	v_cmp_eq_u32_e32 vcc, 0, v0
	s_waitcnt lgkmcnt(0)
	v_add_f32_e32 v24, v24, v27
	v_cndmask_b32_e32 v22, v24, v22, vcc
	v_add_f32_e32 v24, v25, v22
	ds_write2_b32 v23, v22, v24 offset1:1
	v_add_f32_e32 v22, v26, v24
	ds_write_b32 v23, v22 offset:8
.LBB251_2:
	s_or_b64 exec, exec, s[0:1]
	s_load_dword s7, s[4:5], 0x10
	v_cmp_eq_u32_e32 vcc, 0, v0
	v_cmp_ne_u32_e64 s[0:1], 0, v0
	s_waitcnt lgkmcnt(0)
	s_barrier
	v_mov_b32_e32 v0, s7
	s_and_saveexec_b64 s[4:5], s[0:1]
	s_cbranch_execz .LBB251_4
; %bb.3:
	v_add_u32_e32 v0, -4, v21
	ds_read_b32 v0, v0
	s_waitcnt lgkmcnt(0)
	v_add_f32_e32 v0, s7, v0
.LBB251_4:
	s_or_b64 exec, exec, s[4:5]
	v_add_f32_e32 v1, v1, v0
	v_add_f32_e32 v16, v16, v1
	;; [unrolled: 1-line block ×6, first 2 shown]
	global_store_dword v[2:3], v0, off
	global_store_dword v[4:5], v1, off
	;; [unrolled: 1-line block ×7, first 2 shown]
	s_and_saveexec_b64 s[0:1], vcc
	s_cbranch_execz .LBB251_6
; %bb.5:
	v_mov_b32_e32 v0, 0
	ds_read_b32 v1, v0 offset:644
	s_mov_b32 s7, 0
	s_lshl_b64 s[0:1], s[6:7], 2
	s_add_u32 s0, s2, s0
	s_addc_u32 s1, s3, s1
	s_waitcnt lgkmcnt(0)
	global_store_dword v0, v1, s[0:1]
.LBB251_6:
	s_endpgm
	.section	.rodata,"a",@progbits
	.p2align	6, 0x0
	.amdhsa_kernel _Z34exclusive_scan_reduce_array_kernelILj162ELj7ELN6hipcub18BlockScanAlgorithmE1EfEvPT2_S3_S2_
		.amdhsa_group_segment_fixed_size 768
		.amdhsa_private_segment_fixed_size 0
		.amdhsa_kernarg_size 20
		.amdhsa_user_sgpr_count 6
		.amdhsa_user_sgpr_private_segment_buffer 1
		.amdhsa_user_sgpr_dispatch_ptr 0
		.amdhsa_user_sgpr_queue_ptr 0
		.amdhsa_user_sgpr_kernarg_segment_ptr 1
		.amdhsa_user_sgpr_dispatch_id 0
		.amdhsa_user_sgpr_flat_scratch_init 0
		.amdhsa_user_sgpr_kernarg_preload_length 0
		.amdhsa_user_sgpr_kernarg_preload_offset 0
		.amdhsa_user_sgpr_private_segment_size 0
		.amdhsa_uses_dynamic_stack 0
		.amdhsa_system_sgpr_private_segment_wavefront_offset 0
		.amdhsa_system_sgpr_workgroup_id_x 1
		.amdhsa_system_sgpr_workgroup_id_y 0
		.amdhsa_system_sgpr_workgroup_id_z 0
		.amdhsa_system_sgpr_workgroup_info 0
		.amdhsa_system_vgpr_workitem_id 0
		.amdhsa_next_free_vgpr 31
		.amdhsa_next_free_sgpr 8
		.amdhsa_accum_offset 32
		.amdhsa_reserve_vcc 1
		.amdhsa_reserve_flat_scratch 0
		.amdhsa_float_round_mode_32 0
		.amdhsa_float_round_mode_16_64 0
		.amdhsa_float_denorm_mode_32 3
		.amdhsa_float_denorm_mode_16_64 3
		.amdhsa_dx10_clamp 1
		.amdhsa_ieee_mode 1
		.amdhsa_fp16_overflow 0
		.amdhsa_tg_split 0
		.amdhsa_exception_fp_ieee_invalid_op 0
		.amdhsa_exception_fp_denorm_src 0
		.amdhsa_exception_fp_ieee_div_zero 0
		.amdhsa_exception_fp_ieee_overflow 0
		.amdhsa_exception_fp_ieee_underflow 0
		.amdhsa_exception_fp_ieee_inexact 0
		.amdhsa_exception_int_div_zero 0
	.end_amdhsa_kernel
	.section	.text._Z34exclusive_scan_reduce_array_kernelILj162ELj7ELN6hipcub18BlockScanAlgorithmE1EfEvPT2_S3_S2_,"axG",@progbits,_Z34exclusive_scan_reduce_array_kernelILj162ELj7ELN6hipcub18BlockScanAlgorithmE1EfEvPT2_S3_S2_,comdat
.Lfunc_end251:
	.size	_Z34exclusive_scan_reduce_array_kernelILj162ELj7ELN6hipcub18BlockScanAlgorithmE1EfEvPT2_S3_S2_, .Lfunc_end251-_Z34exclusive_scan_reduce_array_kernelILj162ELj7ELN6hipcub18BlockScanAlgorithmE1EfEvPT2_S3_S2_
                                        ; -- End function
	.section	.AMDGPU.csdata,"",@progbits
; Kernel info:
; codeLenInByte = 800
; NumSgprs: 12
; NumVgprs: 31
; NumAgprs: 0
; TotalNumVgprs: 31
; ScratchSize: 0
; MemoryBound: 0
; FloatMode: 240
; IeeeMode: 1
; LDSByteSize: 768 bytes/workgroup (compile time only)
; SGPRBlocks: 1
; VGPRBlocks: 3
; NumSGPRsForWavesPerEU: 12
; NumVGPRsForWavesPerEU: 31
; AccumOffset: 32
; Occupancy: 8
; WaveLimiterHint : 0
; COMPUTE_PGM_RSRC2:SCRATCH_EN: 0
; COMPUTE_PGM_RSRC2:USER_SGPR: 6
; COMPUTE_PGM_RSRC2:TRAP_HANDLER: 0
; COMPUTE_PGM_RSRC2:TGID_X_EN: 1
; COMPUTE_PGM_RSRC2:TGID_Y_EN: 0
; COMPUTE_PGM_RSRC2:TGID_Z_EN: 0
; COMPUTE_PGM_RSRC2:TIDIG_COMP_CNT: 0
; COMPUTE_PGM_RSRC3_GFX90A:ACCUM_OFFSET: 7
; COMPUTE_PGM_RSRC3_GFX90A:TG_SPLIT: 0
	.section	.text._Z34exclusive_scan_reduce_array_kernelILj65ELj5ELN6hipcub18BlockScanAlgorithmE1EfEvPT2_S3_S2_,"axG",@progbits,_Z34exclusive_scan_reduce_array_kernelILj65ELj5ELN6hipcub18BlockScanAlgorithmE1EfEvPT2_S3_S2_,comdat
	.protected	_Z34exclusive_scan_reduce_array_kernelILj65ELj5ELN6hipcub18BlockScanAlgorithmE1EfEvPT2_S3_S2_ ; -- Begin function _Z34exclusive_scan_reduce_array_kernelILj65ELj5ELN6hipcub18BlockScanAlgorithmE1EfEvPT2_S3_S2_
	.globl	_Z34exclusive_scan_reduce_array_kernelILj65ELj5ELN6hipcub18BlockScanAlgorithmE1EfEvPT2_S3_S2_
	.p2align	8
	.type	_Z34exclusive_scan_reduce_array_kernelILj65ELj5ELN6hipcub18BlockScanAlgorithmE1EfEvPT2_S3_S2_,@function
_Z34exclusive_scan_reduce_array_kernelILj65ELj5ELN6hipcub18BlockScanAlgorithmE1EfEvPT2_S3_S2_: ; @_Z34exclusive_scan_reduce_array_kernelILj65ELj5ELN6hipcub18BlockScanAlgorithmE1EfEvPT2_S3_S2_
; %bb.0:
	s_load_dwordx4 s[0:3], s[4:5], 0x0
	s_mul_i32 s7, s6, 0x41
	v_add_u32_e32 v1, s7, v0
	v_lshl_add_u32 v10, v1, 2, v1
	v_mov_b32_e32 v11, 0
	v_lshlrev_b64 v[2:3], 2, v[10:11]
	s_waitcnt lgkmcnt(0)
	v_mov_b32_e32 v1, s1
	v_add_co_u32_e32 v2, vcc, s0, v2
	v_add_u32_e32 v4, 1, v10
	v_mov_b32_e32 v5, v11
	v_addc_co_u32_e32 v3, vcc, v1, v3, vcc
	v_lshlrev_b64 v[4:5], 2, v[4:5]
	v_add_co_u32_e32 v4, vcc, s0, v4
	v_add_u32_e32 v6, 2, v10
	v_mov_b32_e32 v7, v11
	v_addc_co_u32_e32 v5, vcc, v1, v5, vcc
	v_lshlrev_b64 v[6:7], 2, v[6:7]
	;; [unrolled: 5-line block ×3, first 2 shown]
	v_add_co_u32_e32 v8, vcc, s0, v8
	v_add_u32_e32 v10, 4, v10
	v_addc_co_u32_e32 v9, vcc, v1, v9, vcc
	v_lshlrev_b64 v[10:11], 2, v[10:11]
	v_add_co_u32_e32 v10, vcc, s0, v10
	v_addc_co_u32_e32 v11, vcc, v1, v11, vcc
	global_load_dword v1, v[2:3], off
	global_load_dword v12, v[4:5], off
	;; [unrolled: 1-line block ×5, first 2 shown]
	v_lshrrev_b32_e32 v16, 5, v0
	v_add_lshl_u32 v16, v16, v0, 2
	v_cmp_gt_u32_e32 vcc, 64, v0
	s_waitcnt vmcnt(3)
	v_add_f32_e32 v17, v1, v12
	s_waitcnt vmcnt(2)
	v_add_f32_e32 v17, v13, v17
	;; [unrolled: 2-line block ×4, first 2 shown]
	ds_write_b32 v16, v15
	s_waitcnt lgkmcnt(0)
	s_barrier
	s_and_saveexec_b64 s[0:1], vcc
	s_cbranch_execz .LBB252_2
; %bb.1:
	v_lshlrev_b32_e32 v16, 1, v0
	v_lshrrev_b32_e32 v17, 4, v0
	v_add_lshl_u32 v18, v17, v16, 2
	ds_read2_b32 v[16:17], v18 offset1:1
	v_mbcnt_lo_u32_b32 v19, -1, 0
	v_mbcnt_hi_u32_b32 v19, -1, v19
	v_and_b32_e32 v20, 15, v19
	v_cmp_eq_u32_e32 vcc, 0, v20
	s_waitcnt lgkmcnt(0)
	v_add_f32_e32 v21, v16, v17
	s_nop 1
	v_mov_b32_dpp v22, v21 row_shr:1 row_mask:0xf bank_mask:0xf
	v_add_f32_e32 v22, v21, v22
	v_cndmask_b32_e32 v21, v22, v21, vcc
	v_cmp_lt_u32_e32 vcc, 1, v20
	s_nop 0
	v_mov_b32_dpp v22, v21 row_shr:2 row_mask:0xf bank_mask:0xf
	v_add_f32_e32 v22, v21, v22
	v_cndmask_b32_e32 v21, v21, v22, vcc
	v_cmp_lt_u32_e32 vcc, 3, v20
	;; [unrolled: 5-line block ×3, first 2 shown]
	s_nop 0
	v_mov_b32_dpp v22, v21 row_shr:8 row_mask:0xf bank_mask:0xf
	v_add_f32_e32 v22, v21, v22
	v_cndmask_b32_e32 v20, v21, v22, vcc
	v_and_b32_e32 v22, 16, v19
	v_cmp_eq_u32_e32 vcc, 0, v22
	v_mov_b32_dpp v21, v20 row_bcast:15 row_mask:0xf bank_mask:0xf
	v_add_f32_e32 v21, v20, v21
	v_cndmask_b32_e32 v20, v21, v20, vcc
	v_cmp_lt_u32_e32 vcc, 31, v19
	v_and_b32_e32 v22, 64, v19
	v_mov_b32_dpp v21, v20 row_bcast:31 row_mask:0xf bank_mask:0xf
	v_add_f32_e32 v21, v20, v21
	v_cndmask_b32_e32 v20, v20, v21, vcc
	v_add_u32_e32 v21, -1, v19
	v_cmp_lt_i32_e32 vcc, v21, v22
	v_cndmask_b32_e32 v19, v21, v19, vcc
	v_lshlrev_b32_e32 v19, 2, v19
	ds_bpermute_b32 v19, v19, v20
	v_cmp_eq_u32_e32 vcc, 0, v0
	s_waitcnt lgkmcnt(0)
	v_add_f32_e32 v16, v16, v19
	v_cndmask_b32_e32 v15, v16, v15, vcc
	v_add_f32_e32 v16, v17, v15
	ds_write2_b32 v18, v15, v16 offset1:1
.LBB252_2:
	s_or_b64 exec, exec, s[0:1]
	s_load_dword s7, s[4:5], 0x10
	v_cmp_eq_u32_e32 vcc, 0, v0
	v_cmp_ne_u32_e64 s[0:1], 0, v0
	s_waitcnt lgkmcnt(0)
	s_barrier
	v_mov_b32_e32 v15, s7
	s_and_saveexec_b64 s[4:5], s[0:1]
	s_cbranch_execz .LBB252_4
; %bb.3:
	v_add_u32_e32 v0, -1, v0
	v_lshrrev_b32_e32 v15, 5, v0
	v_add_lshl_u32 v0, v15, v0, 2
	ds_read_b32 v0, v0
	s_waitcnt lgkmcnt(0)
	v_add_f32_e32 v15, s7, v0
.LBB252_4:
	s_or_b64 exec, exec, s[4:5]
	v_add_f32_e32 v0, v1, v15
	v_add_f32_e32 v1, v12, v0
	;; [unrolled: 1-line block ×4, first 2 shown]
	global_store_dword v[2:3], v15, off
	global_store_dword v[4:5], v0, off
	;; [unrolled: 1-line block ×5, first 2 shown]
	s_and_saveexec_b64 s[0:1], vcc
	s_cbranch_execz .LBB252_6
; %bb.5:
	v_mov_b32_e32 v0, 0
	ds_read_b32 v1, v0 offset:264
	s_mov_b32 s7, 0
	s_lshl_b64 s[0:1], s[6:7], 2
	s_add_u32 s0, s2, s0
	s_addc_u32 s1, s3, s1
	s_waitcnt lgkmcnt(0)
	global_store_dword v0, v1, s[0:1]
.LBB252_6:
	s_endpgm
	.section	.rodata,"a",@progbits
	.p2align	6, 0x0
	.amdhsa_kernel _Z34exclusive_scan_reduce_array_kernelILj65ELj5ELN6hipcub18BlockScanAlgorithmE1EfEvPT2_S3_S2_
		.amdhsa_group_segment_fixed_size 528
		.amdhsa_private_segment_fixed_size 0
		.amdhsa_kernarg_size 20
		.amdhsa_user_sgpr_count 6
		.amdhsa_user_sgpr_private_segment_buffer 1
		.amdhsa_user_sgpr_dispatch_ptr 0
		.amdhsa_user_sgpr_queue_ptr 0
		.amdhsa_user_sgpr_kernarg_segment_ptr 1
		.amdhsa_user_sgpr_dispatch_id 0
		.amdhsa_user_sgpr_flat_scratch_init 0
		.amdhsa_user_sgpr_kernarg_preload_length 0
		.amdhsa_user_sgpr_kernarg_preload_offset 0
		.amdhsa_user_sgpr_private_segment_size 0
		.amdhsa_uses_dynamic_stack 0
		.amdhsa_system_sgpr_private_segment_wavefront_offset 0
		.amdhsa_system_sgpr_workgroup_id_x 1
		.amdhsa_system_sgpr_workgroup_id_y 0
		.amdhsa_system_sgpr_workgroup_id_z 0
		.amdhsa_system_sgpr_workgroup_info 0
		.amdhsa_system_vgpr_workitem_id 0
		.amdhsa_next_free_vgpr 23
		.amdhsa_next_free_sgpr 8
		.amdhsa_accum_offset 24
		.amdhsa_reserve_vcc 1
		.amdhsa_reserve_flat_scratch 0
		.amdhsa_float_round_mode_32 0
		.amdhsa_float_round_mode_16_64 0
		.amdhsa_float_denorm_mode_32 3
		.amdhsa_float_denorm_mode_16_64 3
		.amdhsa_dx10_clamp 1
		.amdhsa_ieee_mode 1
		.amdhsa_fp16_overflow 0
		.amdhsa_tg_split 0
		.amdhsa_exception_fp_ieee_invalid_op 0
		.amdhsa_exception_fp_denorm_src 0
		.amdhsa_exception_fp_ieee_div_zero 0
		.amdhsa_exception_fp_ieee_overflow 0
		.amdhsa_exception_fp_ieee_underflow 0
		.amdhsa_exception_fp_ieee_inexact 0
		.amdhsa_exception_int_div_zero 0
	.end_amdhsa_kernel
	.section	.text._Z34exclusive_scan_reduce_array_kernelILj65ELj5ELN6hipcub18BlockScanAlgorithmE1EfEvPT2_S3_S2_,"axG",@progbits,_Z34exclusive_scan_reduce_array_kernelILj65ELj5ELN6hipcub18BlockScanAlgorithmE1EfEvPT2_S3_S2_,comdat
.Lfunc_end252:
	.size	_Z34exclusive_scan_reduce_array_kernelILj65ELj5ELN6hipcub18BlockScanAlgorithmE1EfEvPT2_S3_S2_, .Lfunc_end252-_Z34exclusive_scan_reduce_array_kernelILj65ELj5ELN6hipcub18BlockScanAlgorithmE1EfEvPT2_S3_S2_
                                        ; -- End function
	.section	.AMDGPU.csdata,"",@progbits
; Kernel info:
; codeLenInByte = 696
; NumSgprs: 12
; NumVgprs: 23
; NumAgprs: 0
; TotalNumVgprs: 23
; ScratchSize: 0
; MemoryBound: 0
; FloatMode: 240
; IeeeMode: 1
; LDSByteSize: 528 bytes/workgroup (compile time only)
; SGPRBlocks: 1
; VGPRBlocks: 2
; NumSGPRsForWavesPerEU: 12
; NumVGPRsForWavesPerEU: 23
; AccumOffset: 24
; Occupancy: 8
; WaveLimiterHint : 0
; COMPUTE_PGM_RSRC2:SCRATCH_EN: 0
; COMPUTE_PGM_RSRC2:USER_SGPR: 6
; COMPUTE_PGM_RSRC2:TRAP_HANDLER: 0
; COMPUTE_PGM_RSRC2:TGID_X_EN: 1
; COMPUTE_PGM_RSRC2:TGID_Y_EN: 0
; COMPUTE_PGM_RSRC2:TGID_Z_EN: 0
; COMPUTE_PGM_RSRC2:TIDIG_COMP_CNT: 0
; COMPUTE_PGM_RSRC3_GFX90A:ACCUM_OFFSET: 5
; COMPUTE_PGM_RSRC3_GFX90A:TG_SPLIT: 0
	.section	.text._Z34exclusive_scan_reduce_array_kernelILj37ELj2ELN6hipcub18BlockScanAlgorithmE1EfEvPT2_S3_S2_,"axG",@progbits,_Z34exclusive_scan_reduce_array_kernelILj37ELj2ELN6hipcub18BlockScanAlgorithmE1EfEvPT2_S3_S2_,comdat
	.protected	_Z34exclusive_scan_reduce_array_kernelILj37ELj2ELN6hipcub18BlockScanAlgorithmE1EfEvPT2_S3_S2_ ; -- Begin function _Z34exclusive_scan_reduce_array_kernelILj37ELj2ELN6hipcub18BlockScanAlgorithmE1EfEvPT2_S3_S2_
	.globl	_Z34exclusive_scan_reduce_array_kernelILj37ELj2ELN6hipcub18BlockScanAlgorithmE1EfEvPT2_S3_S2_
	.p2align	8
	.type	_Z34exclusive_scan_reduce_array_kernelILj37ELj2ELN6hipcub18BlockScanAlgorithmE1EfEvPT2_S3_S2_,@function
_Z34exclusive_scan_reduce_array_kernelILj37ELj2ELN6hipcub18BlockScanAlgorithmE1EfEvPT2_S3_S2_: ; @_Z34exclusive_scan_reduce_array_kernelILj37ELj2ELN6hipcub18BlockScanAlgorithmE1EfEvPT2_S3_S2_
; %bb.0:
	s_load_dwordx4 s[0:3], s[4:5], 0x0
	s_mul_i32 s7, s6, 37
	v_add_lshl_u32 v6, s7, v0, 1
	v_mov_b32_e32 v7, 0
	v_lshlrev_b64 v[2:3], 2, v[6:7]
	s_waitcnt lgkmcnt(0)
	v_mov_b32_e32 v1, s1
	v_add_co_u32_e32 v2, vcc, s0, v2
	v_addc_co_u32_e32 v3, vcc, v1, v3, vcc
	global_load_dwordx2 v[4:5], v[2:3], off
	v_mbcnt_lo_u32_b32 v1, -1, 0
	v_mbcnt_hi_u32_b32 v1, -1, v1
	v_and_b32_e32 v6, 15, v1
	v_cmp_eq_u32_e32 vcc, 0, v6
	v_and_b32_e32 v8, 16, v1
	s_waitcnt vmcnt(0)
	v_add_f32_e32 v5, v4, v5
	s_nop 1
	v_mov_b32_dpp v9, v5 row_shr:1 row_mask:0xf bank_mask:0xf
	v_add_f32_e32 v9, v5, v9
	v_cndmask_b32_e32 v5, v9, v5, vcc
	v_cmp_lt_u32_e32 vcc, 1, v6
	s_nop 0
	v_mov_b32_dpp v9, v5 row_shr:2 row_mask:0xf bank_mask:0xf
	v_add_f32_e32 v9, v5, v9
	v_cndmask_b32_e32 v5, v5, v9, vcc
	v_cmp_lt_u32_e32 vcc, 3, v6
	;; [unrolled: 5-line block ×3, first 2 shown]
	s_nop 0
	v_mov_b32_dpp v9, v5 row_shr:8 row_mask:0xf bank_mask:0xf
	v_add_f32_e32 v9, v5, v9
	v_cndmask_b32_e32 v5, v5, v9, vcc
	v_cmp_eq_u32_e32 vcc, 0, v8
	s_nop 0
	v_mov_b32_dpp v6, v5 row_bcast:15 row_mask:0xf bank_mask:0xf
	v_add_f32_e32 v6, v5, v6
	v_cndmask_b32_e32 v5, v6, v5, vcc
	v_cmp_lt_u32_e32 vcc, 31, v1
	s_nop 0
	v_mov_b32_dpp v6, v5 row_bcast:31 row_mask:0xf bank_mask:0xf
	v_add_f32_e32 v6, v5, v6
	v_cndmask_b32_e32 v5, v5, v6, vcc
	v_cmp_eq_u32_e32 vcc, 36, v0
	s_and_saveexec_b64 s[0:1], vcc
	s_cbranch_execz .LBB253_2
; %bb.1:
	ds_write_b32 v7, v5
.LBB253_2:
	s_or_b64 exec, exec, s[0:1]
	s_load_dword s4, s[4:5], 0x10
	v_add_u32_e32 v6, -1, v1
	v_and_b32_e32 v7, 64, v1
	v_cmp_lt_i32_e32 vcc, v6, v7
	v_cndmask_b32_e32 v6, v6, v1, vcc
	s_waitcnt lgkmcnt(0)
	v_add_f32_e32 v5, s4, v5
	v_lshlrev_b32_e32 v6, 2, v6
	ds_bpermute_b32 v5, v6, v5
	v_cmp_eq_u32_e32 vcc, 0, v1
	v_cmp_eq_u32_e64 s[0:1], 0, v0
	v_mov_b32_e32 v0, s4
	s_or_b64 vcc, s[0:1], vcc
	s_waitcnt lgkmcnt(0)
	v_cndmask_b32_e32 v0, v5, v0, vcc
	v_add_f32_e32 v1, v4, v0
	s_waitcnt lgkmcnt(0)
	; wave barrier
	global_store_dwordx2 v[2:3], v[0:1], off
	s_and_saveexec_b64 s[4:5], s[0:1]
	s_cbranch_execz .LBB253_4
; %bb.3:
	v_mov_b32_e32 v0, 0
	ds_read_b32 v1, v0
	s_mov_b32 s7, 0
	s_lshl_b64 s[0:1], s[6:7], 2
	s_add_u32 s0, s2, s0
	s_addc_u32 s1, s3, s1
	s_waitcnt lgkmcnt(0)
	global_store_dword v0, v1, s[0:1]
.LBB253_4:
	s_endpgm
	.section	.rodata,"a",@progbits
	.p2align	6, 0x0
	.amdhsa_kernel _Z34exclusive_scan_reduce_array_kernelILj37ELj2ELN6hipcub18BlockScanAlgorithmE1EfEvPT2_S3_S2_
		.amdhsa_group_segment_fixed_size 4
		.amdhsa_private_segment_fixed_size 0
		.amdhsa_kernarg_size 20
		.amdhsa_user_sgpr_count 6
		.amdhsa_user_sgpr_private_segment_buffer 1
		.amdhsa_user_sgpr_dispatch_ptr 0
		.amdhsa_user_sgpr_queue_ptr 0
		.amdhsa_user_sgpr_kernarg_segment_ptr 1
		.amdhsa_user_sgpr_dispatch_id 0
		.amdhsa_user_sgpr_flat_scratch_init 0
		.amdhsa_user_sgpr_kernarg_preload_length 0
		.amdhsa_user_sgpr_kernarg_preload_offset 0
		.amdhsa_user_sgpr_private_segment_size 0
		.amdhsa_uses_dynamic_stack 0
		.amdhsa_system_sgpr_private_segment_wavefront_offset 0
		.amdhsa_system_sgpr_workgroup_id_x 1
		.amdhsa_system_sgpr_workgroup_id_y 0
		.amdhsa_system_sgpr_workgroup_id_z 0
		.amdhsa_system_sgpr_workgroup_info 0
		.amdhsa_system_vgpr_workitem_id 0
		.amdhsa_next_free_vgpr 10
		.amdhsa_next_free_sgpr 8
		.amdhsa_accum_offset 12
		.amdhsa_reserve_vcc 1
		.amdhsa_reserve_flat_scratch 0
		.amdhsa_float_round_mode_32 0
		.amdhsa_float_round_mode_16_64 0
		.amdhsa_float_denorm_mode_32 3
		.amdhsa_float_denorm_mode_16_64 3
		.amdhsa_dx10_clamp 1
		.amdhsa_ieee_mode 1
		.amdhsa_fp16_overflow 0
		.amdhsa_tg_split 0
		.amdhsa_exception_fp_ieee_invalid_op 0
		.amdhsa_exception_fp_denorm_src 0
		.amdhsa_exception_fp_ieee_div_zero 0
		.amdhsa_exception_fp_ieee_overflow 0
		.amdhsa_exception_fp_ieee_underflow 0
		.amdhsa_exception_fp_ieee_inexact 0
		.amdhsa_exception_int_div_zero 0
	.end_amdhsa_kernel
	.section	.text._Z34exclusive_scan_reduce_array_kernelILj37ELj2ELN6hipcub18BlockScanAlgorithmE1EfEvPT2_S3_S2_,"axG",@progbits,_Z34exclusive_scan_reduce_array_kernelILj37ELj2ELN6hipcub18BlockScanAlgorithmE1EfEvPT2_S3_S2_,comdat
.Lfunc_end253:
	.size	_Z34exclusive_scan_reduce_array_kernelILj37ELj2ELN6hipcub18BlockScanAlgorithmE1EfEvPT2_S3_S2_, .Lfunc_end253-_Z34exclusive_scan_reduce_array_kernelILj37ELj2ELN6hipcub18BlockScanAlgorithmE1EfEvPT2_S3_S2_
                                        ; -- End function
	.section	.AMDGPU.csdata,"",@progbits
; Kernel info:
; codeLenInByte = 396
; NumSgprs: 12
; NumVgprs: 10
; NumAgprs: 0
; TotalNumVgprs: 10
; ScratchSize: 0
; MemoryBound: 0
; FloatMode: 240
; IeeeMode: 1
; LDSByteSize: 4 bytes/workgroup (compile time only)
; SGPRBlocks: 1
; VGPRBlocks: 1
; NumSGPRsForWavesPerEU: 12
; NumVGPRsForWavesPerEU: 10
; AccumOffset: 12
; Occupancy: 8
; WaveLimiterHint : 0
; COMPUTE_PGM_RSRC2:SCRATCH_EN: 0
; COMPUTE_PGM_RSRC2:USER_SGPR: 6
; COMPUTE_PGM_RSRC2:TRAP_HANDLER: 0
; COMPUTE_PGM_RSRC2:TGID_X_EN: 1
; COMPUTE_PGM_RSRC2:TGID_Y_EN: 0
; COMPUTE_PGM_RSRC2:TGID_Z_EN: 0
; COMPUTE_PGM_RSRC2:TIDIG_COMP_CNT: 0
; COMPUTE_PGM_RSRC3_GFX90A:ACCUM_OFFSET: 2
; COMPUTE_PGM_RSRC3_GFX90A:TG_SPLIT: 0
	.section	.text._Z34exclusive_scan_reduce_array_kernelILj512ELj4ELN6hipcub18BlockScanAlgorithmE1EjEvPT2_S3_S2_,"axG",@progbits,_Z34exclusive_scan_reduce_array_kernelILj512ELj4ELN6hipcub18BlockScanAlgorithmE1EjEvPT2_S3_S2_,comdat
	.protected	_Z34exclusive_scan_reduce_array_kernelILj512ELj4ELN6hipcub18BlockScanAlgorithmE1EjEvPT2_S3_S2_ ; -- Begin function _Z34exclusive_scan_reduce_array_kernelILj512ELj4ELN6hipcub18BlockScanAlgorithmE1EjEvPT2_S3_S2_
	.globl	_Z34exclusive_scan_reduce_array_kernelILj512ELj4ELN6hipcub18BlockScanAlgorithmE1EjEvPT2_S3_S2_
	.p2align	8
	.type	_Z34exclusive_scan_reduce_array_kernelILj512ELj4ELN6hipcub18BlockScanAlgorithmE1EjEvPT2_S3_S2_,@function
_Z34exclusive_scan_reduce_array_kernelILj512ELj4ELN6hipcub18BlockScanAlgorithmE1EjEvPT2_S3_S2_: ; @_Z34exclusive_scan_reduce_array_kernelILj512ELj4ELN6hipcub18BlockScanAlgorithmE1EjEvPT2_S3_S2_
; %bb.0:
	s_load_dwordx4 s[0:3], s[4:5], 0x0
	v_lshlrev_b32_e32 v1, 2, v0
	v_lshl_or_b32 v2, s6, 11, v1
	v_mov_b32_e32 v3, 0
	v_lshlrev_b64 v[2:3], 2, v[2:3]
	s_waitcnt lgkmcnt(0)
	v_mov_b32_e32 v1, s1
	v_add_co_u32_e32 v10, vcc, s0, v2
	v_addc_co_u32_e32 v11, vcc, v1, v3, vcc
	global_load_dwordx4 v[2:5], v[10:11], off
	v_lshrrev_b32_e32 v1, 5, v0
	v_add_lshl_u32 v6, v1, v0, 2
	v_cmp_gt_u32_e32 vcc, 64, v0
	s_waitcnt vmcnt(0)
	v_add_u32_e32 v1, v3, v2
	v_add3_u32 v1, v1, v4, v5
	ds_write_b32 v6, v1
	s_waitcnt lgkmcnt(0)
	s_barrier
	s_and_saveexec_b64 s[0:1], vcc
	s_cbranch_execz .LBB254_2
; %bb.1:
	v_lshlrev_b32_e32 v5, 3, v0
	v_lshrrev_b32_e32 v6, 2, v0
	v_add_lshl_u32 v5, v6, v5, 2
	ds_read2_b32 v[6:7], v5 offset1:1
	ds_read2_b32 v[8:9], v5 offset0:2 offset1:3
	ds_read2_b32 v[12:13], v5 offset0:4 offset1:5
	;; [unrolled: 1-line block ×3, first 2 shown]
	v_mbcnt_lo_u32_b32 v17, -1, 0
	s_waitcnt lgkmcnt(3)
	v_add_u32_e32 v16, v7, v6
	s_waitcnt lgkmcnt(2)
	v_add3_u32 v16, v16, v8, v9
	s_waitcnt lgkmcnt(1)
	v_add3_u32 v16, v16, v12, v13
	v_mbcnt_hi_u32_b32 v17, -1, v17
	s_waitcnt lgkmcnt(0)
	v_add3_u32 v16, v16, v14, v15
	v_and_b32_e32 v18, 15, v17
	v_cmp_ne_u32_e32 vcc, 0, v18
	v_mov_b32_dpp v19, v16 row_shr:1 row_mask:0xf bank_mask:0xf
	v_cndmask_b32_e32 v19, 0, v19, vcc
	v_add_u32_e32 v16, v19, v16
	v_cmp_lt_u32_e32 vcc, 1, v18
	s_nop 0
	v_mov_b32_dpp v19, v16 row_shr:2 row_mask:0xf bank_mask:0xf
	v_cndmask_b32_e32 v19, 0, v19, vcc
	v_add_u32_e32 v16, v16, v19
	v_cmp_lt_u32_e32 vcc, 3, v18
	s_nop 0
	;; [unrolled: 5-line block ×3, first 2 shown]
	v_mov_b32_dpp v19, v16 row_shr:8 row_mask:0xf bank_mask:0xf
	v_cndmask_b32_e32 v18, 0, v19, vcc
	v_add_u32_e32 v16, v16, v18
	v_bfe_i32 v19, v17, 4, 1
	v_cmp_lt_u32_e32 vcc, 31, v17
	v_mov_b32_dpp v18, v16 row_bcast:15 row_mask:0xf bank_mask:0xf
	v_and_b32_e32 v18, v19, v18
	v_add_u32_e32 v16, v16, v18
	v_and_b32_e32 v19, 64, v17
	s_nop 0
	v_mov_b32_dpp v18, v16 row_bcast:31 row_mask:0xf bank_mask:0xf
	v_cndmask_b32_e32 v18, 0, v18, vcc
	v_add_u32_e32 v16, v16, v18
	v_add_u32_e32 v18, -1, v17
	v_cmp_lt_i32_e32 vcc, v18, v19
	v_cndmask_b32_e32 v17, v18, v17, vcc
	v_lshlrev_b32_e32 v17, 2, v17
	ds_bpermute_b32 v16, v17, v16
	v_cmp_eq_u32_e32 vcc, 0, v0
	s_waitcnt lgkmcnt(0)
	v_add_u32_e32 v6, v16, v6
	v_cndmask_b32_e32 v1, v6, v1, vcc
	v_add_u32_e32 v6, v1, v7
	ds_write2_b32 v5, v1, v6 offset1:1
	v_add_u32_e32 v1, v6, v8
	v_add_u32_e32 v6, v1, v9
	ds_write2_b32 v5, v1, v6 offset0:2 offset1:3
	v_add_u32_e32 v1, v6, v12
	v_add_u32_e32 v6, v1, v13
	ds_write2_b32 v5, v1, v6 offset0:4 offset1:5
	;; [unrolled: 3-line block ×3, first 2 shown]
.LBB254_2:
	s_or_b64 exec, exec, s[0:1]
	s_load_dword s7, s[4:5], 0x10
	v_cmp_eq_u32_e32 vcc, 0, v0
	v_cmp_ne_u32_e64 s[0:1], 0, v0
	s_waitcnt lgkmcnt(0)
	s_barrier
	v_mov_b32_e32 v6, s7
	s_and_saveexec_b64 s[4:5], s[0:1]
	s_cbranch_execz .LBB254_4
; %bb.3:
	v_add_u32_e32 v0, -1, v0
	v_lshrrev_b32_e32 v1, 5, v0
	v_add_lshl_u32 v0, v1, v0, 2
	ds_read_b32 v0, v0
	s_waitcnt lgkmcnt(0)
	v_add_u32_e32 v6, s7, v0
.LBB254_4:
	s_or_b64 exec, exec, s[4:5]
	v_add_u32_e32 v7, v6, v2
	v_add_u32_e32 v8, v7, v3
	;; [unrolled: 1-line block ×3, first 2 shown]
	global_store_dwordx4 v[10:11], v[6:9], off
	s_and_saveexec_b64 s[0:1], vcc
	s_cbranch_execz .LBB254_6
; %bb.5:
	v_mov_b32_e32 v0, 0
	ds_read_b32 v1, v0 offset:2104
	s_mov_b32 s7, 0
	s_lshl_b64 s[0:1], s[6:7], 2
	s_add_u32 s0, s2, s0
	s_addc_u32 s1, s3, s1
	s_waitcnt lgkmcnt(0)
	global_store_dword v0, v1, s[0:1]
.LBB254_6:
	s_endpgm
	.section	.rodata,"a",@progbits
	.p2align	6, 0x0
	.amdhsa_kernel _Z34exclusive_scan_reduce_array_kernelILj512ELj4ELN6hipcub18BlockScanAlgorithmE1EjEvPT2_S3_S2_
		.amdhsa_group_segment_fixed_size 2112
		.amdhsa_private_segment_fixed_size 0
		.amdhsa_kernarg_size 20
		.amdhsa_user_sgpr_count 6
		.amdhsa_user_sgpr_private_segment_buffer 1
		.amdhsa_user_sgpr_dispatch_ptr 0
		.amdhsa_user_sgpr_queue_ptr 0
		.amdhsa_user_sgpr_kernarg_segment_ptr 1
		.amdhsa_user_sgpr_dispatch_id 0
		.amdhsa_user_sgpr_flat_scratch_init 0
		.amdhsa_user_sgpr_kernarg_preload_length 0
		.amdhsa_user_sgpr_kernarg_preload_offset 0
		.amdhsa_user_sgpr_private_segment_size 0
		.amdhsa_uses_dynamic_stack 0
		.amdhsa_system_sgpr_private_segment_wavefront_offset 0
		.amdhsa_system_sgpr_workgroup_id_x 1
		.amdhsa_system_sgpr_workgroup_id_y 0
		.amdhsa_system_sgpr_workgroup_id_z 0
		.amdhsa_system_sgpr_workgroup_info 0
		.amdhsa_system_vgpr_workitem_id 0
		.amdhsa_next_free_vgpr 20
		.amdhsa_next_free_sgpr 8
		.amdhsa_accum_offset 20
		.amdhsa_reserve_vcc 1
		.amdhsa_reserve_flat_scratch 0
		.amdhsa_float_round_mode_32 0
		.amdhsa_float_round_mode_16_64 0
		.amdhsa_float_denorm_mode_32 3
		.amdhsa_float_denorm_mode_16_64 3
		.amdhsa_dx10_clamp 1
		.amdhsa_ieee_mode 1
		.amdhsa_fp16_overflow 0
		.amdhsa_tg_split 0
		.amdhsa_exception_fp_ieee_invalid_op 0
		.amdhsa_exception_fp_denorm_src 0
		.amdhsa_exception_fp_ieee_div_zero 0
		.amdhsa_exception_fp_ieee_overflow 0
		.amdhsa_exception_fp_ieee_underflow 0
		.amdhsa_exception_fp_ieee_inexact 0
		.amdhsa_exception_int_div_zero 0
	.end_amdhsa_kernel
	.section	.text._Z34exclusive_scan_reduce_array_kernelILj512ELj4ELN6hipcub18BlockScanAlgorithmE1EjEvPT2_S3_S2_,"axG",@progbits,_Z34exclusive_scan_reduce_array_kernelILj512ELj4ELN6hipcub18BlockScanAlgorithmE1EjEvPT2_S3_S2_,comdat
.Lfunc_end254:
	.size	_Z34exclusive_scan_reduce_array_kernelILj512ELj4ELN6hipcub18BlockScanAlgorithmE1EjEvPT2_S3_S2_, .Lfunc_end254-_Z34exclusive_scan_reduce_array_kernelILj512ELj4ELN6hipcub18BlockScanAlgorithmE1EjEvPT2_S3_S2_
                                        ; -- End function
	.section	.AMDGPU.csdata,"",@progbits
; Kernel info:
; codeLenInByte = 620
; NumSgprs: 12
; NumVgprs: 20
; NumAgprs: 0
; TotalNumVgprs: 20
; ScratchSize: 0
; MemoryBound: 0
; FloatMode: 240
; IeeeMode: 1
; LDSByteSize: 2112 bytes/workgroup (compile time only)
; SGPRBlocks: 1
; VGPRBlocks: 2
; NumSGPRsForWavesPerEU: 12
; NumVGPRsForWavesPerEU: 20
; AccumOffset: 20
; Occupancy: 8
; WaveLimiterHint : 0
; COMPUTE_PGM_RSRC2:SCRATCH_EN: 0
; COMPUTE_PGM_RSRC2:USER_SGPR: 6
; COMPUTE_PGM_RSRC2:TRAP_HANDLER: 0
; COMPUTE_PGM_RSRC2:TGID_X_EN: 1
; COMPUTE_PGM_RSRC2:TGID_Y_EN: 0
; COMPUTE_PGM_RSRC2:TGID_Z_EN: 0
; COMPUTE_PGM_RSRC2:TIDIG_COMP_CNT: 0
; COMPUTE_PGM_RSRC3_GFX90A:ACCUM_OFFSET: 4
; COMPUTE_PGM_RSRC3_GFX90A:TG_SPLIT: 0
	.section	.text._Z34exclusive_scan_reduce_array_kernelILj256ELj3ELN6hipcub18BlockScanAlgorithmE1EiEvPT2_S3_S2_,"axG",@progbits,_Z34exclusive_scan_reduce_array_kernelILj256ELj3ELN6hipcub18BlockScanAlgorithmE1EiEvPT2_S3_S2_,comdat
	.protected	_Z34exclusive_scan_reduce_array_kernelILj256ELj3ELN6hipcub18BlockScanAlgorithmE1EiEvPT2_S3_S2_ ; -- Begin function _Z34exclusive_scan_reduce_array_kernelILj256ELj3ELN6hipcub18BlockScanAlgorithmE1EiEvPT2_S3_S2_
	.globl	_Z34exclusive_scan_reduce_array_kernelILj256ELj3ELN6hipcub18BlockScanAlgorithmE1EiEvPT2_S3_S2_
	.p2align	8
	.type	_Z34exclusive_scan_reduce_array_kernelILj256ELj3ELN6hipcub18BlockScanAlgorithmE1EiEvPT2_S3_S2_,@function
_Z34exclusive_scan_reduce_array_kernelILj256ELj3ELN6hipcub18BlockScanAlgorithmE1EiEvPT2_S3_S2_: ; @_Z34exclusive_scan_reduce_array_kernelILj256ELj3ELN6hipcub18BlockScanAlgorithmE1EiEvPT2_S3_S2_
; %bb.0:
	s_load_dwordx4 s[0:3], s[4:5], 0x0
	v_lshl_or_b32 v1, s6, 8, v0
	v_lshl_add_u32 v6, v1, 1, v1
	v_mov_b32_e32 v7, 0
	v_lshlrev_b64 v[2:3], 2, v[6:7]
	s_waitcnt lgkmcnt(0)
	v_mov_b32_e32 v1, s1
	v_add_co_u32_e32 v2, vcc, s0, v2
	v_add_u32_e32 v4, 1, v6
	v_mov_b32_e32 v5, v7
	v_addc_co_u32_e32 v3, vcc, v1, v3, vcc
	v_lshlrev_b64 v[4:5], 2, v[4:5]
	v_add_co_u32_e32 v4, vcc, s0, v4
	v_add_u32_e32 v6, 2, v6
	v_addc_co_u32_e32 v5, vcc, v1, v5, vcc
	v_lshlrev_b64 v[6:7], 2, v[6:7]
	v_add_co_u32_e32 v6, vcc, s0, v6
	v_addc_co_u32_e32 v7, vcc, v1, v7, vcc
	global_load_dword v1, v[2:3], off
	global_load_dword v8, v[4:5], off
	;; [unrolled: 1-line block ×3, first 2 shown]
	v_lshrrev_b32_e32 v10, 5, v0
	v_add_lshl_u32 v10, v10, v0, 2
	v_cmp_gt_u32_e32 vcc, 64, v0
	s_waitcnt vmcnt(0)
	v_add3_u32 v9, v8, v1, v9
	ds_write_b32 v10, v9
	s_waitcnt lgkmcnt(0)
	s_barrier
	s_and_saveexec_b64 s[0:1], vcc
	s_cbranch_execz .LBB255_2
; %bb.1:
	v_lshlrev_b32_e32 v10, 2, v0
	v_lshrrev_b32_e32 v11, 3, v0
	v_add_lshl_u32 v14, v11, v10, 2
	ds_read2_b32 v[10:11], v14 offset1:1
	ds_read2_b32 v[12:13], v14 offset0:2 offset1:3
	v_mbcnt_lo_u32_b32 v15, -1, 0
	v_mbcnt_hi_u32_b32 v15, -1, v15
	v_and_b32_e32 v17, 15, v15
	s_waitcnt lgkmcnt(1)
	v_add_u32_e32 v16, v11, v10
	s_waitcnt lgkmcnt(0)
	v_add3_u32 v16, v16, v12, v13
	v_cmp_ne_u32_e32 vcc, 0, v17
	s_nop 0
	v_mov_b32_dpp v18, v16 row_shr:1 row_mask:0xf bank_mask:0xf
	v_cndmask_b32_e32 v18, 0, v18, vcc
	v_add_u32_e32 v16, v18, v16
	v_cmp_lt_u32_e32 vcc, 1, v17
	s_nop 0
	v_mov_b32_dpp v18, v16 row_shr:2 row_mask:0xf bank_mask:0xf
	v_cndmask_b32_e32 v18, 0, v18, vcc
	v_add_u32_e32 v16, v16, v18
	v_cmp_lt_u32_e32 vcc, 3, v17
	;; [unrolled: 5-line block ×3, first 2 shown]
	s_nop 0
	v_mov_b32_dpp v18, v16 row_shr:8 row_mask:0xf bank_mask:0xf
	v_cndmask_b32_e32 v17, 0, v18, vcc
	v_add_u32_e32 v16, v16, v17
	v_bfe_i32 v18, v15, 4, 1
	v_cmp_lt_u32_e32 vcc, 31, v15
	v_mov_b32_dpp v17, v16 row_bcast:15 row_mask:0xf bank_mask:0xf
	v_and_b32_e32 v17, v18, v17
	v_add_u32_e32 v16, v16, v17
	v_and_b32_e32 v18, 64, v15
	s_nop 0
	v_mov_b32_dpp v17, v16 row_bcast:31 row_mask:0xf bank_mask:0xf
	v_cndmask_b32_e32 v17, 0, v17, vcc
	v_add_u32_e32 v16, v16, v17
	v_add_u32_e32 v17, -1, v15
	v_cmp_lt_i32_e32 vcc, v17, v18
	v_cndmask_b32_e32 v15, v17, v15, vcc
	v_lshlrev_b32_e32 v15, 2, v15
	ds_bpermute_b32 v15, v15, v16
	v_cmp_eq_u32_e32 vcc, 0, v0
	s_waitcnt lgkmcnt(0)
	v_add_u32_e32 v10, v15, v10
	v_cndmask_b32_e32 v9, v10, v9, vcc
	v_add_u32_e32 v10, v9, v11
	ds_write2_b32 v14, v9, v10 offset1:1
	v_add_u32_e32 v9, v10, v12
	v_add_u32_e32 v10, v9, v13
	ds_write2_b32 v14, v9, v10 offset0:2 offset1:3
.LBB255_2:
	s_or_b64 exec, exec, s[0:1]
	s_load_dword s7, s[4:5], 0x10
	v_cmp_eq_u32_e32 vcc, 0, v0
	v_cmp_ne_u32_e64 s[0:1], 0, v0
	s_waitcnt lgkmcnt(0)
	s_barrier
	v_mov_b32_e32 v9, s7
	s_and_saveexec_b64 s[4:5], s[0:1]
	s_cbranch_execz .LBB255_4
; %bb.3:
	v_add_u32_e32 v0, -1, v0
	v_lshrrev_b32_e32 v9, 5, v0
	v_add_lshl_u32 v0, v9, v0, 2
	ds_read_b32 v0, v0
	s_waitcnt lgkmcnt(0)
	v_add_u32_e32 v9, s7, v0
.LBB255_4:
	s_or_b64 exec, exec, s[4:5]
	v_add_u32_e32 v0, v9, v1
	v_add_u32_e32 v1, v0, v8
	global_store_dword v[2:3], v9, off
	global_store_dword v[4:5], v0, off
	;; [unrolled: 1-line block ×3, first 2 shown]
	s_and_saveexec_b64 s[0:1], vcc
	s_cbranch_execz .LBB255_6
; %bb.5:
	v_mov_b32_e32 v0, 0
	ds_read_b32 v1, v0 offset:1048
	s_mov_b32 s7, 0
	s_lshl_b64 s[0:1], s[6:7], 2
	s_add_u32 s0, s2, s0
	s_addc_u32 s1, s3, s1
	s_waitcnt lgkmcnt(0)
	global_store_dword v0, v1, s[0:1]
.LBB255_6:
	s_endpgm
	.section	.rodata,"a",@progbits
	.p2align	6, 0x0
	.amdhsa_kernel _Z34exclusive_scan_reduce_array_kernelILj256ELj3ELN6hipcub18BlockScanAlgorithmE1EiEvPT2_S3_S2_
		.amdhsa_group_segment_fixed_size 1056
		.amdhsa_private_segment_fixed_size 0
		.amdhsa_kernarg_size 20
		.amdhsa_user_sgpr_count 6
		.amdhsa_user_sgpr_private_segment_buffer 1
		.amdhsa_user_sgpr_dispatch_ptr 0
		.amdhsa_user_sgpr_queue_ptr 0
		.amdhsa_user_sgpr_kernarg_segment_ptr 1
		.amdhsa_user_sgpr_dispatch_id 0
		.amdhsa_user_sgpr_flat_scratch_init 0
		.amdhsa_user_sgpr_kernarg_preload_length 0
		.amdhsa_user_sgpr_kernarg_preload_offset 0
		.amdhsa_user_sgpr_private_segment_size 0
		.amdhsa_uses_dynamic_stack 0
		.amdhsa_system_sgpr_private_segment_wavefront_offset 0
		.amdhsa_system_sgpr_workgroup_id_x 1
		.amdhsa_system_sgpr_workgroup_id_y 0
		.amdhsa_system_sgpr_workgroup_id_z 0
		.amdhsa_system_sgpr_workgroup_info 0
		.amdhsa_system_vgpr_workitem_id 0
		.amdhsa_next_free_vgpr 19
		.amdhsa_next_free_sgpr 8
		.amdhsa_accum_offset 20
		.amdhsa_reserve_vcc 1
		.amdhsa_reserve_flat_scratch 0
		.amdhsa_float_round_mode_32 0
		.amdhsa_float_round_mode_16_64 0
		.amdhsa_float_denorm_mode_32 3
		.amdhsa_float_denorm_mode_16_64 3
		.amdhsa_dx10_clamp 1
		.amdhsa_ieee_mode 1
		.amdhsa_fp16_overflow 0
		.amdhsa_tg_split 0
		.amdhsa_exception_fp_ieee_invalid_op 0
		.amdhsa_exception_fp_denorm_src 0
		.amdhsa_exception_fp_ieee_div_zero 0
		.amdhsa_exception_fp_ieee_overflow 0
		.amdhsa_exception_fp_ieee_underflow 0
		.amdhsa_exception_fp_ieee_inexact 0
		.amdhsa_exception_int_div_zero 0
	.end_amdhsa_kernel
	.section	.text._Z34exclusive_scan_reduce_array_kernelILj256ELj3ELN6hipcub18BlockScanAlgorithmE1EiEvPT2_S3_S2_,"axG",@progbits,_Z34exclusive_scan_reduce_array_kernelILj256ELj3ELN6hipcub18BlockScanAlgorithmE1EiEvPT2_S3_S2_,comdat
.Lfunc_end255:
	.size	_Z34exclusive_scan_reduce_array_kernelILj256ELj3ELN6hipcub18BlockScanAlgorithmE1EiEvPT2_S3_S2_, .Lfunc_end255-_Z34exclusive_scan_reduce_array_kernelILj256ELj3ELN6hipcub18BlockScanAlgorithmE1EiEvPT2_S3_S2_
                                        ; -- End function
	.section	.AMDGPU.csdata,"",@progbits
; Kernel info:
; codeLenInByte = 624
; NumSgprs: 12
; NumVgprs: 19
; NumAgprs: 0
; TotalNumVgprs: 19
; ScratchSize: 0
; MemoryBound: 0
; FloatMode: 240
; IeeeMode: 1
; LDSByteSize: 1056 bytes/workgroup (compile time only)
; SGPRBlocks: 1
; VGPRBlocks: 2
; NumSGPRsForWavesPerEU: 12
; NumVGPRsForWavesPerEU: 19
; AccumOffset: 20
; Occupancy: 8
; WaveLimiterHint : 0
; COMPUTE_PGM_RSRC2:SCRATCH_EN: 0
; COMPUTE_PGM_RSRC2:USER_SGPR: 6
; COMPUTE_PGM_RSRC2:TRAP_HANDLER: 0
; COMPUTE_PGM_RSRC2:TGID_X_EN: 1
; COMPUTE_PGM_RSRC2:TGID_Y_EN: 0
; COMPUTE_PGM_RSRC2:TGID_Z_EN: 0
; COMPUTE_PGM_RSRC2:TIDIG_COMP_CNT: 0
; COMPUTE_PGM_RSRC3_GFX90A:ACCUM_OFFSET: 4
; COMPUTE_PGM_RSRC3_GFX90A:TG_SPLIT: 0
	.section	.text._Z34exclusive_scan_reduce_array_kernelILj32ELj2ELN6hipcub18BlockScanAlgorithmE1EfEvPT2_S3_S2_,"axG",@progbits,_Z34exclusive_scan_reduce_array_kernelILj32ELj2ELN6hipcub18BlockScanAlgorithmE1EfEvPT2_S3_S2_,comdat
	.protected	_Z34exclusive_scan_reduce_array_kernelILj32ELj2ELN6hipcub18BlockScanAlgorithmE1EfEvPT2_S3_S2_ ; -- Begin function _Z34exclusive_scan_reduce_array_kernelILj32ELj2ELN6hipcub18BlockScanAlgorithmE1EfEvPT2_S3_S2_
	.globl	_Z34exclusive_scan_reduce_array_kernelILj32ELj2ELN6hipcub18BlockScanAlgorithmE1EfEvPT2_S3_S2_
	.p2align	8
	.type	_Z34exclusive_scan_reduce_array_kernelILj32ELj2ELN6hipcub18BlockScanAlgorithmE1EfEvPT2_S3_S2_,@function
_Z34exclusive_scan_reduce_array_kernelILj32ELj2ELN6hipcub18BlockScanAlgorithmE1EfEvPT2_S3_S2_: ; @_Z34exclusive_scan_reduce_array_kernelILj32ELj2ELN6hipcub18BlockScanAlgorithmE1EfEvPT2_S3_S2_
; %bb.0:
	s_load_dwordx4 s[0:3], s[4:5], 0x0
	v_lshlrev_b32_e32 v1, 1, v0
	v_lshl_or_b32 v6, s6, 6, v1
	v_mov_b32_e32 v7, 0
	v_lshlrev_b64 v[2:3], 2, v[6:7]
	s_waitcnt lgkmcnt(0)
	v_mov_b32_e32 v1, s1
	v_add_co_u32_e32 v2, vcc, s0, v2
	v_addc_co_u32_e32 v3, vcc, v1, v3, vcc
	global_load_dwordx2 v[4:5], v[2:3], off
	v_mbcnt_lo_u32_b32 v1, -1, 0
	v_mbcnt_hi_u32_b32 v1, -1, v1
	v_and_b32_e32 v6, 15, v1
	v_cmp_eq_u32_e32 vcc, 0, v6
	v_and_b32_e32 v8, 16, v1
	s_waitcnt vmcnt(0)
	v_add_f32_e32 v5, v4, v5
	s_nop 1
	v_mov_b32_dpp v9, v5 row_shr:1 row_mask:0xf bank_mask:0xf
	v_add_f32_e32 v9, v5, v9
	v_cndmask_b32_e32 v5, v9, v5, vcc
	v_cmp_lt_u32_e32 vcc, 1, v6
	s_nop 0
	v_mov_b32_dpp v9, v5 row_shr:2 row_mask:0xf bank_mask:0xf
	v_add_f32_e32 v9, v5, v9
	v_cndmask_b32_e32 v5, v5, v9, vcc
	v_cmp_lt_u32_e32 vcc, 3, v6
	s_nop 0
	v_mov_b32_dpp v9, v5 row_shr:4 row_mask:0xf bank_mask:0xf
	v_add_f32_e32 v9, v5, v9
	v_cndmask_b32_e32 v5, v5, v9, vcc
	v_cmp_lt_u32_e32 vcc, 7, v6
	s_nop 0
	v_mov_b32_dpp v9, v5 row_shr:8 row_mask:0xf bank_mask:0xf
	v_add_f32_e32 v9, v5, v9
	v_cndmask_b32_e32 v5, v5, v9, vcc
	v_cmp_eq_u32_e32 vcc, 0, v8
	s_nop 0
	v_mov_b32_dpp v6, v5 row_bcast:15 row_mask:0xf bank_mask:0xf
	v_add_f32_e32 v6, v5, v6
	v_cndmask_b32_e32 v5, v6, v5, vcc
	v_cmp_eq_u32_e32 vcc, 31, v0
	s_and_saveexec_b64 s[0:1], vcc
	s_cbranch_execz .LBB256_2
; %bb.1:
	ds_write_b32 v7, v5
.LBB256_2:
	s_or_b64 exec, exec, s[0:1]
	s_load_dword s4, s[4:5], 0x10
	v_add_u32_e32 v6, -1, v1
	v_and_b32_e32 v7, 0x60, v1
	v_cmp_lt_i32_e32 vcc, v6, v7
	v_cndmask_b32_e32 v6, v6, v1, vcc
	s_waitcnt lgkmcnt(0)
	v_add_f32_e32 v5, s4, v5
	v_lshlrev_b32_e32 v6, 2, v6
	ds_bpermute_b32 v5, v6, v5
	v_cmp_eq_u32_e32 vcc, 0, v1
	v_cmp_eq_u32_e64 s[0:1], 0, v0
	v_mov_b32_e32 v0, s4
	s_or_b64 vcc, s[0:1], vcc
	s_waitcnt lgkmcnt(0)
	v_cndmask_b32_e32 v0, v5, v0, vcc
	v_add_f32_e32 v1, v4, v0
	s_waitcnt lgkmcnt(0)
	; wave barrier
	global_store_dwordx2 v[2:3], v[0:1], off
	s_and_saveexec_b64 s[4:5], s[0:1]
	s_cbranch_execz .LBB256_4
; %bb.3:
	v_mov_b32_e32 v0, 0
	ds_read_b32 v1, v0
	s_mov_b32 s7, 0
	s_lshl_b64 s[0:1], s[6:7], 2
	s_add_u32 s0, s2, s0
	s_addc_u32 s1, s3, s1
	s_waitcnt lgkmcnt(0)
	global_store_dword v0, v1, s[0:1]
.LBB256_4:
	s_endpgm
	.section	.rodata,"a",@progbits
	.p2align	6, 0x0
	.amdhsa_kernel _Z34exclusive_scan_reduce_array_kernelILj32ELj2ELN6hipcub18BlockScanAlgorithmE1EfEvPT2_S3_S2_
		.amdhsa_group_segment_fixed_size 4
		.amdhsa_private_segment_fixed_size 0
		.amdhsa_kernarg_size 20
		.amdhsa_user_sgpr_count 6
		.amdhsa_user_sgpr_private_segment_buffer 1
		.amdhsa_user_sgpr_dispatch_ptr 0
		.amdhsa_user_sgpr_queue_ptr 0
		.amdhsa_user_sgpr_kernarg_segment_ptr 1
		.amdhsa_user_sgpr_dispatch_id 0
		.amdhsa_user_sgpr_flat_scratch_init 0
		.amdhsa_user_sgpr_kernarg_preload_length 0
		.amdhsa_user_sgpr_kernarg_preload_offset 0
		.amdhsa_user_sgpr_private_segment_size 0
		.amdhsa_uses_dynamic_stack 0
		.amdhsa_system_sgpr_private_segment_wavefront_offset 0
		.amdhsa_system_sgpr_workgroup_id_x 1
		.amdhsa_system_sgpr_workgroup_id_y 0
		.amdhsa_system_sgpr_workgroup_id_z 0
		.amdhsa_system_sgpr_workgroup_info 0
		.amdhsa_system_vgpr_workitem_id 0
		.amdhsa_next_free_vgpr 10
		.amdhsa_next_free_sgpr 8
		.amdhsa_accum_offset 12
		.amdhsa_reserve_vcc 1
		.amdhsa_reserve_flat_scratch 0
		.amdhsa_float_round_mode_32 0
		.amdhsa_float_round_mode_16_64 0
		.amdhsa_float_denorm_mode_32 3
		.amdhsa_float_denorm_mode_16_64 3
		.amdhsa_dx10_clamp 1
		.amdhsa_ieee_mode 1
		.amdhsa_fp16_overflow 0
		.amdhsa_tg_split 0
		.amdhsa_exception_fp_ieee_invalid_op 0
		.amdhsa_exception_fp_denorm_src 0
		.amdhsa_exception_fp_ieee_div_zero 0
		.amdhsa_exception_fp_ieee_overflow 0
		.amdhsa_exception_fp_ieee_underflow 0
		.amdhsa_exception_fp_ieee_inexact 0
		.amdhsa_exception_int_div_zero 0
	.end_amdhsa_kernel
	.section	.text._Z34exclusive_scan_reduce_array_kernelILj32ELj2ELN6hipcub18BlockScanAlgorithmE1EfEvPT2_S3_S2_,"axG",@progbits,_Z34exclusive_scan_reduce_array_kernelILj32ELj2ELN6hipcub18BlockScanAlgorithmE1EfEvPT2_S3_S2_,comdat
.Lfunc_end256:
	.size	_Z34exclusive_scan_reduce_array_kernelILj32ELj2ELN6hipcub18BlockScanAlgorithmE1EfEvPT2_S3_S2_, .Lfunc_end256-_Z34exclusive_scan_reduce_array_kernelILj32ELj2ELN6hipcub18BlockScanAlgorithmE1EfEvPT2_S3_S2_
                                        ; -- End function
	.section	.AMDGPU.csdata,"",@progbits
; Kernel info:
; codeLenInByte = 376
; NumSgprs: 12
; NumVgprs: 10
; NumAgprs: 0
; TotalNumVgprs: 10
; ScratchSize: 0
; MemoryBound: 0
; FloatMode: 240
; IeeeMode: 1
; LDSByteSize: 4 bytes/workgroup (compile time only)
; SGPRBlocks: 1
; VGPRBlocks: 1
; NumSGPRsForWavesPerEU: 12
; NumVGPRsForWavesPerEU: 10
; AccumOffset: 12
; Occupancy: 8
; WaveLimiterHint : 0
; COMPUTE_PGM_RSRC2:SCRATCH_EN: 0
; COMPUTE_PGM_RSRC2:USER_SGPR: 6
; COMPUTE_PGM_RSRC2:TRAP_HANDLER: 0
; COMPUTE_PGM_RSRC2:TGID_X_EN: 1
; COMPUTE_PGM_RSRC2:TGID_Y_EN: 0
; COMPUTE_PGM_RSRC2:TGID_Z_EN: 0
; COMPUTE_PGM_RSRC2:TIDIG_COMP_CNT: 0
; COMPUTE_PGM_RSRC3_GFX90A:ACCUM_OFFSET: 2
; COMPUTE_PGM_RSRC3_GFX90A:TG_SPLIT: 0
	.section	.text._Z34exclusive_scan_reduce_array_kernelILj6ELj32ELN6hipcub18BlockScanAlgorithmE1EfEvPT2_S3_S2_,"axG",@progbits,_Z34exclusive_scan_reduce_array_kernelILj6ELj32ELN6hipcub18BlockScanAlgorithmE1EfEvPT2_S3_S2_,comdat
	.protected	_Z34exclusive_scan_reduce_array_kernelILj6ELj32ELN6hipcub18BlockScanAlgorithmE1EfEvPT2_S3_S2_ ; -- Begin function _Z34exclusive_scan_reduce_array_kernelILj6ELj32ELN6hipcub18BlockScanAlgorithmE1EfEvPT2_S3_S2_
	.globl	_Z34exclusive_scan_reduce_array_kernelILj6ELj32ELN6hipcub18BlockScanAlgorithmE1EfEvPT2_S3_S2_
	.p2align	8
	.type	_Z34exclusive_scan_reduce_array_kernelILj6ELj32ELN6hipcub18BlockScanAlgorithmE1EfEvPT2_S3_S2_,@function
_Z34exclusive_scan_reduce_array_kernelILj6ELj32ELN6hipcub18BlockScanAlgorithmE1EfEvPT2_S3_S2_: ; @_Z34exclusive_scan_reduce_array_kernelILj6ELj32ELN6hipcub18BlockScanAlgorithmE1EfEvPT2_S3_S2_
; %bb.0:
	s_load_dwordx4 s[0:3], s[4:5], 0x0
	s_mul_i32 s7, s6, 6
	v_add_lshl_u32 v36, s7, v0, 5
	v_mov_b32_e32 v37, 0
	v_lshlrev_b64 v[2:3], 2, v[36:37]
	s_waitcnt lgkmcnt(0)
	v_mov_b32_e32 v1, s1
	v_add_co_u32_e32 v34, vcc, s0, v2
	v_addc_co_u32_e32 v35, vcc, v1, v3, vcc
	global_load_dwordx4 v[30:33], v[34:35], off
	global_load_dwordx4 v[26:29], v[34:35], off offset:16
	global_load_dwordx4 v[22:25], v[34:35], off offset:32
	global_load_dwordx4 v[14:17], v[34:35], off offset:48
	global_load_dwordx4 v[18:21], v[34:35], off offset:64
	global_load_dwordx4 v[10:13], v[34:35], off offset:80
	global_load_dwordx4 v[6:9], v[34:35], off offset:96
	global_load_dwordx4 v[2:5], v[34:35], off offset:112
	v_mbcnt_lo_u32_b32 v1, -1, 0
	v_mbcnt_hi_u32_b32 v1, -1, v1
	v_and_b32_e32 v36, 7, v1
	v_cmp_eq_u32_e32 vcc, 0, v36
	s_waitcnt vmcnt(7)
	v_add_f32_e32 v38, v30, v31
	v_add_f32_e32 v38, v38, v32
	v_add_f32_e32 v38, v38, v33
	s_waitcnt vmcnt(6)
	v_add_f32_e32 v38, v38, v26
	v_add_f32_e32 v38, v38, v27
	v_add_f32_e32 v38, v38, v28
	v_add_f32_e32 v38, v38, v29
	s_waitcnt vmcnt(5)
	v_add_f32_e32 v38, v38, v22
	;; [unrolled: 5-line block ×7, first 2 shown]
	v_add_f32_e32 v38, v38, v3
	v_add_f32_e32 v38, v38, v4
	;; [unrolled: 1-line block ×3, first 2 shown]
	s_nop 1
	v_mov_b32_dpp v38, v5 row_shr:1 row_mask:0xf bank_mask:0xf
	v_add_f32_e32 v38, v5, v38
	v_cndmask_b32_e32 v5, v38, v5, vcc
	v_cmp_lt_u32_e32 vcc, 1, v36
	s_nop 0
	v_mov_b32_dpp v38, v5 row_shr:2 row_mask:0xf bank_mask:0xf
	v_add_f32_e32 v38, v5, v38
	v_cndmask_b32_e32 v5, v5, v38, vcc
	v_cmp_lt_u32_e32 vcc, 3, v36
	s_nop 0
	v_mov_b32_dpp v38, v5 row_shr:4 row_mask:0xf bank_mask:0xf
	v_add_f32_e32 v38, v5, v38
	v_cndmask_b32_e32 v5, v5, v38, vcc
	v_cmp_eq_u32_e32 vcc, 5, v0
	s_and_saveexec_b64 s[0:1], vcc
	s_cbranch_execz .LBB257_2
; %bb.1:
	ds_write_b32 v37, v5
.LBB257_2:
	s_or_b64 exec, exec, s[0:1]
	s_load_dword s4, s[4:5], 0x10
	v_add_u32_e32 v36, -1, v1
	v_and_b32_e32 v37, 0x78, v1
	v_cmp_lt_i32_e32 vcc, v36, v37
	v_cndmask_b32_e32 v36, v36, v1, vcc
	s_waitcnt lgkmcnt(0)
	v_add_f32_e32 v5, s4, v5
	v_lshlrev_b32_e32 v36, 2, v36
	ds_bpermute_b32 v5, v36, v5
	v_cmp_eq_u32_e32 vcc, 0, v1
	v_cmp_eq_u32_e64 s[0:1], 0, v0
	v_mov_b32_e32 v0, s4
	s_or_b64 vcc, s[0:1], vcc
	s_waitcnt lgkmcnt(0)
	v_cndmask_b32_e32 v36, v5, v0, vcc
	v_add_f32_e32 v37, v30, v36
	v_add_f32_e32 v38, v31, v37
	;; [unrolled: 1-line block ×30, first 2 shown]
	s_waitcnt lgkmcnt(0)
	; wave barrier
	v_add_f32_e32 v3, v2, v4
	global_store_dwordx4 v[34:35], v[36:39], off
	global_store_dwordx4 v[34:35], v[30:33], off offset:16
	global_store_dwordx4 v[34:35], v[26:29], off offset:32
	;; [unrolled: 1-line block ×7, first 2 shown]
	s_and_saveexec_b64 s[4:5], s[0:1]
	s_cbranch_execz .LBB257_4
; %bb.3:
	v_mov_b32_e32 v0, 0
	ds_read_b32 v1, v0
	s_mov_b32 s7, 0
	s_lshl_b64 s[0:1], s[6:7], 2
	s_add_u32 s0, s2, s0
	s_addc_u32 s1, s3, s1
	s_waitcnt lgkmcnt(0)
	global_store_dword v0, v1, s[0:1]
.LBB257_4:
	s_endpgm
	.section	.rodata,"a",@progbits
	.p2align	6, 0x0
	.amdhsa_kernel _Z34exclusive_scan_reduce_array_kernelILj6ELj32ELN6hipcub18BlockScanAlgorithmE1EfEvPT2_S3_S2_
		.amdhsa_group_segment_fixed_size 4
		.amdhsa_private_segment_fixed_size 0
		.amdhsa_kernarg_size 20
		.amdhsa_user_sgpr_count 6
		.amdhsa_user_sgpr_private_segment_buffer 1
		.amdhsa_user_sgpr_dispatch_ptr 0
		.amdhsa_user_sgpr_queue_ptr 0
		.amdhsa_user_sgpr_kernarg_segment_ptr 1
		.amdhsa_user_sgpr_dispatch_id 0
		.amdhsa_user_sgpr_flat_scratch_init 0
		.amdhsa_user_sgpr_kernarg_preload_length 0
		.amdhsa_user_sgpr_kernarg_preload_offset 0
		.amdhsa_user_sgpr_private_segment_size 0
		.amdhsa_uses_dynamic_stack 0
		.amdhsa_system_sgpr_private_segment_wavefront_offset 0
		.amdhsa_system_sgpr_workgroup_id_x 1
		.amdhsa_system_sgpr_workgroup_id_y 0
		.amdhsa_system_sgpr_workgroup_id_z 0
		.amdhsa_system_sgpr_workgroup_info 0
		.amdhsa_system_vgpr_workitem_id 0
		.amdhsa_next_free_vgpr 40
		.amdhsa_next_free_sgpr 8
		.amdhsa_accum_offset 40
		.amdhsa_reserve_vcc 1
		.amdhsa_reserve_flat_scratch 0
		.amdhsa_float_round_mode_32 0
		.amdhsa_float_round_mode_16_64 0
		.amdhsa_float_denorm_mode_32 3
		.amdhsa_float_denorm_mode_16_64 3
		.amdhsa_dx10_clamp 1
		.amdhsa_ieee_mode 1
		.amdhsa_fp16_overflow 0
		.amdhsa_tg_split 0
		.amdhsa_exception_fp_ieee_invalid_op 0
		.amdhsa_exception_fp_denorm_src 0
		.amdhsa_exception_fp_ieee_div_zero 0
		.amdhsa_exception_fp_ieee_overflow 0
		.amdhsa_exception_fp_ieee_underflow 0
		.amdhsa_exception_fp_ieee_inexact 0
		.amdhsa_exception_int_div_zero 0
	.end_amdhsa_kernel
	.section	.text._Z34exclusive_scan_reduce_array_kernelILj6ELj32ELN6hipcub18BlockScanAlgorithmE1EfEvPT2_S3_S2_,"axG",@progbits,_Z34exclusive_scan_reduce_array_kernelILj6ELj32ELN6hipcub18BlockScanAlgorithmE1EfEvPT2_S3_S2_,comdat
.Lfunc_end257:
	.size	_Z34exclusive_scan_reduce_array_kernelILj6ELj32ELN6hipcub18BlockScanAlgorithmE1EfEvPT2_S3_S2_, .Lfunc_end257-_Z34exclusive_scan_reduce_array_kernelILj6ELj32ELN6hipcub18BlockScanAlgorithmE1EfEvPT2_S3_S2_
                                        ; -- End function
	.section	.AMDGPU.csdata,"",@progbits
; Kernel info:
; codeLenInByte = 704
; NumSgprs: 12
; NumVgprs: 40
; NumAgprs: 0
; TotalNumVgprs: 40
; ScratchSize: 0
; MemoryBound: 0
; FloatMode: 240
; IeeeMode: 1
; LDSByteSize: 4 bytes/workgroup (compile time only)
; SGPRBlocks: 1
; VGPRBlocks: 4
; NumSGPRsForWavesPerEU: 12
; NumVGPRsForWavesPerEU: 40
; AccumOffset: 40
; Occupancy: 8
; WaveLimiterHint : 0
; COMPUTE_PGM_RSRC2:SCRATCH_EN: 0
; COMPUTE_PGM_RSRC2:USER_SGPR: 6
; COMPUTE_PGM_RSRC2:TRAP_HANDLER: 0
; COMPUTE_PGM_RSRC2:TGID_X_EN: 1
; COMPUTE_PGM_RSRC2:TGID_Y_EN: 0
; COMPUTE_PGM_RSRC2:TGID_Z_EN: 0
; COMPUTE_PGM_RSRC2:TIDIG_COMP_CNT: 0
; COMPUTE_PGM_RSRC3_GFX90A:ACCUM_OFFSET: 9
; COMPUTE_PGM_RSRC3_GFX90A:TG_SPLIT: 0
	.section	.text._Z34exclusive_scan_reduce_array_kernelILj16ELj5ELN6hipcub18BlockScanAlgorithmE0E12hip_bfloat16EvPT2_S4_S3_,"axG",@progbits,_Z34exclusive_scan_reduce_array_kernelILj16ELj5ELN6hipcub18BlockScanAlgorithmE0E12hip_bfloat16EvPT2_S4_S3_,comdat
	.protected	_Z34exclusive_scan_reduce_array_kernelILj16ELj5ELN6hipcub18BlockScanAlgorithmE0E12hip_bfloat16EvPT2_S4_S3_ ; -- Begin function _Z34exclusive_scan_reduce_array_kernelILj16ELj5ELN6hipcub18BlockScanAlgorithmE0E12hip_bfloat16EvPT2_S4_S3_
	.globl	_Z34exclusive_scan_reduce_array_kernelILj16ELj5ELN6hipcub18BlockScanAlgorithmE0E12hip_bfloat16EvPT2_S4_S3_
	.p2align	8
	.type	_Z34exclusive_scan_reduce_array_kernelILj16ELj5ELN6hipcub18BlockScanAlgorithmE0E12hip_bfloat16EvPT2_S4_S3_,@function
_Z34exclusive_scan_reduce_array_kernelILj16ELj5ELN6hipcub18BlockScanAlgorithmE0E12hip_bfloat16EvPT2_S4_S3_: ; @_Z34exclusive_scan_reduce_array_kernelILj16ELj5ELN6hipcub18BlockScanAlgorithmE0E12hip_bfloat16EvPT2_S4_S3_
; %bb.0:
	s_load_dwordx4 s[0:3], s[4:5], 0x0
	v_lshl_or_b32 v1, s6, 4, v0
	v_lshl_add_u32 v8, v1, 2, v1
	v_mov_b32_e32 v9, 0
	v_lshlrev_b64 v[2:3], 1, v[8:9]
	s_waitcnt lgkmcnt(0)
	v_mov_b32_e32 v1, s1
	v_add_co_u32_e32 v2, vcc, s0, v2
	v_add_u32_e32 v4, 1, v8
	v_mov_b32_e32 v5, v9
	v_addc_co_u32_e32 v3, vcc, v1, v3, vcc
	v_lshlrev_b64 v[4:5], 1, v[4:5]
	v_add_co_u32_e32 v4, vcc, s0, v4
	v_add_u32_e32 v6, 3, v8
	v_mov_b32_e32 v7, v9
	v_addc_co_u32_e32 v5, vcc, v1, v5, vcc
	v_lshlrev_b64 v[6:7], 1, v[6:7]
	v_add_u32_e32 v10, 2, v8
	v_add_co_u32_e32 v6, vcc, s0, v6
	v_add_u32_e32 v8, 4, v8
	v_mov_b32_e32 v11, v9
	v_addc_co_u32_e32 v7, vcc, v1, v7, vcc
	v_lshlrev_b64 v[8:9], 1, v[8:9]
	v_add_co_u32_e32 v8, vcc, s0, v8
	v_addc_co_u32_e32 v9, vcc, v1, v9, vcc
	global_load_ushort v16, v[6:7], off
	global_load_ushort v17, v[8:9], off
	;; [unrolled: 1-line block ×4, first 2 shown]
	v_lshlrev_b64 v[10:11], 1, v[10:11]
	v_add_co_u32_e32 v10, vcc, s0, v10
	v_addc_co_u32_e32 v11, vcc, v1, v11, vcc
	global_load_ushort v1, v[10:11], off
	s_mov_b32 s0, 0x7f800000
                                        ; implicit-def: $vgpr18
	s_waitcnt vmcnt(2)
	v_lshlrev_b32_e32 v13, 16, v13
	s_waitcnt vmcnt(1)
	v_lshlrev_b32_e32 v12, 16, v12
	v_mov_b32_e32 v14, v13
	v_pk_add_f32 v[14:15], v[14:15], v[12:13] op_sel_hi:[0,1]
	v_and_b32_e32 v15, 0x7f800000, v14
	v_cmp_ne_u32_e32 vcc, s0, v15
	s_and_saveexec_b64 s[0:1], vcc
	s_xor_b64 s[0:1], exec, s[0:1]
; %bb.1:
	v_bfe_u32 v15, v14, 16, 1
	s_movk_i32 s7, 0x7fff
	v_add3_u32 v18, v14, v15, s7
                                        ; implicit-def: $vgpr14_vgpr15
; %bb.2:
	s_andn2_saveexec_b64 s[0:1], s[0:1]
; %bb.3:
	v_mov_b32_e32 v15, 0
	v_or_b32_e32 v18, 0x10000, v14
	v_cmp_eq_u32_sdwa vcc, v14, v15 src0_sel:WORD_0 src1_sel:DWORD
	v_cndmask_b32_e32 v18, v18, v14, vcc
; %bb.4:
	s_or_b64 exec, exec, s[0:1]
	v_and_b32_e32 v14, 0xffff0000, v18
	s_waitcnt vmcnt(0)
	v_lshlrev_b32_e32 v1, 16, v1
	v_add_f32_e32 v14, v14, v1
	s_mov_b32 s0, 0x7f800000
	v_and_b32_e32 v15, 0x7f800000, v14
	v_cmp_ne_u32_e32 vcc, s0, v15
                                        ; implicit-def: $vgpr15
	s_and_saveexec_b64 s[0:1], vcc
	s_xor_b64 s[0:1], exec, s[0:1]
; %bb.5:
	v_bfe_u32 v15, v14, 16, 1
	s_movk_i32 s7, 0x7fff
	v_add3_u32 v15, v14, v15, s7
                                        ; implicit-def: $vgpr14
; %bb.6:
	s_andn2_saveexec_b64 s[0:1], s[0:1]
; %bb.7:
	v_mov_b32_e32 v15, 0
	v_or_b32_e32 v18, 0x10000, v14
	v_cmp_eq_u32_sdwa vcc, v14, v15 src0_sel:WORD_0 src1_sel:DWORD
	v_cndmask_b32_e32 v15, v18, v14, vcc
; %bb.8:
	s_or_b64 exec, exec, s[0:1]
	v_and_b32_e32 v14, 0xffff0000, v15
	v_lshlrev_b32_e32 v16, 16, v16
	v_add_f32_e32 v14, v14, v16
	s_mov_b32 s0, 0x7f800000
	v_and_b32_e32 v15, 0x7f800000, v14
	v_cmp_ne_u32_e32 vcc, s0, v15
                                        ; implicit-def: $vgpr15
	s_and_saveexec_b64 s[0:1], vcc
	s_xor_b64 s[0:1], exec, s[0:1]
; %bb.9:
	v_bfe_u32 v15, v14, 16, 1
	s_movk_i32 s7, 0x7fff
	v_add3_u32 v15, v14, v15, s7
                                        ; implicit-def: $vgpr14
; %bb.10:
	s_andn2_saveexec_b64 s[0:1], s[0:1]
; %bb.11:
	v_mov_b32_e32 v15, 0
	v_or_b32_e32 v18, 0x10000, v14
	v_cmp_eq_u32_sdwa vcc, v14, v15 src0_sel:WORD_0 src1_sel:DWORD
	v_cndmask_b32_e32 v15, v18, v14, vcc
; %bb.12:
	s_or_b64 exec, exec, s[0:1]
	v_and_b32_e32 v14, 0xffff0000, v15
	v_lshlrev_b32_e32 v15, 16, v17
	v_add_f32_e32 v14, v14, v15
	s_mov_b32 s0, 0x7f800000
	v_and_b32_e32 v15, 0x7f800000, v14
	v_cmp_ne_u32_e32 vcc, s0, v15
                                        ; implicit-def: $vgpr17
	s_and_saveexec_b64 s[0:1], vcc
	s_xor_b64 s[0:1], exec, s[0:1]
; %bb.13:
	v_bfe_u32 v15, v14, 16, 1
	s_movk_i32 s7, 0x7fff
	v_add3_u32 v17, v14, v15, s7
                                        ; implicit-def: $vgpr14
; %bb.14:
	s_andn2_saveexec_b64 s[0:1], s[0:1]
; %bb.15:
	v_mov_b32_e32 v15, 0
	v_or_b32_e32 v17, 0x10000, v14
	v_cmp_eq_u32_sdwa vcc, v14, v15 src0_sel:WORD_0 src1_sel:DWORD
	v_cndmask_b32_e32 v17, v17, v14, vcc
; %bb.16:
	s_or_b64 exec, exec, s[0:1]
	v_lshrrev_b32_e32 v15, 16, v17
	v_and_b32_e32 v18, 0xffff0000, v17
	s_mov_b32 s0, 0x7f800000
	v_mov_b32_dpp v14, v15 row_shr:1 row_mask:0xf bank_mask:0xf
	v_lshlrev_b32_e32 v14, 16, v14
	v_add_f32_e32 v14, v18, v14
	v_and_b32_e32 v17, 0x7f800000, v14
	v_cmp_ne_u32_e32 vcc, s0, v17
                                        ; implicit-def: $vgpr19
	s_and_saveexec_b64 s[0:1], vcc
	s_xor_b64 s[0:1], exec, s[0:1]
; %bb.17:
	v_bfe_u32 v17, v14, 16, 1
	s_movk_i32 s7, 0x7fff
	v_add3_u32 v19, v14, v17, s7
                                        ; implicit-def: $vgpr14
; %bb.18:
	s_andn2_saveexec_b64 s[0:1], s[0:1]
; %bb.19:
	v_mov_b32_e32 v17, 0
	v_or_b32_e32 v19, 0x10000, v14
	v_cmp_eq_u32_sdwa vcc, v14, v17 src0_sel:WORD_0 src1_sel:DWORD
	v_cndmask_b32_e32 v19, v19, v14, vcc
; %bb.20:
	s_or_b64 exec, exec, s[0:1]
	v_mbcnt_lo_u32_b32 v14, -1, 0
	v_mbcnt_hi_u32_b32 v17, -1, v14
	v_and_b32_e32 v14, 15, v17
	v_lshrrev_b32_e32 v20, 16, v19
	v_cmp_eq_u32_e32 vcc, 0, v14
	v_and_b32_e32 v19, 0xffff0000, v19
	v_cndmask_b32_e32 v15, v20, v15, vcc
	v_cndmask_b32_e32 v18, v19, v18, vcc
	s_mov_b32 s0, 0x7f800000
	v_mov_b32_dpp v19, v15 row_shr:2 row_mask:0xf bank_mask:0xf
	v_lshlrev_b32_e32 v19, 16, v19
	v_add_f32_e32 v19, v18, v19
	v_and_b32_e32 v20, 0x7f800000, v19
	v_cmp_ne_u32_e32 vcc, s0, v20
                                        ; implicit-def: $vgpr20
	s_and_saveexec_b64 s[0:1], vcc
	s_xor_b64 s[0:1], exec, s[0:1]
; %bb.21:
	v_bfe_u32 v20, v19, 16, 1
	s_movk_i32 s7, 0x7fff
	v_add3_u32 v20, v19, v20, s7
                                        ; implicit-def: $vgpr19
; %bb.22:
	s_andn2_saveexec_b64 s[0:1], s[0:1]
; %bb.23:
	v_mov_b32_e32 v20, 0
	v_or_b32_e32 v21, 0x10000, v19
	v_cmp_eq_u32_sdwa vcc, v19, v20 src0_sel:WORD_0 src1_sel:DWORD
	v_cndmask_b32_e32 v20, v21, v19, vcc
; %bb.24:
	s_or_b64 exec, exec, s[0:1]
	v_lshrrev_b32_e32 v19, 16, v20
	v_cmp_lt_u32_e32 vcc, 1, v14
	v_cndmask_b32_e32 v15, v15, v19, vcc
	v_and_b32_e32 v20, 0xffff0000, v20
	v_cndmask_b32_e32 v18, v18, v20, vcc
	v_mov_b32_dpp v19, v15 row_shr:4 row_mask:0xf bank_mask:0xf
	v_lshlrev_b32_e32 v19, 16, v19
	v_add_f32_e32 v19, v18, v19
	s_mov_b32 s0, 0x7f800000
	v_and_b32_e32 v20, 0x7f800000, v19
	v_cmp_ne_u32_e32 vcc, s0, v20
                                        ; implicit-def: $vgpr20
	s_and_saveexec_b64 s[0:1], vcc
	s_xor_b64 s[0:1], exec, s[0:1]
; %bb.25:
	v_bfe_u32 v20, v19, 16, 1
	s_movk_i32 s7, 0x7fff
	v_add3_u32 v20, v19, v20, s7
                                        ; implicit-def: $vgpr19
; %bb.26:
	s_andn2_saveexec_b64 s[0:1], s[0:1]
; %bb.27:
	v_mov_b32_e32 v20, 0
	v_or_b32_e32 v21, 0x10000, v19
	v_cmp_eq_u32_sdwa vcc, v19, v20 src0_sel:WORD_0 src1_sel:DWORD
	v_cndmask_b32_e32 v20, v21, v19, vcc
; %bb.28:
	s_or_b64 exec, exec, s[0:1]
	v_lshrrev_b32_e32 v19, 16, v20
	v_cmp_lt_u32_e32 vcc, 3, v14
	v_cndmask_b32_e32 v15, v15, v19, vcc
	v_and_b32_e32 v20, 0xffff0000, v20
	v_cndmask_b32_e32 v18, v18, v20, vcc
	v_mov_b32_dpp v19, v15 row_shr:8 row_mask:0xf bank_mask:0xf
	v_lshlrev_b32_e32 v19, 16, v19
	v_add_f32_e32 v18, v18, v19
	s_mov_b32 s0, 0x7f800000
	v_and_b32_e32 v19, 0x7f800000, v18
	v_cmp_ne_u32_e32 vcc, s0, v19
                                        ; implicit-def: $vgpr19
	s_and_saveexec_b64 s[0:1], vcc
	s_xor_b64 s[0:1], exec, s[0:1]
; %bb.29:
	v_bfe_u32 v19, v18, 16, 1
	s_movk_i32 s7, 0x7fff
	v_add3_u32 v19, v18, v19, s7
                                        ; implicit-def: $vgpr18
; %bb.30:
	s_andn2_saveexec_b64 s[0:1], s[0:1]
; %bb.31:
	v_mov_b32_e32 v19, 0
	v_or_b32_e32 v20, 0x10000, v18
	v_cmp_eq_u32_sdwa vcc, v18, v19 src0_sel:WORD_0 src1_sel:DWORD
	v_cndmask_b32_e32 v19, v20, v18, vcc
; %bb.32:
	s_or_b64 exec, exec, s[0:1]
	v_lshrrev_b32_e32 v18, 16, v19
	v_cmp_lt_u32_e32 vcc, 7, v14
	v_cndmask_b32_e32 v14, v15, v18, vcc
	v_cmp_eq_u32_e32 vcc, 15, v0
	s_and_saveexec_b64 s[0:1], vcc
	s_cbranch_execz .LBB258_34
; %bb.33:
	v_mov_b32_e32 v15, 0
	ds_write_b16 v15, v14
.LBB258_34:
	s_or_b64 exec, exec, s[0:1]
	s_load_dword s4, s[4:5], 0x10
	v_lshlrev_b32_e32 v14, 16, v14
	s_waitcnt lgkmcnt(0)
	; wave barrier
	s_waitcnt lgkmcnt(0)
                                        ; implicit-def: $vgpr18
	s_waitcnt lgkmcnt(0)
	s_lshl_b32 s0, s4, 16
	v_pk_add_f32 v[14:15], v[14:15], s[0:1] op_sel_hi:[0,1]
	s_mov_b32 s0, 0x7f800000
	v_and_b32_e32 v15, 0x7f800000, v14
	v_cmp_ne_u32_e32 vcc, s0, v15
	s_and_saveexec_b64 s[0:1], vcc
	s_xor_b64 s[0:1], exec, s[0:1]
; %bb.35:
	v_bfe_u32 v15, v14, 16, 1
	s_movk_i32 s5, 0x7fff
	v_add3_u32 v18, v14, v15, s5
                                        ; implicit-def: $vgpr14_vgpr15
; %bb.36:
	s_andn2_saveexec_b64 s[0:1], s[0:1]
; %bb.37:
	v_mov_b32_e32 v15, 0
	v_or_b32_e32 v18, 0x10000, v14
	v_cmp_eq_u32_sdwa vcc, v14, v15 src0_sel:WORD_0 src1_sel:DWORD
	v_cndmask_b32_e32 v18, v18, v14, vcc
; %bb.38:
	s_or_b64 exec, exec, s[0:1]
	v_lshrrev_b32_e32 v14, 16, v18
	v_add_u32_e32 v15, -1, v17
	v_and_b32_e32 v18, 0x70, v17
	v_cmp_lt_i32_e32 vcc, v15, v18
	v_cndmask_b32_e32 v15, v15, v17, vcc
	v_lshlrev_b32_e32 v15, 2, v15
	ds_bpermute_b32 v14, v15, v14
	v_cmp_eq_u32_e64 s[0:1], 0, v17
	v_cmp_eq_u32_e32 vcc, 0, v0
	v_mov_b32_e32 v0, s4
	s_or_b64 s[0:1], vcc, s[0:1]
	s_waitcnt lgkmcnt(0)
	v_cndmask_b32_e64 v0, v14, v0, s[0:1]
	v_lshlrev_b32_e32 v14, 16, v0
	v_add_f32_e32 v14, v12, v14
	s_mov_b32 s0, 0x7f800000
	v_and_b32_e32 v12, 0x7f800000, v14
	v_cmp_ne_u32_e64 s[0:1], s0, v12
                                        ; implicit-def: $vgpr12
	s_and_saveexec_b64 s[4:5], s[0:1]
	s_xor_b64 s[0:1], exec, s[4:5]
; %bb.39:
	v_bfe_u32 v12, v14, 16, 1
	s_movk_i32 s4, 0x7fff
	v_add3_u32 v12, v14, v12, s4
                                        ; implicit-def: $vgpr14
; %bb.40:
	s_andn2_saveexec_b64 s[4:5], s[0:1]
; %bb.41:
	v_mov_b32_e32 v12, 0
	v_or_b32_e32 v15, 0x10000, v14
	v_cmp_eq_u32_sdwa s[0:1], v14, v12 src0_sel:WORD_0 src1_sel:DWORD
	v_cndmask_b32_e64 v12, v15, v14, s[0:1]
; %bb.42:
	s_or_b64 exec, exec, s[4:5]
	v_and_b32_e32 v14, 0xffff0000, v12
	v_add_f32_e32 v14, v13, v14
	s_mov_b32 s0, 0x7f800000
	v_and_b32_e32 v13, 0x7f800000, v14
	v_cmp_ne_u32_e64 s[0:1], s0, v13
                                        ; implicit-def: $vgpr13
	s_and_saveexec_b64 s[4:5], s[0:1]
	s_xor_b64 s[0:1], exec, s[4:5]
; %bb.43:
	v_bfe_u32 v13, v14, 16, 1
	s_movk_i32 s4, 0x7fff
	v_add3_u32 v13, v14, v13, s4
                                        ; implicit-def: $vgpr14
; %bb.44:
	s_andn2_saveexec_b64 s[4:5], s[0:1]
; %bb.45:
	v_mov_b32_e32 v13, 0
	v_or_b32_e32 v15, 0x10000, v14
	v_cmp_eq_u32_sdwa s[0:1], v14, v13 src0_sel:WORD_0 src1_sel:DWORD
	v_cndmask_b32_e64 v13, v15, v14, s[0:1]
; %bb.46:
	s_or_b64 exec, exec, s[4:5]
	v_and_b32_e32 v14, 0xffff0000, v13
	v_add_f32_e32 v14, v14, v1
	s_mov_b32 s0, 0x7f800000
	v_and_b32_e32 v1, 0x7f800000, v14
	v_cmp_ne_u32_e64 s[0:1], s0, v1
                                        ; implicit-def: $vgpr1
	s_and_saveexec_b64 s[4:5], s[0:1]
	s_xor_b64 s[0:1], exec, s[4:5]
; %bb.47:
	v_bfe_u32 v1, v14, 16, 1
	s_movk_i32 s4, 0x7fff
	v_add3_u32 v1, v14, v1, s4
                                        ; implicit-def: $vgpr14
; %bb.48:
	s_andn2_saveexec_b64 s[4:5], s[0:1]
; %bb.49:
	v_mov_b32_e32 v1, 0
	v_or_b32_e32 v15, 0x10000, v14
	v_cmp_eq_u32_sdwa s[0:1], v14, v1 src0_sel:WORD_0 src1_sel:DWORD
	v_cndmask_b32_e64 v1, v15, v14, s[0:1]
; %bb.50:
	s_or_b64 exec, exec, s[4:5]
	v_and_b32_e32 v14, 0xffff0000, v1
	v_add_f32_e32 v14, v14, v16
	s_mov_b32 s0, 0x7f800000
	v_and_b32_e32 v15, 0x7f800000, v14
	v_cmp_ne_u32_e64 s[0:1], s0, v15
                                        ; implicit-def: $vgpr15
	s_and_saveexec_b64 s[4:5], s[0:1]
	s_xor_b64 s[0:1], exec, s[4:5]
; %bb.51:
	v_bfe_u32 v15, v14, 16, 1
	s_movk_i32 s4, 0x7fff
	v_add3_u32 v15, v14, v15, s4
                                        ; implicit-def: $vgpr14
; %bb.52:
	s_andn2_saveexec_b64 s[4:5], s[0:1]
; %bb.53:
	v_mov_b32_e32 v15, 0
	v_or_b32_e32 v16, 0x10000, v14
	v_cmp_eq_u32_sdwa s[0:1], v14, v15 src0_sel:WORD_0 src1_sel:DWORD
	v_cndmask_b32_e64 v15, v16, v14, s[0:1]
; %bb.54:
	s_or_b64 exec, exec, s[4:5]
	global_store_short v[2:3], v0, off
	global_store_short_d16_hi v[4:5], v12, off
	global_store_short_d16_hi v[10:11], v13, off
	;; [unrolled: 1-line block ×4, first 2 shown]
	s_and_saveexec_b64 s[0:1], vcc
	s_cbranch_execz .LBB258_56
; %bb.55:
	v_mov_b32_e32 v0, 0
	ds_read_u16 v1, v0
	s_mov_b32 s7, 0
	s_lshl_b64 s[0:1], s[6:7], 1
	s_add_u32 s0, s2, s0
	s_addc_u32 s1, s3, s1
	s_waitcnt lgkmcnt(0)
	global_store_short v0, v1, s[0:1]
.LBB258_56:
	s_endpgm
	.section	.rodata,"a",@progbits
	.p2align	6, 0x0
	.amdhsa_kernel _Z34exclusive_scan_reduce_array_kernelILj16ELj5ELN6hipcub18BlockScanAlgorithmE0E12hip_bfloat16EvPT2_S4_S3_
		.amdhsa_group_segment_fixed_size 2
		.amdhsa_private_segment_fixed_size 0
		.amdhsa_kernarg_size 20
		.amdhsa_user_sgpr_count 6
		.amdhsa_user_sgpr_private_segment_buffer 1
		.amdhsa_user_sgpr_dispatch_ptr 0
		.amdhsa_user_sgpr_queue_ptr 0
		.amdhsa_user_sgpr_kernarg_segment_ptr 1
		.amdhsa_user_sgpr_dispatch_id 0
		.amdhsa_user_sgpr_flat_scratch_init 0
		.amdhsa_user_sgpr_kernarg_preload_length 0
		.amdhsa_user_sgpr_kernarg_preload_offset 0
		.amdhsa_user_sgpr_private_segment_size 0
		.amdhsa_uses_dynamic_stack 0
		.amdhsa_system_sgpr_private_segment_wavefront_offset 0
		.amdhsa_system_sgpr_workgroup_id_x 1
		.amdhsa_system_sgpr_workgroup_id_y 0
		.amdhsa_system_sgpr_workgroup_id_z 0
		.amdhsa_system_sgpr_workgroup_info 0
		.amdhsa_system_vgpr_workitem_id 0
		.amdhsa_next_free_vgpr 22
		.amdhsa_next_free_sgpr 8
		.amdhsa_accum_offset 24
		.amdhsa_reserve_vcc 1
		.amdhsa_reserve_flat_scratch 0
		.amdhsa_float_round_mode_32 0
		.amdhsa_float_round_mode_16_64 0
		.amdhsa_float_denorm_mode_32 3
		.amdhsa_float_denorm_mode_16_64 3
		.amdhsa_dx10_clamp 1
		.amdhsa_ieee_mode 1
		.amdhsa_fp16_overflow 0
		.amdhsa_tg_split 0
		.amdhsa_exception_fp_ieee_invalid_op 0
		.amdhsa_exception_fp_denorm_src 0
		.amdhsa_exception_fp_ieee_div_zero 0
		.amdhsa_exception_fp_ieee_overflow 0
		.amdhsa_exception_fp_ieee_underflow 0
		.amdhsa_exception_fp_ieee_inexact 0
		.amdhsa_exception_int_div_zero 0
	.end_amdhsa_kernel
	.section	.text._Z34exclusive_scan_reduce_array_kernelILj16ELj5ELN6hipcub18BlockScanAlgorithmE0E12hip_bfloat16EvPT2_S4_S3_,"axG",@progbits,_Z34exclusive_scan_reduce_array_kernelILj16ELj5ELN6hipcub18BlockScanAlgorithmE0E12hip_bfloat16EvPT2_S4_S3_,comdat
.Lfunc_end258:
	.size	_Z34exclusive_scan_reduce_array_kernelILj16ELj5ELN6hipcub18BlockScanAlgorithmE0E12hip_bfloat16EvPT2_S4_S3_, .Lfunc_end258-_Z34exclusive_scan_reduce_array_kernelILj16ELj5ELN6hipcub18BlockScanAlgorithmE0E12hip_bfloat16EvPT2_S4_S3_
                                        ; -- End function
	.section	.AMDGPU.csdata,"",@progbits
; Kernel info:
; codeLenInByte = 1784
; NumSgprs: 12
; NumVgprs: 22
; NumAgprs: 0
; TotalNumVgprs: 22
; ScratchSize: 0
; MemoryBound: 0
; FloatMode: 240
; IeeeMode: 1
; LDSByteSize: 2 bytes/workgroup (compile time only)
; SGPRBlocks: 1
; VGPRBlocks: 2
; NumSGPRsForWavesPerEU: 12
; NumVGPRsForWavesPerEU: 22
; AccumOffset: 24
; Occupancy: 8
; WaveLimiterHint : 0
; COMPUTE_PGM_RSRC2:SCRATCH_EN: 0
; COMPUTE_PGM_RSRC2:USER_SGPR: 6
; COMPUTE_PGM_RSRC2:TRAP_HANDLER: 0
; COMPUTE_PGM_RSRC2:TGID_X_EN: 1
; COMPUTE_PGM_RSRC2:TGID_Y_EN: 0
; COMPUTE_PGM_RSRC2:TGID_Z_EN: 0
; COMPUTE_PGM_RSRC2:TIDIG_COMP_CNT: 0
; COMPUTE_PGM_RSRC3_GFX90A:ACCUM_OFFSET: 5
; COMPUTE_PGM_RSRC3_GFX90A:TG_SPLIT: 0
	.section	.text._Z34exclusive_scan_reduce_array_kernelILj65ELj5ELN6hipcub18BlockScanAlgorithmE0E6__halfEvPT2_S4_S3_,"axG",@progbits,_Z34exclusive_scan_reduce_array_kernelILj65ELj5ELN6hipcub18BlockScanAlgorithmE0E6__halfEvPT2_S4_S3_,comdat
	.protected	_Z34exclusive_scan_reduce_array_kernelILj65ELj5ELN6hipcub18BlockScanAlgorithmE0E6__halfEvPT2_S4_S3_ ; -- Begin function _Z34exclusive_scan_reduce_array_kernelILj65ELj5ELN6hipcub18BlockScanAlgorithmE0E6__halfEvPT2_S4_S3_
	.globl	_Z34exclusive_scan_reduce_array_kernelILj65ELj5ELN6hipcub18BlockScanAlgorithmE0E6__halfEvPT2_S4_S3_
	.p2align	8
	.type	_Z34exclusive_scan_reduce_array_kernelILj65ELj5ELN6hipcub18BlockScanAlgorithmE0E6__halfEvPT2_S4_S3_,@function
_Z34exclusive_scan_reduce_array_kernelILj65ELj5ELN6hipcub18BlockScanAlgorithmE0E6__halfEvPT2_S4_S3_: ; @_Z34exclusive_scan_reduce_array_kernelILj65ELj5ELN6hipcub18BlockScanAlgorithmE0E6__halfEvPT2_S4_S3_
; %bb.0:
	s_load_dwordx4 s[0:3], s[4:5], 0x0
	s_load_dword s8, s[4:5], 0x10
	s_mul_i32 s4, s6, 0x41
	v_add_u32_e32 v1, s4, v0
	v_lshl_add_u32 v10, v1, 2, v1
	v_mov_b32_e32 v11, 0
	v_lshlrev_b64 v[2:3], 1, v[10:11]
	s_waitcnt lgkmcnt(0)
	v_mov_b32_e32 v1, s1
	v_add_co_u32_e32 v2, vcc, s0, v2
	v_add_u32_e32 v4, 1, v10
	v_mov_b32_e32 v5, v11
	v_addc_co_u32_e32 v3, vcc, v1, v3, vcc
	v_lshlrev_b64 v[4:5], 1, v[4:5]
	v_add_co_u32_e32 v4, vcc, s0, v4
	v_add_u32_e32 v6, 2, v10
	v_mov_b32_e32 v7, v11
	v_addc_co_u32_e32 v5, vcc, v1, v5, vcc
	v_lshlrev_b64 v[6:7], 1, v[6:7]
	;; [unrolled: 5-line block ×3, first 2 shown]
	v_add_co_u32_e32 v8, vcc, s0, v8
	v_add_u32_e32 v10, 4, v10
	v_addc_co_u32_e32 v9, vcc, v1, v9, vcc
	v_lshlrev_b64 v[10:11], 1, v[10:11]
	v_add_co_u32_e32 v10, vcc, s0, v10
	v_addc_co_u32_e32 v11, vcc, v1, v11, vcc
	global_load_ushort v1, v[2:3], off
	global_load_ushort v12, v[4:5], off
	;; [unrolled: 1-line block ×5, first 2 shown]
	v_mbcnt_lo_u32_b32 v15, -1, 0
	v_mbcnt_hi_u32_b32 v15, -1, v15
	v_cmp_gt_u32_e64 s[0:1], 64, v0
	v_and_b32_e32 v19, 15, v15
	v_cndmask_b32_e64 v18, 64, 63, s[0:1]
	v_cmp_eq_u32_e64 s[0:1], 0, v19
	v_and_b32_e32 v20, 16, v15
	v_lshrrev_b32_e32 v16, 6, v0
	v_cmp_lt_u32_e32 vcc, 63, v0
	s_waitcnt vmcnt(3)
	v_add_f16_e32 v21, v1, v12
	s_waitcnt vmcnt(2)
	v_add_f16_e32 v21, v21, v13
	;; [unrolled: 2-line block ×4, first 2 shown]
	s_nop 1
	v_mov_b32_dpp v21, v17 row_shr:1 row_mask:0xf bank_mask:0xf
	v_add_f16_e32 v21, v17, v21
	v_cndmask_b32_e64 v17, v21, v17, s[0:1]
	v_and_b32_e32 v21, 0xffff, v17
	v_cmp_lt_u32_e64 s[0:1], 1, v19
	s_nop 0
	v_mov_b32_dpp v21, v21 row_shr:2 row_mask:0xf bank_mask:0xf
	v_add_f16_e32 v21, v17, v21
	v_cndmask_b32_e64 v17, v17, v21, s[0:1]
	v_and_b32_e32 v21, 0xffff, v17
	v_cmp_lt_u32_e64 s[0:1], 3, v19
	;; [unrolled: 6-line block ×3, first 2 shown]
	s_nop 0
	v_mov_b32_dpp v21, v21 row_shr:8 row_mask:0xf bank_mask:0xf
	v_add_f16_e32 v21, v17, v21
	v_cndmask_b32_e64 v17, v17, v21, s[0:1]
	v_and_b32_e32 v19, 0xffff, v17
	v_cmp_eq_u32_e64 s[0:1], 0, v20
	s_nop 0
	v_mov_b32_dpp v19, v19 row_bcast:15 row_mask:0xf bank_mask:0xf
	v_add_f16_e32 v19, v17, v19
	v_cndmask_b32_e64 v17, v19, v17, s[0:1]
	v_and_b32_e32 v19, 0xffff, v17
	v_cmp_lt_u32_e64 s[0:1], 31, v15
	s_nop 0
	v_mov_b32_dpp v19, v19 row_bcast:31 row_mask:0xf bank_mask:0xf
	v_add_f16_e32 v19, v17, v19
	v_cndmask_b32_e64 v17, v17, v19, s[0:1]
	v_cmp_eq_u32_e64 s[0:1], v18, v0
	s_and_saveexec_b64 s[4:5], s[0:1]
	s_cbranch_execz .LBB259_2
; %bb.1:
	v_lshlrev_b32_e32 v18, 1, v16
	ds_write_b16 v18, v17
.LBB259_2:
	s_or_b64 exec, exec, s[4:5]
	v_cmp_gt_u32_e64 s[0:1], 2, v0
	s_waitcnt lgkmcnt(0)
	s_barrier
	s_and_saveexec_b64 s[4:5], s[0:1]
	s_cbranch_execz .LBB259_4
; %bb.3:
	v_lshlrev_b32_e32 v18, 1, v0
	ds_read_u16 v19, v18
	v_and_b32_e32 v20, 1, v15
	v_cmp_eq_u32_e64 s[0:1], 0, v20
	s_waitcnt lgkmcnt(0)
	v_and_b32_e32 v21, 0xffff, v19
	s_nop 1
	v_mov_b32_dpp v21, v21 row_shr:1 row_mask:0xf bank_mask:0xf
	v_add_f16_e32 v21, v19, v21
	v_cndmask_b32_e64 v19, v21, v19, s[0:1]
	ds_write_b16 v18, v19
.LBB259_4:
	s_or_b64 exec, exec, s[4:5]
	v_mov_b32_e32 v18, s8
	s_waitcnt lgkmcnt(0)
	s_barrier
	s_and_saveexec_b64 s[0:1], vcc
	s_cbranch_execz .LBB259_6
; %bb.5:
	v_lshl_add_u32 v16, v16, 1, -2
	ds_read_u16 v16, v16
	s_waitcnt lgkmcnt(0)
	v_add_f16_e32 v18, s8, v16
.LBB259_6:
	s_or_b64 exec, exec, s[0:1]
	v_add_f16_e32 v16, v17, v18
	v_add_u32_e32 v17, -1, v15
	v_and_b32_e32 v19, 64, v15
	v_cmp_lt_i32_e32 vcc, v17, v19
	v_cndmask_b32_e32 v17, v17, v15, vcc
	v_lshlrev_b32_e32 v17, 2, v17
	ds_bpermute_b32 v16, v17, v16
	v_cmp_eq_u32_e32 vcc, 0, v15
	s_mov_b32 s7, 0
	s_waitcnt lgkmcnt(0)
	v_cndmask_b32_e32 v15, v16, v18, vcc
	v_mov_b32_e32 v16, s8
	v_cmp_eq_u32_e32 vcc, 0, v0
	v_cndmask_b32_e32 v0, v15, v16, vcc
	v_add_f16_e32 v1, v1, v0
	v_add_f16_e32 v12, v12, v1
	;; [unrolled: 1-line block ×4, first 2 shown]
	global_store_short v[2:3], v0, off
	global_store_short v[4:5], v1, off
	;; [unrolled: 1-line block ×5, first 2 shown]
	s_and_saveexec_b64 s[0:1], vcc
	s_cbranch_execz .LBB259_8
; %bb.7:
	v_mov_b32_e32 v0, 0
	ds_read_u16 v1, v0 offset:2
	s_lshl_b64 s[0:1], s[6:7], 1
	s_add_u32 s0, s2, s0
	s_addc_u32 s1, s3, s1
	s_waitcnt lgkmcnt(0)
	global_store_short v0, v1, s[0:1]
.LBB259_8:
	s_endpgm
	.section	.rodata,"a",@progbits
	.p2align	6, 0x0
	.amdhsa_kernel _Z34exclusive_scan_reduce_array_kernelILj65ELj5ELN6hipcub18BlockScanAlgorithmE0E6__halfEvPT2_S4_S3_
		.amdhsa_group_segment_fixed_size 4
		.amdhsa_private_segment_fixed_size 0
		.amdhsa_kernarg_size 20
		.amdhsa_user_sgpr_count 6
		.amdhsa_user_sgpr_private_segment_buffer 1
		.amdhsa_user_sgpr_dispatch_ptr 0
		.amdhsa_user_sgpr_queue_ptr 0
		.amdhsa_user_sgpr_kernarg_segment_ptr 1
		.amdhsa_user_sgpr_dispatch_id 0
		.amdhsa_user_sgpr_flat_scratch_init 0
		.amdhsa_user_sgpr_kernarg_preload_length 0
		.amdhsa_user_sgpr_kernarg_preload_offset 0
		.amdhsa_user_sgpr_private_segment_size 0
		.amdhsa_uses_dynamic_stack 0
		.amdhsa_system_sgpr_private_segment_wavefront_offset 0
		.amdhsa_system_sgpr_workgroup_id_x 1
		.amdhsa_system_sgpr_workgroup_id_y 0
		.amdhsa_system_sgpr_workgroup_id_z 0
		.amdhsa_system_sgpr_workgroup_info 0
		.amdhsa_system_vgpr_workitem_id 0
		.amdhsa_next_free_vgpr 22
		.amdhsa_next_free_sgpr 9
		.amdhsa_accum_offset 24
		.amdhsa_reserve_vcc 1
		.amdhsa_reserve_flat_scratch 0
		.amdhsa_float_round_mode_32 0
		.amdhsa_float_round_mode_16_64 0
		.amdhsa_float_denorm_mode_32 3
		.amdhsa_float_denorm_mode_16_64 3
		.amdhsa_dx10_clamp 1
		.amdhsa_ieee_mode 1
		.amdhsa_fp16_overflow 0
		.amdhsa_tg_split 0
		.amdhsa_exception_fp_ieee_invalid_op 0
		.amdhsa_exception_fp_denorm_src 0
		.amdhsa_exception_fp_ieee_div_zero 0
		.amdhsa_exception_fp_ieee_overflow 0
		.amdhsa_exception_fp_ieee_underflow 0
		.amdhsa_exception_fp_ieee_inexact 0
		.amdhsa_exception_int_div_zero 0
	.end_amdhsa_kernel
	.section	.text._Z34exclusive_scan_reduce_array_kernelILj65ELj5ELN6hipcub18BlockScanAlgorithmE0E6__halfEvPT2_S4_S3_,"axG",@progbits,_Z34exclusive_scan_reduce_array_kernelILj65ELj5ELN6hipcub18BlockScanAlgorithmE0E6__halfEvPT2_S4_S3_,comdat
.Lfunc_end259:
	.size	_Z34exclusive_scan_reduce_array_kernelILj65ELj5ELN6hipcub18BlockScanAlgorithmE0E6__halfEvPT2_S4_S3_, .Lfunc_end259-_Z34exclusive_scan_reduce_array_kernelILj65ELj5ELN6hipcub18BlockScanAlgorithmE0E6__halfEvPT2_S4_S3_
                                        ; -- End function
	.section	.AMDGPU.csdata,"",@progbits
; Kernel info:
; codeLenInByte = 848
; NumSgprs: 13
; NumVgprs: 22
; NumAgprs: 0
; TotalNumVgprs: 22
; ScratchSize: 0
; MemoryBound: 0
; FloatMode: 240
; IeeeMode: 1
; LDSByteSize: 4 bytes/workgroup (compile time only)
; SGPRBlocks: 1
; VGPRBlocks: 2
; NumSGPRsForWavesPerEU: 13
; NumVGPRsForWavesPerEU: 22
; AccumOffset: 24
; Occupancy: 8
; WaveLimiterHint : 0
; COMPUTE_PGM_RSRC2:SCRATCH_EN: 0
; COMPUTE_PGM_RSRC2:USER_SGPR: 6
; COMPUTE_PGM_RSRC2:TRAP_HANDLER: 0
; COMPUTE_PGM_RSRC2:TGID_X_EN: 1
; COMPUTE_PGM_RSRC2:TGID_Y_EN: 0
; COMPUTE_PGM_RSRC2:TGID_Z_EN: 0
; COMPUTE_PGM_RSRC2:TIDIG_COMP_CNT: 0
; COMPUTE_PGM_RSRC3_GFX90A:ACCUM_OFFSET: 5
; COMPUTE_PGM_RSRC3_GFX90A:TG_SPLIT: 0
	.section	.text._Z34exclusive_scan_reduce_array_kernelILj255ELj15ELN6hipcub18BlockScanAlgorithmE0EfEvPT2_S3_S2_,"axG",@progbits,_Z34exclusive_scan_reduce_array_kernelILj255ELj15ELN6hipcub18BlockScanAlgorithmE0EfEvPT2_S3_S2_,comdat
	.protected	_Z34exclusive_scan_reduce_array_kernelILj255ELj15ELN6hipcub18BlockScanAlgorithmE0EfEvPT2_S3_S2_ ; -- Begin function _Z34exclusive_scan_reduce_array_kernelILj255ELj15ELN6hipcub18BlockScanAlgorithmE0EfEvPT2_S3_S2_
	.globl	_Z34exclusive_scan_reduce_array_kernelILj255ELj15ELN6hipcub18BlockScanAlgorithmE0EfEvPT2_S3_S2_
	.p2align	8
	.type	_Z34exclusive_scan_reduce_array_kernelILj255ELj15ELN6hipcub18BlockScanAlgorithmE0EfEvPT2_S3_S2_,@function
_Z34exclusive_scan_reduce_array_kernelILj255ELj15ELN6hipcub18BlockScanAlgorithmE0EfEvPT2_S3_S2_: ; @_Z34exclusive_scan_reduce_array_kernelILj255ELj15ELN6hipcub18BlockScanAlgorithmE0EfEvPT2_S3_S2_
; %bb.0:
	s_load_dwordx4 s[0:3], s[4:5], 0x0
	s_mul_i32 s7, s6, 0xff
	v_add_u32_e32 v1, s7, v0
	v_mul_lo_u32 v30, v1, 15
	v_mov_b32_e32 v31, 0
	v_lshlrev_b64 v[2:3], 2, v[30:31]
	s_waitcnt lgkmcnt(0)
	v_mov_b32_e32 v1, s1
	v_add_co_u32_e32 v2, vcc, s0, v2
	v_add_u32_e32 v4, 1, v30
	v_mov_b32_e32 v5, v31
	v_addc_co_u32_e32 v3, vcc, v1, v3, vcc
	v_lshlrev_b64 v[4:5], 2, v[4:5]
	v_add_co_u32_e32 v4, vcc, s0, v4
	v_add_u32_e32 v6, 2, v30
	v_mov_b32_e32 v7, v31
	v_addc_co_u32_e32 v5, vcc, v1, v5, vcc
	v_lshlrev_b64 v[6:7], 2, v[6:7]
	;; [unrolled: 5-line block ×8, first 2 shown]
	v_mov_b32_e32 v20, s1
	v_add_co_u32_e32 v18, vcc, s0, v18
	v_addc_co_u32_e32 v19, vcc, v20, v19, vcc
	v_add_u32_e32 v20, 9, v30
	v_mov_b32_e32 v21, v31
	v_lshlrev_b64 v[20:21], 2, v[20:21]
	v_mov_b32_e32 v22, s1
	v_add_co_u32_e32 v20, vcc, s0, v20
	v_addc_co_u32_e32 v21, vcc, v22, v21, vcc
	v_add_u32_e32 v22, 10, v30
	v_mov_b32_e32 v23, v31
	v_lshlrev_b64 v[22:23], 2, v[22:23]
	;; [unrolled: 6-line block ×3, first 2 shown]
	v_mov_b32_e32 v26, s1
	v_add_co_u32_e32 v24, vcc, s0, v24
	v_addc_co_u32_e32 v25, vcc, v26, v25, vcc
	v_add_u32_e32 v26, 12, v30
	v_mov_b32_e32 v27, v31
	global_load_dword v1, v[2:3], off
	global_load_dword v32, v[4:5], off
	;; [unrolled: 1-line block ×8, first 2 shown]
	v_lshlrev_b64 v[26:27], 2, v[26:27]
	v_mov_b32_e32 v28, s1
	v_add_co_u32_e32 v26, vcc, s0, v26
	v_addc_co_u32_e32 v27, vcc, v28, v27, vcc
	v_add_u32_e32 v28, 13, v30
	v_mov_b32_e32 v29, v31
	v_lshlrev_b64 v[28:29], 2, v[28:29]
	v_mov_b32_e32 v39, s1
	v_add_co_u32_e32 v28, vcc, s0, v28
	v_add_u32_e32 v30, 14, v30
	v_addc_co_u32_e32 v29, vcc, v39, v29, vcc
	v_lshlrev_b64 v[30:31], 2, v[30:31]
	v_add_co_u32_e32 v30, vcc, s0, v30
	v_addc_co_u32_e32 v31, vcc, v39, v31, vcc
	global_load_dword v39, v[18:19], off
	global_load_dword v40, v[20:21], off
	;; [unrolled: 1-line block ×7, first 2 shown]
	s_waitcnt vmcnt(13)
	v_add_f32_e32 v46, v1, v32
	s_waitcnt vmcnt(12)
	v_add_f32_e32 v46, v33, v46
	;; [unrolled: 2-line block ×14, first 2 shown]
	v_mbcnt_lo_u32_b32 v45, -1, 0
	v_mbcnt_hi_u32_b32 v45, -1, v45
	v_and_b32_e32 v47, 15, v45
	v_mov_b32_dpp v48, v46 row_shr:1 row_mask:0xf bank_mask:0xf
	v_add_f32_e32 v48, v46, v48
	v_cmp_eq_u32_e32 vcc, 0, v47
	v_cndmask_b32_e32 v46, v48, v46, vcc
	v_cmp_lt_u32_e32 vcc, 1, v47
	s_nop 0
	v_mov_b32_dpp v48, v46 row_shr:2 row_mask:0xf bank_mask:0xf
	v_add_f32_e32 v48, v46, v48
	v_cndmask_b32_e32 v46, v46, v48, vcc
	v_cmp_lt_u32_e32 vcc, 3, v47
	s_nop 0
	v_mov_b32_dpp v48, v46 row_shr:4 row_mask:0xf bank_mask:0xf
	v_add_f32_e32 v48, v46, v48
	;; [unrolled: 5-line block ×3, first 2 shown]
	v_cndmask_b32_e32 v46, v46, v48, vcc
	v_and_b32_e32 v48, 16, v45
	v_cmp_eq_u32_e32 vcc, 0, v48
	v_mov_b32_dpp v47, v46 row_bcast:15 row_mask:0xf bank_mask:0xf
	v_add_f32_e32 v47, v46, v47
	v_cndmask_b32_e32 v46, v47, v46, vcc
	v_and_b32_e32 v48, 0xc0, v0
	v_min_u32_e32 v48, 0xbf, v48
	v_mov_b32_dpp v47, v46 row_bcast:31 row_mask:0xf bank_mask:0xf
	v_add_f32_e32 v47, v46, v47
	v_cmp_lt_u32_e32 vcc, 31, v45
	v_add_u32_e32 v48, 63, v48
	v_cndmask_b32_e32 v46, v46, v47, vcc
	v_lshrrev_b32_e32 v47, 6, v0
	v_cmp_eq_u32_e32 vcc, v48, v0
	s_and_saveexec_b64 s[0:1], vcc
	s_cbranch_execz .LBB260_2
; %bb.1:
	v_lshlrev_b32_e32 v48, 2, v47
	ds_write_b32 v48, v46
.LBB260_2:
	s_or_b64 exec, exec, s[0:1]
	v_cmp_gt_u32_e32 vcc, 4, v0
	s_waitcnt lgkmcnt(0)
	s_barrier
	s_and_saveexec_b64 s[0:1], vcc
	s_cbranch_execz .LBB260_4
; %bb.3:
	v_lshlrev_b32_e32 v48, 2, v0
	ds_read_b32 v49, v48
	v_and_b32_e32 v50, 3, v45
	v_cmp_eq_u32_e32 vcc, 0, v50
	s_waitcnt lgkmcnt(0)
	v_mov_b32_dpp v51, v49 row_shr:1 row_mask:0xf bank_mask:0xf
	v_add_f32_e32 v51, v49, v51
	v_cndmask_b32_e32 v49, v51, v49, vcc
	v_cmp_lt_u32_e32 vcc, 1, v50
	s_nop 0
	v_mov_b32_dpp v51, v49 row_shr:2 row_mask:0xf bank_mask:0xf
	v_add_f32_e32 v51, v49, v51
	v_cndmask_b32_e32 v49, v49, v51, vcc
	ds_write_b32 v48, v49
.LBB260_4:
	s_or_b64 exec, exec, s[0:1]
	s_load_dword s4, s[4:5], 0x10
	v_cmp_lt_u32_e32 vcc, 63, v0
	s_waitcnt lgkmcnt(0)
	s_barrier
	v_mov_b32_e32 v48, s4
	s_and_saveexec_b64 s[0:1], vcc
	s_cbranch_execz .LBB260_6
; %bb.5:
	v_lshl_add_u32 v47, v47, 2, -4
	ds_read_b32 v47, v47
	s_waitcnt lgkmcnt(0)
	v_add_f32_e32 v48, s4, v47
.LBB260_6:
	s_or_b64 exec, exec, s[0:1]
	v_add_u32_e32 v47, -1, v45
	v_and_b32_e32 v49, 64, v45
	v_cmp_lt_i32_e32 vcc, v47, v49
	v_cndmask_b32_e32 v47, v47, v45, vcc
	v_add_f32_e32 v46, v46, v48
	v_lshlrev_b32_e32 v47, 2, v47
	ds_bpermute_b32 v46, v47, v46
	v_cmp_eq_u32_e32 vcc, 0, v45
	s_mov_b32 s7, 0
	s_waitcnt lgkmcnt(0)
	v_cndmask_b32_e32 v45, v46, v48, vcc
	v_mov_b32_e32 v46, s4
	v_cmp_eq_u32_e32 vcc, 0, v0
	v_cndmask_b32_e32 v0, v45, v46, vcc
	v_add_f32_e32 v1, v1, v0
	v_add_f32_e32 v32, v32, v1
	;; [unrolled: 1-line block ×14, first 2 shown]
	global_store_dword v[2:3], v0, off
	global_store_dword v[4:5], v1, off
	;; [unrolled: 1-line block ×15, first 2 shown]
	s_and_saveexec_b64 s[0:1], vcc
	s_cbranch_execz .LBB260_8
; %bb.7:
	v_mov_b32_e32 v0, 0
	ds_read_b32 v1, v0 offset:12
	s_lshl_b64 s[0:1], s[6:7], 2
	s_add_u32 s0, s2, s0
	s_addc_u32 s1, s3, s1
	s_waitcnt lgkmcnt(0)
	global_store_dword v0, v1, s[0:1]
.LBB260_8:
	s_endpgm
	.section	.rodata,"a",@progbits
	.p2align	6, 0x0
	.amdhsa_kernel _Z34exclusive_scan_reduce_array_kernelILj255ELj15ELN6hipcub18BlockScanAlgorithmE0EfEvPT2_S3_S2_
		.amdhsa_group_segment_fixed_size 16
		.amdhsa_private_segment_fixed_size 0
		.amdhsa_kernarg_size 20
		.amdhsa_user_sgpr_count 6
		.amdhsa_user_sgpr_private_segment_buffer 1
		.amdhsa_user_sgpr_dispatch_ptr 0
		.amdhsa_user_sgpr_queue_ptr 0
		.amdhsa_user_sgpr_kernarg_segment_ptr 1
		.amdhsa_user_sgpr_dispatch_id 0
		.amdhsa_user_sgpr_flat_scratch_init 0
		.amdhsa_user_sgpr_kernarg_preload_length 0
		.amdhsa_user_sgpr_kernarg_preload_offset 0
		.amdhsa_user_sgpr_private_segment_size 0
		.amdhsa_uses_dynamic_stack 0
		.amdhsa_system_sgpr_private_segment_wavefront_offset 0
		.amdhsa_system_sgpr_workgroup_id_x 1
		.amdhsa_system_sgpr_workgroup_id_y 0
		.amdhsa_system_sgpr_workgroup_id_z 0
		.amdhsa_system_sgpr_workgroup_info 0
		.amdhsa_system_vgpr_workitem_id 0
		.amdhsa_next_free_vgpr 52
		.amdhsa_next_free_sgpr 8
		.amdhsa_accum_offset 52
		.amdhsa_reserve_vcc 1
		.amdhsa_reserve_flat_scratch 0
		.amdhsa_float_round_mode_32 0
		.amdhsa_float_round_mode_16_64 0
		.amdhsa_float_denorm_mode_32 3
		.amdhsa_float_denorm_mode_16_64 3
		.amdhsa_dx10_clamp 1
		.amdhsa_ieee_mode 1
		.amdhsa_fp16_overflow 0
		.amdhsa_tg_split 0
		.amdhsa_exception_fp_ieee_invalid_op 0
		.amdhsa_exception_fp_denorm_src 0
		.amdhsa_exception_fp_ieee_div_zero 0
		.amdhsa_exception_fp_ieee_overflow 0
		.amdhsa_exception_fp_ieee_underflow 0
		.amdhsa_exception_fp_ieee_inexact 0
		.amdhsa_exception_int_div_zero 0
	.end_amdhsa_kernel
	.section	.text._Z34exclusive_scan_reduce_array_kernelILj255ELj15ELN6hipcub18BlockScanAlgorithmE0EfEvPT2_S3_S2_,"axG",@progbits,_Z34exclusive_scan_reduce_array_kernelILj255ELj15ELN6hipcub18BlockScanAlgorithmE0EfEvPT2_S3_S2_,comdat
.Lfunc_end260:
	.size	_Z34exclusive_scan_reduce_array_kernelILj255ELj15ELN6hipcub18BlockScanAlgorithmE0EfEvPT2_S3_S2_, .Lfunc_end260-_Z34exclusive_scan_reduce_array_kernelILj255ELj15ELN6hipcub18BlockScanAlgorithmE0EfEvPT2_S3_S2_
                                        ; -- End function
	.section	.AMDGPU.csdata,"",@progbits
; Kernel info:
; codeLenInByte = 1292
; NumSgprs: 12
; NumVgprs: 52
; NumAgprs: 0
; TotalNumVgprs: 52
; ScratchSize: 0
; MemoryBound: 0
; FloatMode: 240
; IeeeMode: 1
; LDSByteSize: 16 bytes/workgroup (compile time only)
; SGPRBlocks: 1
; VGPRBlocks: 6
; NumSGPRsForWavesPerEU: 12
; NumVGPRsForWavesPerEU: 52
; AccumOffset: 52
; Occupancy: 8
; WaveLimiterHint : 0
; COMPUTE_PGM_RSRC2:SCRATCH_EN: 0
; COMPUTE_PGM_RSRC2:USER_SGPR: 6
; COMPUTE_PGM_RSRC2:TRAP_HANDLER: 0
; COMPUTE_PGM_RSRC2:TGID_X_EN: 1
; COMPUTE_PGM_RSRC2:TGID_Y_EN: 0
; COMPUTE_PGM_RSRC2:TGID_Z_EN: 0
; COMPUTE_PGM_RSRC2:TIDIG_COMP_CNT: 0
; COMPUTE_PGM_RSRC3_GFX90A:ACCUM_OFFSET: 12
; COMPUTE_PGM_RSRC3_GFX90A:TG_SPLIT: 0
	.section	.text._Z34exclusive_scan_reduce_array_kernelILj162ELj7ELN6hipcub18BlockScanAlgorithmE0EfEvPT2_S3_S2_,"axG",@progbits,_Z34exclusive_scan_reduce_array_kernelILj162ELj7ELN6hipcub18BlockScanAlgorithmE0EfEvPT2_S3_S2_,comdat
	.protected	_Z34exclusive_scan_reduce_array_kernelILj162ELj7ELN6hipcub18BlockScanAlgorithmE0EfEvPT2_S3_S2_ ; -- Begin function _Z34exclusive_scan_reduce_array_kernelILj162ELj7ELN6hipcub18BlockScanAlgorithmE0EfEvPT2_S3_S2_
	.globl	_Z34exclusive_scan_reduce_array_kernelILj162ELj7ELN6hipcub18BlockScanAlgorithmE0EfEvPT2_S3_S2_
	.p2align	8
	.type	_Z34exclusive_scan_reduce_array_kernelILj162ELj7ELN6hipcub18BlockScanAlgorithmE0EfEvPT2_S3_S2_,@function
_Z34exclusive_scan_reduce_array_kernelILj162ELj7ELN6hipcub18BlockScanAlgorithmE0EfEvPT2_S3_S2_: ; @_Z34exclusive_scan_reduce_array_kernelILj162ELj7ELN6hipcub18BlockScanAlgorithmE0EfEvPT2_S3_S2_
; %bb.0:
	s_load_dwordx4 s[0:3], s[4:5], 0x0
	s_mul_i32 s7, s6, 0xa2
	v_add_u32_e32 v1, s7, v0
	v_mul_lo_u32 v14, v1, 7
	v_mov_b32_e32 v15, 0
	v_lshlrev_b64 v[2:3], 2, v[14:15]
	s_waitcnt lgkmcnt(0)
	v_mov_b32_e32 v1, s1
	v_add_co_u32_e32 v2, vcc, s0, v2
	v_add_u32_e32 v4, 1, v14
	v_mov_b32_e32 v5, v15
	v_addc_co_u32_e32 v3, vcc, v1, v3, vcc
	v_lshlrev_b64 v[4:5], 2, v[4:5]
	v_add_co_u32_e32 v4, vcc, s0, v4
	v_add_u32_e32 v6, 2, v14
	v_mov_b32_e32 v7, v15
	v_addc_co_u32_e32 v5, vcc, v1, v5, vcc
	v_lshlrev_b64 v[6:7], 2, v[6:7]
	;; [unrolled: 5-line block ×5, first 2 shown]
	v_add_co_u32_e32 v12, vcc, s0, v12
	v_add_u32_e32 v14, 6, v14
	v_addc_co_u32_e32 v13, vcc, v1, v13, vcc
	v_lshlrev_b64 v[14:15], 2, v[14:15]
	v_add_co_u32_e32 v14, vcc, s0, v14
	v_addc_co_u32_e32 v15, vcc, v1, v15, vcc
	global_load_dword v1, v[2:3], off
	global_load_dword v16, v[4:5], off
	;; [unrolled: 1-line block ×7, first 2 shown]
	v_mbcnt_lo_u32_b32 v21, -1, 0
	v_mbcnt_hi_u32_b32 v21, -1, v21
	v_and_b32_e32 v25, 15, v21
	v_cmp_eq_u32_e32 vcc, 0, v25
	v_and_b32_e32 v26, 16, v21
	v_and_b32_e32 v24, 0xc0, v0
	v_min_u32_e32 v24, 0x62, v24
	v_add_u32_e32 v24, 63, v24
	v_lshrrev_b32_e32 v22, 6, v0
	s_waitcnt vmcnt(5)
	v_add_f32_e32 v27, v1, v16
	s_waitcnt vmcnt(4)
	v_add_f32_e32 v27, v17, v27
	;; [unrolled: 2-line block ×6, first 2 shown]
	s_nop 1
	v_mov_b32_dpp v27, v23 row_shr:1 row_mask:0xf bank_mask:0xf
	v_add_f32_e32 v27, v23, v27
	v_cndmask_b32_e32 v23, v27, v23, vcc
	v_cmp_lt_u32_e32 vcc, 1, v25
	s_nop 0
	v_mov_b32_dpp v27, v23 row_shr:2 row_mask:0xf bank_mask:0xf
	v_add_f32_e32 v27, v23, v27
	v_cndmask_b32_e32 v23, v23, v27, vcc
	v_cmp_lt_u32_e32 vcc, 3, v25
	;; [unrolled: 5-line block ×3, first 2 shown]
	s_nop 0
	v_mov_b32_dpp v27, v23 row_shr:8 row_mask:0xf bank_mask:0xf
	v_add_f32_e32 v27, v23, v27
	v_cndmask_b32_e32 v23, v23, v27, vcc
	v_cmp_eq_u32_e32 vcc, 0, v26
	s_nop 0
	v_mov_b32_dpp v25, v23 row_bcast:15 row_mask:0xf bank_mask:0xf
	v_add_f32_e32 v25, v23, v25
	v_cndmask_b32_e32 v23, v25, v23, vcc
	v_cmp_lt_u32_e32 vcc, 31, v21
	s_nop 0
	v_mov_b32_dpp v25, v23 row_bcast:31 row_mask:0xf bank_mask:0xf
	v_add_f32_e32 v25, v23, v25
	v_cndmask_b32_e32 v23, v23, v25, vcc
	v_cmp_eq_u32_e32 vcc, v24, v0
	s_and_saveexec_b64 s[0:1], vcc
	s_cbranch_execz .LBB261_2
; %bb.1:
	v_lshlrev_b32_e32 v24, 2, v22
	ds_write_b32 v24, v23
.LBB261_2:
	s_or_b64 exec, exec, s[0:1]
	v_cmp_gt_u32_e32 vcc, 3, v0
	s_waitcnt lgkmcnt(0)
	s_barrier
	s_and_saveexec_b64 s[0:1], vcc
	s_cbranch_execz .LBB261_4
; %bb.3:
	v_lshlrev_b32_e32 v24, 2, v0
	ds_read_b32 v25, v24
	v_and_b32_e32 v26, 3, v21
	v_cmp_eq_u32_e32 vcc, 0, v26
	s_waitcnt lgkmcnt(0)
	v_mov_b32_dpp v27, v25 row_shr:1 row_mask:0xf bank_mask:0xf
	v_add_f32_e32 v27, v25, v27
	v_cndmask_b32_e32 v25, v27, v25, vcc
	v_cmp_lt_u32_e32 vcc, 1, v26
	s_nop 0
	v_mov_b32_dpp v27, v25 row_shr:2 row_mask:0xf bank_mask:0xf
	v_add_f32_e32 v27, v25, v27
	v_cndmask_b32_e32 v25, v25, v27, vcc
	ds_write_b32 v24, v25
.LBB261_4:
	s_or_b64 exec, exec, s[0:1]
	s_load_dword s4, s[4:5], 0x10
	v_cmp_lt_u32_e32 vcc, 63, v0
	s_waitcnt lgkmcnt(0)
	s_barrier
	v_mov_b32_e32 v24, s4
	s_and_saveexec_b64 s[0:1], vcc
	s_cbranch_execz .LBB261_6
; %bb.5:
	v_lshl_add_u32 v22, v22, 2, -4
	ds_read_b32 v22, v22
	s_waitcnt lgkmcnt(0)
	v_add_f32_e32 v24, s4, v22
.LBB261_6:
	s_or_b64 exec, exec, s[0:1]
	v_add_f32_e32 v22, v23, v24
	v_add_u32_e32 v23, -1, v21
	v_and_b32_e32 v25, 64, v21
	v_cmp_lt_i32_e32 vcc, v23, v25
	v_cndmask_b32_e32 v23, v23, v21, vcc
	v_lshlrev_b32_e32 v23, 2, v23
	ds_bpermute_b32 v22, v23, v22
	v_cmp_eq_u32_e32 vcc, 0, v21
	s_mov_b32 s7, 0
	s_waitcnt lgkmcnt(0)
	v_cndmask_b32_e32 v21, v22, v24, vcc
	v_mov_b32_e32 v22, s4
	v_cmp_eq_u32_e32 vcc, 0, v0
	v_cndmask_b32_e32 v0, v21, v22, vcc
	v_add_f32_e32 v1, v1, v0
	v_add_f32_e32 v16, v16, v1
	v_add_f32_e32 v17, v17, v16
	v_add_f32_e32 v18, v18, v17
	v_add_f32_e32 v19, v19, v18
	v_add_f32_e32 v20, v20, v19
	global_store_dword v[2:3], v0, off
	global_store_dword v[4:5], v1, off
	;; [unrolled: 1-line block ×7, first 2 shown]
	s_and_saveexec_b64 s[0:1], vcc
	s_cbranch_execz .LBB261_8
; %bb.7:
	v_mov_b32_e32 v0, 0
	ds_read_b32 v1, v0 offset:8
	s_lshl_b64 s[0:1], s[6:7], 2
	s_add_u32 s0, s2, s0
	s_addc_u32 s1, s3, s1
	s_waitcnt lgkmcnt(0)
	global_store_dword v0, v1, s[0:1]
.LBB261_8:
	s_endpgm
	.section	.rodata,"a",@progbits
	.p2align	6, 0x0
	.amdhsa_kernel _Z34exclusive_scan_reduce_array_kernelILj162ELj7ELN6hipcub18BlockScanAlgorithmE0EfEvPT2_S3_S2_
		.amdhsa_group_segment_fixed_size 12
		.amdhsa_private_segment_fixed_size 0
		.amdhsa_kernarg_size 20
		.amdhsa_user_sgpr_count 6
		.amdhsa_user_sgpr_private_segment_buffer 1
		.amdhsa_user_sgpr_dispatch_ptr 0
		.amdhsa_user_sgpr_queue_ptr 0
		.amdhsa_user_sgpr_kernarg_segment_ptr 1
		.amdhsa_user_sgpr_dispatch_id 0
		.amdhsa_user_sgpr_flat_scratch_init 0
		.amdhsa_user_sgpr_kernarg_preload_length 0
		.amdhsa_user_sgpr_kernarg_preload_offset 0
		.amdhsa_user_sgpr_private_segment_size 0
		.amdhsa_uses_dynamic_stack 0
		.amdhsa_system_sgpr_private_segment_wavefront_offset 0
		.amdhsa_system_sgpr_workgroup_id_x 1
		.amdhsa_system_sgpr_workgroup_id_y 0
		.amdhsa_system_sgpr_workgroup_id_z 0
		.amdhsa_system_sgpr_workgroup_info 0
		.amdhsa_system_vgpr_workitem_id 0
		.amdhsa_next_free_vgpr 28
		.amdhsa_next_free_sgpr 8
		.amdhsa_accum_offset 28
		.amdhsa_reserve_vcc 1
		.amdhsa_reserve_flat_scratch 0
		.amdhsa_float_round_mode_32 0
		.amdhsa_float_round_mode_16_64 0
		.amdhsa_float_denorm_mode_32 3
		.amdhsa_float_denorm_mode_16_64 3
		.amdhsa_dx10_clamp 1
		.amdhsa_ieee_mode 1
		.amdhsa_fp16_overflow 0
		.amdhsa_tg_split 0
		.amdhsa_exception_fp_ieee_invalid_op 0
		.amdhsa_exception_fp_denorm_src 0
		.amdhsa_exception_fp_ieee_div_zero 0
		.amdhsa_exception_fp_ieee_overflow 0
		.amdhsa_exception_fp_ieee_underflow 0
		.amdhsa_exception_fp_ieee_inexact 0
		.amdhsa_exception_int_div_zero 0
	.end_amdhsa_kernel
	.section	.text._Z34exclusive_scan_reduce_array_kernelILj162ELj7ELN6hipcub18BlockScanAlgorithmE0EfEvPT2_S3_S2_,"axG",@progbits,_Z34exclusive_scan_reduce_array_kernelILj162ELj7ELN6hipcub18BlockScanAlgorithmE0EfEvPT2_S3_S2_,comdat
.Lfunc_end261:
	.size	_Z34exclusive_scan_reduce_array_kernelILj162ELj7ELN6hipcub18BlockScanAlgorithmE0EfEvPT2_S3_S2_, .Lfunc_end261-_Z34exclusive_scan_reduce_array_kernelILj162ELj7ELN6hipcub18BlockScanAlgorithmE0EfEvPT2_S3_S2_
                                        ; -- End function
	.section	.AMDGPU.csdata,"",@progbits
; Kernel info:
; codeLenInByte = 864
; NumSgprs: 12
; NumVgprs: 28
; NumAgprs: 0
; TotalNumVgprs: 28
; ScratchSize: 0
; MemoryBound: 0
; FloatMode: 240
; IeeeMode: 1
; LDSByteSize: 12 bytes/workgroup (compile time only)
; SGPRBlocks: 1
; VGPRBlocks: 3
; NumSGPRsForWavesPerEU: 12
; NumVGPRsForWavesPerEU: 28
; AccumOffset: 28
; Occupancy: 8
; WaveLimiterHint : 0
; COMPUTE_PGM_RSRC2:SCRATCH_EN: 0
; COMPUTE_PGM_RSRC2:USER_SGPR: 6
; COMPUTE_PGM_RSRC2:TRAP_HANDLER: 0
; COMPUTE_PGM_RSRC2:TGID_X_EN: 1
; COMPUTE_PGM_RSRC2:TGID_Y_EN: 0
; COMPUTE_PGM_RSRC2:TGID_Z_EN: 0
; COMPUTE_PGM_RSRC2:TIDIG_COMP_CNT: 0
; COMPUTE_PGM_RSRC3_GFX90A:ACCUM_OFFSET: 6
; COMPUTE_PGM_RSRC3_GFX90A:TG_SPLIT: 0
	.section	.text._Z34exclusive_scan_reduce_array_kernelILj65ELj5ELN6hipcub18BlockScanAlgorithmE0EfEvPT2_S3_S2_,"axG",@progbits,_Z34exclusive_scan_reduce_array_kernelILj65ELj5ELN6hipcub18BlockScanAlgorithmE0EfEvPT2_S3_S2_,comdat
	.protected	_Z34exclusive_scan_reduce_array_kernelILj65ELj5ELN6hipcub18BlockScanAlgorithmE0EfEvPT2_S3_S2_ ; -- Begin function _Z34exclusive_scan_reduce_array_kernelILj65ELj5ELN6hipcub18BlockScanAlgorithmE0EfEvPT2_S3_S2_
	.globl	_Z34exclusive_scan_reduce_array_kernelILj65ELj5ELN6hipcub18BlockScanAlgorithmE0EfEvPT2_S3_S2_
	.p2align	8
	.type	_Z34exclusive_scan_reduce_array_kernelILj65ELj5ELN6hipcub18BlockScanAlgorithmE0EfEvPT2_S3_S2_,@function
_Z34exclusive_scan_reduce_array_kernelILj65ELj5ELN6hipcub18BlockScanAlgorithmE0EfEvPT2_S3_S2_: ; @_Z34exclusive_scan_reduce_array_kernelILj65ELj5ELN6hipcub18BlockScanAlgorithmE0EfEvPT2_S3_S2_
; %bb.0:
	s_load_dwordx4 s[0:3], s[4:5], 0x0
	s_mul_i32 s7, s6, 0x41
	v_add_u32_e32 v1, s7, v0
	v_lshl_add_u32 v10, v1, 2, v1
	v_mov_b32_e32 v11, 0
	v_lshlrev_b64 v[2:3], 2, v[10:11]
	s_waitcnt lgkmcnt(0)
	v_mov_b32_e32 v1, s1
	v_add_co_u32_e32 v2, vcc, s0, v2
	v_add_u32_e32 v4, 1, v10
	v_mov_b32_e32 v5, v11
	v_addc_co_u32_e32 v3, vcc, v1, v3, vcc
	v_lshlrev_b64 v[4:5], 2, v[4:5]
	v_add_co_u32_e32 v4, vcc, s0, v4
	v_add_u32_e32 v6, 2, v10
	v_mov_b32_e32 v7, v11
	v_addc_co_u32_e32 v5, vcc, v1, v5, vcc
	v_lshlrev_b64 v[6:7], 2, v[6:7]
	;; [unrolled: 5-line block ×3, first 2 shown]
	v_add_co_u32_e32 v8, vcc, s0, v8
	v_add_u32_e32 v10, 4, v10
	v_addc_co_u32_e32 v9, vcc, v1, v9, vcc
	v_lshlrev_b64 v[10:11], 2, v[10:11]
	v_add_co_u32_e32 v10, vcc, s0, v10
	v_addc_co_u32_e32 v11, vcc, v1, v11, vcc
	global_load_dword v1, v[2:3], off
	global_load_dword v12, v[4:5], off
	;; [unrolled: 1-line block ×5, first 2 shown]
	v_mbcnt_lo_u32_b32 v15, -1, 0
	v_mbcnt_hi_u32_b32 v15, -1, v15
	v_cmp_gt_u32_e64 s[0:1], 64, v0
	v_and_b32_e32 v19, 15, v15
	v_cndmask_b32_e64 v18, 64, 63, s[0:1]
	v_cmp_eq_u32_e64 s[0:1], 0, v19
	v_and_b32_e32 v20, 16, v15
	v_lshrrev_b32_e32 v16, 6, v0
	v_cmp_lt_u32_e32 vcc, 63, v0
	s_waitcnt vmcnt(3)
	v_add_f32_e32 v21, v1, v12
	s_waitcnt vmcnt(2)
	v_add_f32_e32 v21, v13, v21
	;; [unrolled: 2-line block ×4, first 2 shown]
	s_nop 1
	v_mov_b32_dpp v21, v17 row_shr:1 row_mask:0xf bank_mask:0xf
	v_add_f32_e32 v21, v17, v21
	v_cndmask_b32_e64 v17, v21, v17, s[0:1]
	v_cmp_lt_u32_e64 s[0:1], 1, v19
	s_nop 0
	v_mov_b32_dpp v21, v17 row_shr:2 row_mask:0xf bank_mask:0xf
	v_add_f32_e32 v21, v17, v21
	v_cndmask_b32_e64 v17, v17, v21, s[0:1]
	v_cmp_lt_u32_e64 s[0:1], 3, v19
	;; [unrolled: 5-line block ×3, first 2 shown]
	s_nop 0
	v_mov_b32_dpp v21, v17 row_shr:8 row_mask:0xf bank_mask:0xf
	v_add_f32_e32 v21, v17, v21
	v_cndmask_b32_e64 v17, v17, v21, s[0:1]
	v_cmp_eq_u32_e64 s[0:1], 0, v20
	s_nop 0
	v_mov_b32_dpp v19, v17 row_bcast:15 row_mask:0xf bank_mask:0xf
	v_add_f32_e32 v19, v17, v19
	v_cndmask_b32_e64 v17, v19, v17, s[0:1]
	v_cmp_lt_u32_e64 s[0:1], 31, v15
	s_nop 0
	v_mov_b32_dpp v19, v17 row_bcast:31 row_mask:0xf bank_mask:0xf
	v_add_f32_e32 v19, v17, v19
	v_cndmask_b32_e64 v17, v17, v19, s[0:1]
	v_cmp_eq_u32_e64 s[0:1], v18, v0
	s_and_saveexec_b64 s[8:9], s[0:1]
	s_cbranch_execz .LBB262_2
; %bb.1:
	v_lshlrev_b32_e32 v18, 2, v16
	ds_write_b32 v18, v17
.LBB262_2:
	s_or_b64 exec, exec, s[8:9]
	v_cmp_gt_u32_e64 s[0:1], 2, v0
	s_waitcnt lgkmcnt(0)
	s_barrier
	s_and_saveexec_b64 s[8:9], s[0:1]
	s_cbranch_execz .LBB262_4
; %bb.3:
	v_lshlrev_b32_e32 v18, 2, v0
	ds_read_b32 v19, v18
	v_and_b32_e32 v20, 1, v15
	v_cmp_eq_u32_e64 s[0:1], 0, v20
	s_waitcnt lgkmcnt(0)
	v_mov_b32_dpp v21, v19 row_shr:1 row_mask:0xf bank_mask:0xf
	v_add_f32_e32 v21, v19, v21
	v_cndmask_b32_e64 v19, v21, v19, s[0:1]
	ds_write_b32 v18, v19
.LBB262_4:
	s_or_b64 exec, exec, s[8:9]
	s_load_dword s4, s[4:5], 0x10
	s_waitcnt lgkmcnt(0)
	s_barrier
	v_mov_b32_e32 v18, s4
	s_and_saveexec_b64 s[0:1], vcc
	s_cbranch_execz .LBB262_6
; %bb.5:
	v_lshl_add_u32 v16, v16, 2, -4
	ds_read_b32 v16, v16
	s_waitcnt lgkmcnt(0)
	v_add_f32_e32 v18, s4, v16
.LBB262_6:
	s_or_b64 exec, exec, s[0:1]
	v_add_f32_e32 v16, v17, v18
	v_add_u32_e32 v17, -1, v15
	v_and_b32_e32 v19, 64, v15
	v_cmp_lt_i32_e32 vcc, v17, v19
	v_cndmask_b32_e32 v17, v17, v15, vcc
	v_lshlrev_b32_e32 v17, 2, v17
	ds_bpermute_b32 v16, v17, v16
	v_cmp_eq_u32_e32 vcc, 0, v15
	s_mov_b32 s7, 0
	s_waitcnt lgkmcnt(0)
	v_cndmask_b32_e32 v15, v16, v18, vcc
	v_mov_b32_e32 v16, s4
	v_cmp_eq_u32_e32 vcc, 0, v0
	v_cndmask_b32_e32 v0, v15, v16, vcc
	v_add_f32_e32 v1, v1, v0
	v_add_f32_e32 v12, v12, v1
	;; [unrolled: 1-line block ×4, first 2 shown]
	global_store_dword v[2:3], v0, off
	global_store_dword v[4:5], v1, off
	;; [unrolled: 1-line block ×5, first 2 shown]
	s_and_saveexec_b64 s[0:1], vcc
	s_cbranch_execz .LBB262_8
; %bb.7:
	v_mov_b32_e32 v0, 0
	ds_read_b32 v1, v0 offset:4
	s_lshl_b64 s[0:1], s[6:7], 2
	s_add_u32 s0, s2, s0
	s_addc_u32 s1, s3, s1
	s_waitcnt lgkmcnt(0)
	global_store_dword v0, v1, s[0:1]
.LBB262_8:
	s_endpgm
	.section	.rodata,"a",@progbits
	.p2align	6, 0x0
	.amdhsa_kernel _Z34exclusive_scan_reduce_array_kernelILj65ELj5ELN6hipcub18BlockScanAlgorithmE0EfEvPT2_S3_S2_
		.amdhsa_group_segment_fixed_size 8
		.amdhsa_private_segment_fixed_size 0
		.amdhsa_kernarg_size 20
		.amdhsa_user_sgpr_count 6
		.amdhsa_user_sgpr_private_segment_buffer 1
		.amdhsa_user_sgpr_dispatch_ptr 0
		.amdhsa_user_sgpr_queue_ptr 0
		.amdhsa_user_sgpr_kernarg_segment_ptr 1
		.amdhsa_user_sgpr_dispatch_id 0
		.amdhsa_user_sgpr_flat_scratch_init 0
		.amdhsa_user_sgpr_kernarg_preload_length 0
		.amdhsa_user_sgpr_kernarg_preload_offset 0
		.amdhsa_user_sgpr_private_segment_size 0
		.amdhsa_uses_dynamic_stack 0
		.amdhsa_system_sgpr_private_segment_wavefront_offset 0
		.amdhsa_system_sgpr_workgroup_id_x 1
		.amdhsa_system_sgpr_workgroup_id_y 0
		.amdhsa_system_sgpr_workgroup_id_z 0
		.amdhsa_system_sgpr_workgroup_info 0
		.amdhsa_system_vgpr_workitem_id 0
		.amdhsa_next_free_vgpr 22
		.amdhsa_next_free_sgpr 10
		.amdhsa_accum_offset 24
		.amdhsa_reserve_vcc 1
		.amdhsa_reserve_flat_scratch 0
		.amdhsa_float_round_mode_32 0
		.amdhsa_float_round_mode_16_64 0
		.amdhsa_float_denorm_mode_32 3
		.amdhsa_float_denorm_mode_16_64 3
		.amdhsa_dx10_clamp 1
		.amdhsa_ieee_mode 1
		.amdhsa_fp16_overflow 0
		.amdhsa_tg_split 0
		.amdhsa_exception_fp_ieee_invalid_op 0
		.amdhsa_exception_fp_denorm_src 0
		.amdhsa_exception_fp_ieee_div_zero 0
		.amdhsa_exception_fp_ieee_overflow 0
		.amdhsa_exception_fp_ieee_underflow 0
		.amdhsa_exception_fp_ieee_inexact 0
		.amdhsa_exception_int_div_zero 0
	.end_amdhsa_kernel
	.section	.text._Z34exclusive_scan_reduce_array_kernelILj65ELj5ELN6hipcub18BlockScanAlgorithmE0EfEvPT2_S3_S2_,"axG",@progbits,_Z34exclusive_scan_reduce_array_kernelILj65ELj5ELN6hipcub18BlockScanAlgorithmE0EfEvPT2_S3_S2_,comdat
.Lfunc_end262:
	.size	_Z34exclusive_scan_reduce_array_kernelILj65ELj5ELN6hipcub18BlockScanAlgorithmE0EfEvPT2_S3_S2_, .Lfunc_end262-_Z34exclusive_scan_reduce_array_kernelILj65ELj5ELN6hipcub18BlockScanAlgorithmE0EfEvPT2_S3_S2_
                                        ; -- End function
	.section	.AMDGPU.csdata,"",@progbits
; Kernel info:
; codeLenInByte = 796
; NumSgprs: 14
; NumVgprs: 22
; NumAgprs: 0
; TotalNumVgprs: 22
; ScratchSize: 0
; MemoryBound: 0
; FloatMode: 240
; IeeeMode: 1
; LDSByteSize: 8 bytes/workgroup (compile time only)
; SGPRBlocks: 1
; VGPRBlocks: 2
; NumSGPRsForWavesPerEU: 14
; NumVGPRsForWavesPerEU: 22
; AccumOffset: 24
; Occupancy: 8
; WaveLimiterHint : 0
; COMPUTE_PGM_RSRC2:SCRATCH_EN: 0
; COMPUTE_PGM_RSRC2:USER_SGPR: 6
; COMPUTE_PGM_RSRC2:TRAP_HANDLER: 0
; COMPUTE_PGM_RSRC2:TGID_X_EN: 1
; COMPUTE_PGM_RSRC2:TGID_Y_EN: 0
; COMPUTE_PGM_RSRC2:TGID_Z_EN: 0
; COMPUTE_PGM_RSRC2:TIDIG_COMP_CNT: 0
; COMPUTE_PGM_RSRC3_GFX90A:ACCUM_OFFSET: 5
; COMPUTE_PGM_RSRC3_GFX90A:TG_SPLIT: 0
	.section	.text._Z34exclusive_scan_reduce_array_kernelILj37ELj2ELN6hipcub18BlockScanAlgorithmE0EfEvPT2_S3_S2_,"axG",@progbits,_Z34exclusive_scan_reduce_array_kernelILj37ELj2ELN6hipcub18BlockScanAlgorithmE0EfEvPT2_S3_S2_,comdat
	.protected	_Z34exclusive_scan_reduce_array_kernelILj37ELj2ELN6hipcub18BlockScanAlgorithmE0EfEvPT2_S3_S2_ ; -- Begin function _Z34exclusive_scan_reduce_array_kernelILj37ELj2ELN6hipcub18BlockScanAlgorithmE0EfEvPT2_S3_S2_
	.globl	_Z34exclusive_scan_reduce_array_kernelILj37ELj2ELN6hipcub18BlockScanAlgorithmE0EfEvPT2_S3_S2_
	.p2align	8
	.type	_Z34exclusive_scan_reduce_array_kernelILj37ELj2ELN6hipcub18BlockScanAlgorithmE0EfEvPT2_S3_S2_,@function
_Z34exclusive_scan_reduce_array_kernelILj37ELj2ELN6hipcub18BlockScanAlgorithmE0EfEvPT2_S3_S2_: ; @_Z34exclusive_scan_reduce_array_kernelILj37ELj2ELN6hipcub18BlockScanAlgorithmE0EfEvPT2_S3_S2_
; %bb.0:
	s_load_dwordx4 s[0:3], s[4:5], 0x0
	s_mul_i32 s7, s6, 37
	v_add_lshl_u32 v6, s7, v0, 1
	v_mov_b32_e32 v7, 0
	v_lshlrev_b64 v[2:3], 2, v[6:7]
	s_waitcnt lgkmcnt(0)
	v_mov_b32_e32 v1, s1
	v_add_co_u32_e32 v2, vcc, s0, v2
	v_addc_co_u32_e32 v3, vcc, v1, v3, vcc
	global_load_dwordx2 v[4:5], v[2:3], off
	v_mbcnt_lo_u32_b32 v1, -1, 0
	v_mbcnt_hi_u32_b32 v1, -1, v1
	v_and_b32_e32 v6, 15, v1
	v_cmp_eq_u32_e32 vcc, 0, v6
	v_and_b32_e32 v8, 16, v1
	s_waitcnt vmcnt(0)
	v_add_f32_e32 v5, v4, v5
	s_nop 1
	v_mov_b32_dpp v9, v5 row_shr:1 row_mask:0xf bank_mask:0xf
	v_add_f32_e32 v9, v5, v9
	v_cndmask_b32_e32 v5, v9, v5, vcc
	v_cmp_lt_u32_e32 vcc, 1, v6
	s_nop 0
	v_mov_b32_dpp v9, v5 row_shr:2 row_mask:0xf bank_mask:0xf
	v_add_f32_e32 v9, v5, v9
	v_cndmask_b32_e32 v5, v5, v9, vcc
	v_cmp_lt_u32_e32 vcc, 3, v6
	;; [unrolled: 5-line block ×3, first 2 shown]
	s_nop 0
	v_mov_b32_dpp v9, v5 row_shr:8 row_mask:0xf bank_mask:0xf
	v_add_f32_e32 v9, v5, v9
	v_cndmask_b32_e32 v5, v5, v9, vcc
	v_cmp_eq_u32_e32 vcc, 0, v8
	s_nop 0
	v_mov_b32_dpp v6, v5 row_bcast:15 row_mask:0xf bank_mask:0xf
	v_add_f32_e32 v6, v5, v6
	v_cndmask_b32_e32 v5, v6, v5, vcc
	v_cmp_lt_u32_e32 vcc, 31, v1
	s_nop 0
	v_mov_b32_dpp v6, v5 row_bcast:31 row_mask:0xf bank_mask:0xf
	v_add_f32_e32 v6, v5, v6
	v_cndmask_b32_e32 v5, v5, v6, vcc
	v_cmp_eq_u32_e32 vcc, 36, v0
	s_and_saveexec_b64 s[0:1], vcc
	s_cbranch_execz .LBB263_2
; %bb.1:
	ds_write_b32 v7, v5
.LBB263_2:
	s_or_b64 exec, exec, s[0:1]
	s_load_dword s4, s[4:5], 0x10
	v_add_u32_e32 v6, -1, v1
	v_and_b32_e32 v7, 64, v1
	v_cmp_lt_i32_e32 vcc, v6, v7
	v_cndmask_b32_e32 v6, v6, v1, vcc
	s_waitcnt lgkmcnt(0)
	v_add_f32_e32 v5, s4, v5
	v_lshlrev_b32_e32 v6, 2, v6
	ds_bpermute_b32 v5, v6, v5
	v_cmp_eq_u32_e32 vcc, 0, v1
	v_cmp_eq_u32_e64 s[0:1], 0, v0
	v_mov_b32_e32 v0, s4
	s_or_b64 vcc, s[0:1], vcc
	s_waitcnt lgkmcnt(0)
	v_cndmask_b32_e32 v0, v5, v0, vcc
	v_add_f32_e32 v1, v4, v0
	s_waitcnt lgkmcnt(0)
	; wave barrier
	global_store_dwordx2 v[2:3], v[0:1], off
	s_and_saveexec_b64 s[4:5], s[0:1]
	s_cbranch_execz .LBB263_4
; %bb.3:
	v_mov_b32_e32 v0, 0
	ds_read_b32 v1, v0
	s_mov_b32 s7, 0
	s_lshl_b64 s[0:1], s[6:7], 2
	s_add_u32 s0, s2, s0
	s_addc_u32 s1, s3, s1
	s_waitcnt lgkmcnt(0)
	global_store_dword v0, v1, s[0:1]
.LBB263_4:
	s_endpgm
	.section	.rodata,"a",@progbits
	.p2align	6, 0x0
	.amdhsa_kernel _Z34exclusive_scan_reduce_array_kernelILj37ELj2ELN6hipcub18BlockScanAlgorithmE0EfEvPT2_S3_S2_
		.amdhsa_group_segment_fixed_size 4
		.amdhsa_private_segment_fixed_size 0
		.amdhsa_kernarg_size 20
		.amdhsa_user_sgpr_count 6
		.amdhsa_user_sgpr_private_segment_buffer 1
		.amdhsa_user_sgpr_dispatch_ptr 0
		.amdhsa_user_sgpr_queue_ptr 0
		.amdhsa_user_sgpr_kernarg_segment_ptr 1
		.amdhsa_user_sgpr_dispatch_id 0
		.amdhsa_user_sgpr_flat_scratch_init 0
		.amdhsa_user_sgpr_kernarg_preload_length 0
		.amdhsa_user_sgpr_kernarg_preload_offset 0
		.amdhsa_user_sgpr_private_segment_size 0
		.amdhsa_uses_dynamic_stack 0
		.amdhsa_system_sgpr_private_segment_wavefront_offset 0
		.amdhsa_system_sgpr_workgroup_id_x 1
		.amdhsa_system_sgpr_workgroup_id_y 0
		.amdhsa_system_sgpr_workgroup_id_z 0
		.amdhsa_system_sgpr_workgroup_info 0
		.amdhsa_system_vgpr_workitem_id 0
		.amdhsa_next_free_vgpr 10
		.amdhsa_next_free_sgpr 8
		.amdhsa_accum_offset 12
		.amdhsa_reserve_vcc 1
		.amdhsa_reserve_flat_scratch 0
		.amdhsa_float_round_mode_32 0
		.amdhsa_float_round_mode_16_64 0
		.amdhsa_float_denorm_mode_32 3
		.amdhsa_float_denorm_mode_16_64 3
		.amdhsa_dx10_clamp 1
		.amdhsa_ieee_mode 1
		.amdhsa_fp16_overflow 0
		.amdhsa_tg_split 0
		.amdhsa_exception_fp_ieee_invalid_op 0
		.amdhsa_exception_fp_denorm_src 0
		.amdhsa_exception_fp_ieee_div_zero 0
		.amdhsa_exception_fp_ieee_overflow 0
		.amdhsa_exception_fp_ieee_underflow 0
		.amdhsa_exception_fp_ieee_inexact 0
		.amdhsa_exception_int_div_zero 0
	.end_amdhsa_kernel
	.section	.text._Z34exclusive_scan_reduce_array_kernelILj37ELj2ELN6hipcub18BlockScanAlgorithmE0EfEvPT2_S3_S2_,"axG",@progbits,_Z34exclusive_scan_reduce_array_kernelILj37ELj2ELN6hipcub18BlockScanAlgorithmE0EfEvPT2_S3_S2_,comdat
.Lfunc_end263:
	.size	_Z34exclusive_scan_reduce_array_kernelILj37ELj2ELN6hipcub18BlockScanAlgorithmE0EfEvPT2_S3_S2_, .Lfunc_end263-_Z34exclusive_scan_reduce_array_kernelILj37ELj2ELN6hipcub18BlockScanAlgorithmE0EfEvPT2_S3_S2_
                                        ; -- End function
	.section	.AMDGPU.csdata,"",@progbits
; Kernel info:
; codeLenInByte = 396
; NumSgprs: 12
; NumVgprs: 10
; NumAgprs: 0
; TotalNumVgprs: 10
; ScratchSize: 0
; MemoryBound: 0
; FloatMode: 240
; IeeeMode: 1
; LDSByteSize: 4 bytes/workgroup (compile time only)
; SGPRBlocks: 1
; VGPRBlocks: 1
; NumSGPRsForWavesPerEU: 12
; NumVGPRsForWavesPerEU: 10
; AccumOffset: 12
; Occupancy: 8
; WaveLimiterHint : 0
; COMPUTE_PGM_RSRC2:SCRATCH_EN: 0
; COMPUTE_PGM_RSRC2:USER_SGPR: 6
; COMPUTE_PGM_RSRC2:TRAP_HANDLER: 0
; COMPUTE_PGM_RSRC2:TGID_X_EN: 1
; COMPUTE_PGM_RSRC2:TGID_Y_EN: 0
; COMPUTE_PGM_RSRC2:TGID_Z_EN: 0
; COMPUTE_PGM_RSRC2:TIDIG_COMP_CNT: 0
; COMPUTE_PGM_RSRC3_GFX90A:ACCUM_OFFSET: 2
; COMPUTE_PGM_RSRC3_GFX90A:TG_SPLIT: 0
	.section	.text._Z34exclusive_scan_reduce_array_kernelILj512ELj4ELN6hipcub18BlockScanAlgorithmE0EiEvPT2_S3_S2_,"axG",@progbits,_Z34exclusive_scan_reduce_array_kernelILj512ELj4ELN6hipcub18BlockScanAlgorithmE0EiEvPT2_S3_S2_,comdat
	.protected	_Z34exclusive_scan_reduce_array_kernelILj512ELj4ELN6hipcub18BlockScanAlgorithmE0EiEvPT2_S3_S2_ ; -- Begin function _Z34exclusive_scan_reduce_array_kernelILj512ELj4ELN6hipcub18BlockScanAlgorithmE0EiEvPT2_S3_S2_
	.globl	_Z34exclusive_scan_reduce_array_kernelILj512ELj4ELN6hipcub18BlockScanAlgorithmE0EiEvPT2_S3_S2_
	.p2align	8
	.type	_Z34exclusive_scan_reduce_array_kernelILj512ELj4ELN6hipcub18BlockScanAlgorithmE0EiEvPT2_S3_S2_,@function
_Z34exclusive_scan_reduce_array_kernelILj512ELj4ELN6hipcub18BlockScanAlgorithmE0EiEvPT2_S3_S2_: ; @_Z34exclusive_scan_reduce_array_kernelILj512ELj4ELN6hipcub18BlockScanAlgorithmE0EiEvPT2_S3_S2_
; %bb.0:
	s_load_dwordx4 s[0:3], s[4:5], 0x0
	v_lshlrev_b32_e32 v8, 2, v0
	v_lshl_or_b32 v2, s6, 11, v8
	v_mov_b32_e32 v3, 0
	v_lshlrev_b64 v[2:3], 2, v[2:3]
	s_waitcnt lgkmcnt(0)
	v_mov_b32_e32 v1, s1
	v_add_co_u32_e32 v6, vcc, s0, v2
	v_addc_co_u32_e32 v7, vcc, v1, v3, vcc
	global_load_dwordx4 v[2:5], v[6:7], off
	v_mbcnt_lo_u32_b32 v1, -1, 0
	v_mbcnt_hi_u32_b32 v1, -1, v1
	v_and_b32_e32 v11, 15, v1
	v_cmp_ne_u32_e32 vcc, 0, v11
	v_bfe_i32 v12, v1, 4, 1
	v_or_b32_e32 v10, 63, v0
	v_lshrrev_b32_e32 v9, 6, v0
	s_waitcnt vmcnt(0)
	v_add_u32_e32 v13, v3, v2
	v_add3_u32 v5, v13, v4, v5
	s_nop 1
	v_mov_b32_dpp v13, v5 row_shr:1 row_mask:0xf bank_mask:0xf
	v_cndmask_b32_e32 v13, 0, v13, vcc
	v_add_u32_e32 v5, v13, v5
	v_cmp_lt_u32_e32 vcc, 1, v11
	s_nop 0
	v_mov_b32_dpp v13, v5 row_shr:2 row_mask:0xf bank_mask:0xf
	v_cndmask_b32_e32 v13, 0, v13, vcc
	v_add_u32_e32 v5, v5, v13
	v_cmp_lt_u32_e32 vcc, 3, v11
	;; [unrolled: 5-line block ×4, first 2 shown]
	s_nop 0
	v_mov_b32_dpp v11, v5 row_bcast:15 row_mask:0xf bank_mask:0xf
	v_and_b32_e32 v11, v12, v11
	v_add_u32_e32 v5, v5, v11
	s_nop 1
	v_mov_b32_dpp v11, v5 row_bcast:31 row_mask:0xf bank_mask:0xf
	v_cndmask_b32_e32 v11, 0, v11, vcc
	v_add_u32_e32 v5, v5, v11
	v_cmp_eq_u32_e32 vcc, v10, v0
	s_and_saveexec_b64 s[0:1], vcc
	s_cbranch_execz .LBB264_2
; %bb.1:
	v_lshlrev_b32_e32 v10, 2, v9
	ds_write_b32 v10, v5
.LBB264_2:
	s_or_b64 exec, exec, s[0:1]
	v_cmp_gt_u32_e32 vcc, 8, v0
	s_waitcnt lgkmcnt(0)
	s_barrier
	s_and_saveexec_b64 s[0:1], vcc
	s_cbranch_execz .LBB264_4
; %bb.3:
	ds_read_b32 v10, v8
	v_and_b32_e32 v11, 7, v1
	v_cmp_ne_u32_e32 vcc, 0, v11
	s_waitcnt lgkmcnt(0)
	v_mov_b32_dpp v12, v10 row_shr:1 row_mask:0xf bank_mask:0xf
	v_cndmask_b32_e32 v12, 0, v12, vcc
	v_add_u32_e32 v10, v12, v10
	v_cmp_lt_u32_e32 vcc, 1, v11
	s_nop 0
	v_mov_b32_dpp v12, v10 row_shr:2 row_mask:0xf bank_mask:0xf
	v_cndmask_b32_e32 v12, 0, v12, vcc
	v_add_u32_e32 v10, v10, v12
	v_cmp_lt_u32_e32 vcc, 3, v11
	s_nop 0
	v_mov_b32_dpp v12, v10 row_shr:4 row_mask:0xf bank_mask:0xf
	v_cndmask_b32_e32 v11, 0, v12, vcc
	v_add_u32_e32 v10, v10, v11
	ds_write_b32 v8, v10
.LBB264_4:
	s_or_b64 exec, exec, s[0:1]
	s_load_dword s4, s[4:5], 0x10
	v_cmp_lt_u32_e32 vcc, 63, v0
	s_waitcnt lgkmcnt(0)
	s_barrier
	v_mov_b32_e32 v8, s4
	s_and_saveexec_b64 s[0:1], vcc
	s_cbranch_execz .LBB264_6
; %bb.5:
	v_lshl_add_u32 v8, v9, 2, -4
	ds_read_b32 v8, v8
	s_waitcnt lgkmcnt(0)
	v_add_u32_e32 v8, s4, v8
.LBB264_6:
	s_or_b64 exec, exec, s[0:1]
	v_add_u32_e32 v9, -1, v1
	v_and_b32_e32 v10, 64, v1
	v_cmp_lt_i32_e32 vcc, v9, v10
	v_cndmask_b32_e32 v9, v9, v1, vcc
	v_add_u32_e32 v5, v8, v5
	v_lshlrev_b32_e32 v9, 2, v9
	ds_bpermute_b32 v5, v9, v5
	v_cmp_eq_u32_e32 vcc, 0, v1
	s_mov_b32 s7, 0
	s_waitcnt lgkmcnt(0)
	v_cndmask_b32_e32 v1, v5, v8, vcc
	v_mov_b32_e32 v5, s4
	v_cmp_eq_u32_e32 vcc, 0, v0
	v_cndmask_b32_e32 v0, v1, v5, vcc
	v_add_u32_e32 v1, v0, v2
	v_add_u32_e32 v2, v1, v3
	;; [unrolled: 1-line block ×3, first 2 shown]
	global_store_dwordx4 v[6:7], v[0:3], off
	s_and_saveexec_b64 s[0:1], vcc
	s_cbranch_execz .LBB264_8
; %bb.7:
	v_mov_b32_e32 v0, 0
	ds_read_b32 v1, v0 offset:28
	s_lshl_b64 s[0:1], s[6:7], 2
	s_add_u32 s0, s2, s0
	s_addc_u32 s1, s3, s1
	s_waitcnt lgkmcnt(0)
	global_store_dword v0, v1, s[0:1]
.LBB264_8:
	s_endpgm
	.section	.rodata,"a",@progbits
	.p2align	6, 0x0
	.amdhsa_kernel _Z34exclusive_scan_reduce_array_kernelILj512ELj4ELN6hipcub18BlockScanAlgorithmE0EiEvPT2_S3_S2_
		.amdhsa_group_segment_fixed_size 32
		.amdhsa_private_segment_fixed_size 0
		.amdhsa_kernarg_size 20
		.amdhsa_user_sgpr_count 6
		.amdhsa_user_sgpr_private_segment_buffer 1
		.amdhsa_user_sgpr_dispatch_ptr 0
		.amdhsa_user_sgpr_queue_ptr 0
		.amdhsa_user_sgpr_kernarg_segment_ptr 1
		.amdhsa_user_sgpr_dispatch_id 0
		.amdhsa_user_sgpr_flat_scratch_init 0
		.amdhsa_user_sgpr_kernarg_preload_length 0
		.amdhsa_user_sgpr_kernarg_preload_offset 0
		.amdhsa_user_sgpr_private_segment_size 0
		.amdhsa_uses_dynamic_stack 0
		.amdhsa_system_sgpr_private_segment_wavefront_offset 0
		.amdhsa_system_sgpr_workgroup_id_x 1
		.amdhsa_system_sgpr_workgroup_id_y 0
		.amdhsa_system_sgpr_workgroup_id_z 0
		.amdhsa_system_sgpr_workgroup_info 0
		.amdhsa_system_vgpr_workitem_id 0
		.amdhsa_next_free_vgpr 14
		.amdhsa_next_free_sgpr 8
		.amdhsa_accum_offset 16
		.amdhsa_reserve_vcc 1
		.amdhsa_reserve_flat_scratch 0
		.amdhsa_float_round_mode_32 0
		.amdhsa_float_round_mode_16_64 0
		.amdhsa_float_denorm_mode_32 3
		.amdhsa_float_denorm_mode_16_64 3
		.amdhsa_dx10_clamp 1
		.amdhsa_ieee_mode 1
		.amdhsa_fp16_overflow 0
		.amdhsa_tg_split 0
		.amdhsa_exception_fp_ieee_invalid_op 0
		.amdhsa_exception_fp_denorm_src 0
		.amdhsa_exception_fp_ieee_div_zero 0
		.amdhsa_exception_fp_ieee_overflow 0
		.amdhsa_exception_fp_ieee_underflow 0
		.amdhsa_exception_fp_ieee_inexact 0
		.amdhsa_exception_int_div_zero 0
	.end_amdhsa_kernel
	.section	.text._Z34exclusive_scan_reduce_array_kernelILj512ELj4ELN6hipcub18BlockScanAlgorithmE0EiEvPT2_S3_S2_,"axG",@progbits,_Z34exclusive_scan_reduce_array_kernelILj512ELj4ELN6hipcub18BlockScanAlgorithmE0EiEvPT2_S3_S2_,comdat
.Lfunc_end264:
	.size	_Z34exclusive_scan_reduce_array_kernelILj512ELj4ELN6hipcub18BlockScanAlgorithmE0EiEvPT2_S3_S2_, .Lfunc_end264-_Z34exclusive_scan_reduce_array_kernelILj512ELj4ELN6hipcub18BlockScanAlgorithmE0EiEvPT2_S3_S2_
                                        ; -- End function
	.section	.AMDGPU.csdata,"",@progbits
; Kernel info:
; codeLenInByte = 580
; NumSgprs: 12
; NumVgprs: 14
; NumAgprs: 0
; TotalNumVgprs: 14
; ScratchSize: 0
; MemoryBound: 0
; FloatMode: 240
; IeeeMode: 1
; LDSByteSize: 32 bytes/workgroup (compile time only)
; SGPRBlocks: 1
; VGPRBlocks: 1
; NumSGPRsForWavesPerEU: 12
; NumVGPRsForWavesPerEU: 14
; AccumOffset: 16
; Occupancy: 8
; WaveLimiterHint : 0
; COMPUTE_PGM_RSRC2:SCRATCH_EN: 0
; COMPUTE_PGM_RSRC2:USER_SGPR: 6
; COMPUTE_PGM_RSRC2:TRAP_HANDLER: 0
; COMPUTE_PGM_RSRC2:TGID_X_EN: 1
; COMPUTE_PGM_RSRC2:TGID_Y_EN: 0
; COMPUTE_PGM_RSRC2:TGID_Z_EN: 0
; COMPUTE_PGM_RSRC2:TIDIG_COMP_CNT: 0
; COMPUTE_PGM_RSRC3_GFX90A:ACCUM_OFFSET: 3
; COMPUTE_PGM_RSRC3_GFX90A:TG_SPLIT: 0
	.section	.text._Z34exclusive_scan_reduce_array_kernelILj256ELj3ELN6hipcub18BlockScanAlgorithmE0EjEvPT2_S3_S2_,"axG",@progbits,_Z34exclusive_scan_reduce_array_kernelILj256ELj3ELN6hipcub18BlockScanAlgorithmE0EjEvPT2_S3_S2_,comdat
	.protected	_Z34exclusive_scan_reduce_array_kernelILj256ELj3ELN6hipcub18BlockScanAlgorithmE0EjEvPT2_S3_S2_ ; -- Begin function _Z34exclusive_scan_reduce_array_kernelILj256ELj3ELN6hipcub18BlockScanAlgorithmE0EjEvPT2_S3_S2_
	.globl	_Z34exclusive_scan_reduce_array_kernelILj256ELj3ELN6hipcub18BlockScanAlgorithmE0EjEvPT2_S3_S2_
	.p2align	8
	.type	_Z34exclusive_scan_reduce_array_kernelILj256ELj3ELN6hipcub18BlockScanAlgorithmE0EjEvPT2_S3_S2_,@function
_Z34exclusive_scan_reduce_array_kernelILj256ELj3ELN6hipcub18BlockScanAlgorithmE0EjEvPT2_S3_S2_: ; @_Z34exclusive_scan_reduce_array_kernelILj256ELj3ELN6hipcub18BlockScanAlgorithmE0EjEvPT2_S3_S2_
; %bb.0:
	s_load_dwordx4 s[0:3], s[4:5], 0x0
	v_lshl_or_b32 v1, s6, 8, v0
	v_lshl_add_u32 v6, v1, 1, v1
	v_mov_b32_e32 v7, 0
	v_lshlrev_b64 v[2:3], 2, v[6:7]
	s_waitcnt lgkmcnt(0)
	v_mov_b32_e32 v1, s1
	v_add_co_u32_e32 v2, vcc, s0, v2
	v_add_u32_e32 v4, 1, v6
	v_mov_b32_e32 v5, v7
	v_addc_co_u32_e32 v3, vcc, v1, v3, vcc
	v_lshlrev_b64 v[4:5], 2, v[4:5]
	v_add_co_u32_e32 v4, vcc, s0, v4
	v_add_u32_e32 v6, 2, v6
	v_addc_co_u32_e32 v5, vcc, v1, v5, vcc
	v_lshlrev_b64 v[6:7], 2, v[6:7]
	v_add_co_u32_e32 v6, vcc, s0, v6
	v_addc_co_u32_e32 v7, vcc, v1, v7, vcc
	global_load_dword v1, v[2:3], off
	global_load_dword v8, v[4:5], off
	;; [unrolled: 1-line block ×3, first 2 shown]
	v_mbcnt_lo_u32_b32 v9, -1, 0
	v_mbcnt_hi_u32_b32 v9, -1, v9
	v_and_b32_e32 v13, 15, v9
	v_cmp_ne_u32_e32 vcc, 0, v13
	v_bfe_i32 v14, v9, 4, 1
	v_or_b32_e32 v12, 63, v0
	v_lshrrev_b32_e32 v10, 6, v0
	s_waitcnt vmcnt(0)
	v_add3_u32 v11, v8, v1, v11
	s_nop 1
	v_mov_b32_dpp v15, v11 row_shr:1 row_mask:0xf bank_mask:0xf
	v_cndmask_b32_e32 v15, 0, v15, vcc
	v_add_u32_e32 v11, v15, v11
	v_cmp_lt_u32_e32 vcc, 1, v13
	s_nop 0
	v_mov_b32_dpp v15, v11 row_shr:2 row_mask:0xf bank_mask:0xf
	v_cndmask_b32_e32 v15, 0, v15, vcc
	v_add_u32_e32 v11, v11, v15
	v_cmp_lt_u32_e32 vcc, 3, v13
	s_nop 0
	v_mov_b32_dpp v15, v11 row_shr:4 row_mask:0xf bank_mask:0xf
	v_cndmask_b32_e32 v15, 0, v15, vcc
	v_add_u32_e32 v11, v11, v15
	v_cmp_lt_u32_e32 vcc, 7, v13
	s_nop 0
	v_mov_b32_dpp v15, v11 row_shr:8 row_mask:0xf bank_mask:0xf
	v_cndmask_b32_e32 v13, 0, v15, vcc
	v_add_u32_e32 v11, v11, v13
	v_cmp_lt_u32_e32 vcc, 31, v9
	s_nop 0
	v_mov_b32_dpp v13, v11 row_bcast:15 row_mask:0xf bank_mask:0xf
	v_and_b32_e32 v13, v14, v13
	v_add_u32_e32 v11, v11, v13
	s_nop 1
	v_mov_b32_dpp v13, v11 row_bcast:31 row_mask:0xf bank_mask:0xf
	v_cndmask_b32_e32 v13, 0, v13, vcc
	v_add_u32_e32 v11, v11, v13
	v_cmp_eq_u32_e32 vcc, v12, v0
	s_and_saveexec_b64 s[0:1], vcc
	s_cbranch_execz .LBB265_2
; %bb.1:
	v_lshlrev_b32_e32 v12, 2, v10
	ds_write_b32 v12, v11
.LBB265_2:
	s_or_b64 exec, exec, s[0:1]
	v_cmp_gt_u32_e32 vcc, 4, v0
	s_waitcnt lgkmcnt(0)
	s_barrier
	s_and_saveexec_b64 s[0:1], vcc
	s_cbranch_execz .LBB265_4
; %bb.3:
	v_lshlrev_b32_e32 v12, 2, v0
	ds_read_b32 v13, v12
	v_and_b32_e32 v14, 3, v9
	v_cmp_ne_u32_e32 vcc, 0, v14
	s_waitcnt lgkmcnt(0)
	v_mov_b32_dpp v15, v13 row_shr:1 row_mask:0xf bank_mask:0xf
	v_cndmask_b32_e32 v15, 0, v15, vcc
	v_add_u32_e32 v13, v15, v13
	v_cmp_lt_u32_e32 vcc, 1, v14
	s_nop 0
	v_mov_b32_dpp v15, v13 row_shr:2 row_mask:0xf bank_mask:0xf
	v_cndmask_b32_e32 v14, 0, v15, vcc
	v_add_u32_e32 v13, v13, v14
	ds_write_b32 v12, v13
.LBB265_4:
	s_or_b64 exec, exec, s[0:1]
	s_load_dword s4, s[4:5], 0x10
	v_cmp_lt_u32_e32 vcc, 63, v0
	s_waitcnt lgkmcnt(0)
	s_barrier
	v_mov_b32_e32 v12, s4
	s_and_saveexec_b64 s[0:1], vcc
	s_cbranch_execz .LBB265_6
; %bb.5:
	v_lshl_add_u32 v10, v10, 2, -4
	ds_read_b32 v10, v10
	s_waitcnt lgkmcnt(0)
	v_add_u32_e32 v12, s4, v10
.LBB265_6:
	s_or_b64 exec, exec, s[0:1]
	v_add_u32_e32 v10, v12, v11
	v_add_u32_e32 v11, -1, v9
	v_and_b32_e32 v13, 64, v9
	v_cmp_lt_i32_e32 vcc, v11, v13
	v_cndmask_b32_e32 v11, v11, v9, vcc
	v_lshlrev_b32_e32 v11, 2, v11
	ds_bpermute_b32 v10, v11, v10
	v_cmp_eq_u32_e32 vcc, 0, v9
	s_mov_b32 s7, 0
	s_waitcnt lgkmcnt(0)
	v_cndmask_b32_e32 v9, v10, v12, vcc
	v_mov_b32_e32 v10, s4
	v_cmp_eq_u32_e32 vcc, 0, v0
	v_cndmask_b32_e32 v0, v9, v10, vcc
	v_add_u32_e32 v1, v0, v1
	v_add_u32_e32 v8, v1, v8
	global_store_dword v[2:3], v0, off
	global_store_dword v[4:5], v1, off
	;; [unrolled: 1-line block ×3, first 2 shown]
	s_and_saveexec_b64 s[0:1], vcc
	s_cbranch_execz .LBB265_8
; %bb.7:
	v_mov_b32_e32 v0, 0
	ds_read_b32 v1, v0 offset:12
	s_lshl_b64 s[0:1], s[6:7], 2
	s_add_u32 s0, s2, s0
	s_addc_u32 s1, s3, s1
	s_waitcnt lgkmcnt(0)
	global_store_dword v0, v1, s[0:1]
.LBB265_8:
	s_endpgm
	.section	.rodata,"a",@progbits
	.p2align	6, 0x0
	.amdhsa_kernel _Z34exclusive_scan_reduce_array_kernelILj256ELj3ELN6hipcub18BlockScanAlgorithmE0EjEvPT2_S3_S2_
		.amdhsa_group_segment_fixed_size 16
		.amdhsa_private_segment_fixed_size 0
		.amdhsa_kernarg_size 20
		.amdhsa_user_sgpr_count 6
		.amdhsa_user_sgpr_private_segment_buffer 1
		.amdhsa_user_sgpr_dispatch_ptr 0
		.amdhsa_user_sgpr_queue_ptr 0
		.amdhsa_user_sgpr_kernarg_segment_ptr 1
		.amdhsa_user_sgpr_dispatch_id 0
		.amdhsa_user_sgpr_flat_scratch_init 0
		.amdhsa_user_sgpr_kernarg_preload_length 0
		.amdhsa_user_sgpr_kernarg_preload_offset 0
		.amdhsa_user_sgpr_private_segment_size 0
		.amdhsa_uses_dynamic_stack 0
		.amdhsa_system_sgpr_private_segment_wavefront_offset 0
		.amdhsa_system_sgpr_workgroup_id_x 1
		.amdhsa_system_sgpr_workgroup_id_y 0
		.amdhsa_system_sgpr_workgroup_id_z 0
		.amdhsa_system_sgpr_workgroup_info 0
		.amdhsa_system_vgpr_workitem_id 0
		.amdhsa_next_free_vgpr 16
		.amdhsa_next_free_sgpr 8
		.amdhsa_accum_offset 16
		.amdhsa_reserve_vcc 1
		.amdhsa_reserve_flat_scratch 0
		.amdhsa_float_round_mode_32 0
		.amdhsa_float_round_mode_16_64 0
		.amdhsa_float_denorm_mode_32 3
		.amdhsa_float_denorm_mode_16_64 3
		.amdhsa_dx10_clamp 1
		.amdhsa_ieee_mode 1
		.amdhsa_fp16_overflow 0
		.amdhsa_tg_split 0
		.amdhsa_exception_fp_ieee_invalid_op 0
		.amdhsa_exception_fp_denorm_src 0
		.amdhsa_exception_fp_ieee_div_zero 0
		.amdhsa_exception_fp_ieee_overflow 0
		.amdhsa_exception_fp_ieee_underflow 0
		.amdhsa_exception_fp_ieee_inexact 0
		.amdhsa_exception_int_div_zero 0
	.end_amdhsa_kernel
	.section	.text._Z34exclusive_scan_reduce_array_kernelILj256ELj3ELN6hipcub18BlockScanAlgorithmE0EjEvPT2_S3_S2_,"axG",@progbits,_Z34exclusive_scan_reduce_array_kernelILj256ELj3ELN6hipcub18BlockScanAlgorithmE0EjEvPT2_S3_S2_,comdat
.Lfunc_end265:
	.size	_Z34exclusive_scan_reduce_array_kernelILj256ELj3ELN6hipcub18BlockScanAlgorithmE0EjEvPT2_S3_S2_, .Lfunc_end265-_Z34exclusive_scan_reduce_array_kernelILj256ELj3ELN6hipcub18BlockScanAlgorithmE0EjEvPT2_S3_S2_
                                        ; -- End function
	.section	.AMDGPU.csdata,"",@progbits
; Kernel info:
; codeLenInByte = 632
; NumSgprs: 12
; NumVgprs: 16
; NumAgprs: 0
; TotalNumVgprs: 16
; ScratchSize: 0
; MemoryBound: 0
; FloatMode: 240
; IeeeMode: 1
; LDSByteSize: 16 bytes/workgroup (compile time only)
; SGPRBlocks: 1
; VGPRBlocks: 1
; NumSGPRsForWavesPerEU: 12
; NumVGPRsForWavesPerEU: 16
; AccumOffset: 16
; Occupancy: 8
; WaveLimiterHint : 0
; COMPUTE_PGM_RSRC2:SCRATCH_EN: 0
; COMPUTE_PGM_RSRC2:USER_SGPR: 6
; COMPUTE_PGM_RSRC2:TRAP_HANDLER: 0
; COMPUTE_PGM_RSRC2:TGID_X_EN: 1
; COMPUTE_PGM_RSRC2:TGID_Y_EN: 0
; COMPUTE_PGM_RSRC2:TGID_Z_EN: 0
; COMPUTE_PGM_RSRC2:TIDIG_COMP_CNT: 0
; COMPUTE_PGM_RSRC3_GFX90A:ACCUM_OFFSET: 3
; COMPUTE_PGM_RSRC3_GFX90A:TG_SPLIT: 0
	.section	.text._Z34exclusive_scan_reduce_array_kernelILj32ELj2ELN6hipcub18BlockScanAlgorithmE0EfEvPT2_S3_S2_,"axG",@progbits,_Z34exclusive_scan_reduce_array_kernelILj32ELj2ELN6hipcub18BlockScanAlgorithmE0EfEvPT2_S3_S2_,comdat
	.protected	_Z34exclusive_scan_reduce_array_kernelILj32ELj2ELN6hipcub18BlockScanAlgorithmE0EfEvPT2_S3_S2_ ; -- Begin function _Z34exclusive_scan_reduce_array_kernelILj32ELj2ELN6hipcub18BlockScanAlgorithmE0EfEvPT2_S3_S2_
	.globl	_Z34exclusive_scan_reduce_array_kernelILj32ELj2ELN6hipcub18BlockScanAlgorithmE0EfEvPT2_S3_S2_
	.p2align	8
	.type	_Z34exclusive_scan_reduce_array_kernelILj32ELj2ELN6hipcub18BlockScanAlgorithmE0EfEvPT2_S3_S2_,@function
_Z34exclusive_scan_reduce_array_kernelILj32ELj2ELN6hipcub18BlockScanAlgorithmE0EfEvPT2_S3_S2_: ; @_Z34exclusive_scan_reduce_array_kernelILj32ELj2ELN6hipcub18BlockScanAlgorithmE0EfEvPT2_S3_S2_
; %bb.0:
	s_load_dwordx4 s[0:3], s[4:5], 0x0
	v_lshlrev_b32_e32 v1, 1, v0
	v_lshl_or_b32 v6, s6, 6, v1
	v_mov_b32_e32 v7, 0
	v_lshlrev_b64 v[2:3], 2, v[6:7]
	s_waitcnt lgkmcnt(0)
	v_mov_b32_e32 v1, s1
	v_add_co_u32_e32 v2, vcc, s0, v2
	v_addc_co_u32_e32 v3, vcc, v1, v3, vcc
	global_load_dwordx2 v[4:5], v[2:3], off
	v_mbcnt_lo_u32_b32 v1, -1, 0
	v_mbcnt_hi_u32_b32 v1, -1, v1
	v_and_b32_e32 v6, 15, v1
	v_cmp_eq_u32_e32 vcc, 0, v6
	v_and_b32_e32 v8, 16, v1
	s_waitcnt vmcnt(0)
	v_add_f32_e32 v5, v4, v5
	s_nop 1
	v_mov_b32_dpp v9, v5 row_shr:1 row_mask:0xf bank_mask:0xf
	v_add_f32_e32 v9, v5, v9
	v_cndmask_b32_e32 v5, v9, v5, vcc
	v_cmp_lt_u32_e32 vcc, 1, v6
	s_nop 0
	v_mov_b32_dpp v9, v5 row_shr:2 row_mask:0xf bank_mask:0xf
	v_add_f32_e32 v9, v5, v9
	v_cndmask_b32_e32 v5, v5, v9, vcc
	v_cmp_lt_u32_e32 vcc, 3, v6
	;; [unrolled: 5-line block ×3, first 2 shown]
	s_nop 0
	v_mov_b32_dpp v9, v5 row_shr:8 row_mask:0xf bank_mask:0xf
	v_add_f32_e32 v9, v5, v9
	v_cndmask_b32_e32 v5, v5, v9, vcc
	v_cmp_eq_u32_e32 vcc, 0, v8
	s_nop 0
	v_mov_b32_dpp v6, v5 row_bcast:15 row_mask:0xf bank_mask:0xf
	v_add_f32_e32 v6, v5, v6
	v_cndmask_b32_e32 v5, v6, v5, vcc
	v_cmp_eq_u32_e32 vcc, 31, v0
	s_and_saveexec_b64 s[0:1], vcc
	s_cbranch_execz .LBB266_2
; %bb.1:
	ds_write_b32 v7, v5
.LBB266_2:
	s_or_b64 exec, exec, s[0:1]
	s_load_dword s4, s[4:5], 0x10
	v_add_u32_e32 v6, -1, v1
	v_and_b32_e32 v7, 0x60, v1
	v_cmp_lt_i32_e32 vcc, v6, v7
	v_cndmask_b32_e32 v6, v6, v1, vcc
	s_waitcnt lgkmcnt(0)
	v_add_f32_e32 v5, s4, v5
	v_lshlrev_b32_e32 v6, 2, v6
	ds_bpermute_b32 v5, v6, v5
	v_cmp_eq_u32_e32 vcc, 0, v1
	v_cmp_eq_u32_e64 s[0:1], 0, v0
	v_mov_b32_e32 v0, s4
	s_or_b64 vcc, s[0:1], vcc
	s_waitcnt lgkmcnt(0)
	v_cndmask_b32_e32 v0, v5, v0, vcc
	v_add_f32_e32 v1, v4, v0
	s_waitcnt lgkmcnt(0)
	; wave barrier
	global_store_dwordx2 v[2:3], v[0:1], off
	s_and_saveexec_b64 s[4:5], s[0:1]
	s_cbranch_execz .LBB266_4
; %bb.3:
	v_mov_b32_e32 v0, 0
	ds_read_b32 v1, v0
	s_mov_b32 s7, 0
	s_lshl_b64 s[0:1], s[6:7], 2
	s_add_u32 s0, s2, s0
	s_addc_u32 s1, s3, s1
	s_waitcnt lgkmcnt(0)
	global_store_dword v0, v1, s[0:1]
.LBB266_4:
	s_endpgm
	.section	.rodata,"a",@progbits
	.p2align	6, 0x0
	.amdhsa_kernel _Z34exclusive_scan_reduce_array_kernelILj32ELj2ELN6hipcub18BlockScanAlgorithmE0EfEvPT2_S3_S2_
		.amdhsa_group_segment_fixed_size 4
		.amdhsa_private_segment_fixed_size 0
		.amdhsa_kernarg_size 20
		.amdhsa_user_sgpr_count 6
		.amdhsa_user_sgpr_private_segment_buffer 1
		.amdhsa_user_sgpr_dispatch_ptr 0
		.amdhsa_user_sgpr_queue_ptr 0
		.amdhsa_user_sgpr_kernarg_segment_ptr 1
		.amdhsa_user_sgpr_dispatch_id 0
		.amdhsa_user_sgpr_flat_scratch_init 0
		.amdhsa_user_sgpr_kernarg_preload_length 0
		.amdhsa_user_sgpr_kernarg_preload_offset 0
		.amdhsa_user_sgpr_private_segment_size 0
		.amdhsa_uses_dynamic_stack 0
		.amdhsa_system_sgpr_private_segment_wavefront_offset 0
		.amdhsa_system_sgpr_workgroup_id_x 1
		.amdhsa_system_sgpr_workgroup_id_y 0
		.amdhsa_system_sgpr_workgroup_id_z 0
		.amdhsa_system_sgpr_workgroup_info 0
		.amdhsa_system_vgpr_workitem_id 0
		.amdhsa_next_free_vgpr 10
		.amdhsa_next_free_sgpr 8
		.amdhsa_accum_offset 12
		.amdhsa_reserve_vcc 1
		.amdhsa_reserve_flat_scratch 0
		.amdhsa_float_round_mode_32 0
		.amdhsa_float_round_mode_16_64 0
		.amdhsa_float_denorm_mode_32 3
		.amdhsa_float_denorm_mode_16_64 3
		.amdhsa_dx10_clamp 1
		.amdhsa_ieee_mode 1
		.amdhsa_fp16_overflow 0
		.amdhsa_tg_split 0
		.amdhsa_exception_fp_ieee_invalid_op 0
		.amdhsa_exception_fp_denorm_src 0
		.amdhsa_exception_fp_ieee_div_zero 0
		.amdhsa_exception_fp_ieee_overflow 0
		.amdhsa_exception_fp_ieee_underflow 0
		.amdhsa_exception_fp_ieee_inexact 0
		.amdhsa_exception_int_div_zero 0
	.end_amdhsa_kernel
	.section	.text._Z34exclusive_scan_reduce_array_kernelILj32ELj2ELN6hipcub18BlockScanAlgorithmE0EfEvPT2_S3_S2_,"axG",@progbits,_Z34exclusive_scan_reduce_array_kernelILj32ELj2ELN6hipcub18BlockScanAlgorithmE0EfEvPT2_S3_S2_,comdat
.Lfunc_end266:
	.size	_Z34exclusive_scan_reduce_array_kernelILj32ELj2ELN6hipcub18BlockScanAlgorithmE0EfEvPT2_S3_S2_, .Lfunc_end266-_Z34exclusive_scan_reduce_array_kernelILj32ELj2ELN6hipcub18BlockScanAlgorithmE0EfEvPT2_S3_S2_
                                        ; -- End function
	.section	.AMDGPU.csdata,"",@progbits
; Kernel info:
; codeLenInByte = 376
; NumSgprs: 12
; NumVgprs: 10
; NumAgprs: 0
; TotalNumVgprs: 10
; ScratchSize: 0
; MemoryBound: 0
; FloatMode: 240
; IeeeMode: 1
; LDSByteSize: 4 bytes/workgroup (compile time only)
; SGPRBlocks: 1
; VGPRBlocks: 1
; NumSGPRsForWavesPerEU: 12
; NumVGPRsForWavesPerEU: 10
; AccumOffset: 12
; Occupancy: 8
; WaveLimiterHint : 0
; COMPUTE_PGM_RSRC2:SCRATCH_EN: 0
; COMPUTE_PGM_RSRC2:USER_SGPR: 6
; COMPUTE_PGM_RSRC2:TRAP_HANDLER: 0
; COMPUTE_PGM_RSRC2:TGID_X_EN: 1
; COMPUTE_PGM_RSRC2:TGID_Y_EN: 0
; COMPUTE_PGM_RSRC2:TGID_Z_EN: 0
; COMPUTE_PGM_RSRC2:TIDIG_COMP_CNT: 0
; COMPUTE_PGM_RSRC3_GFX90A:ACCUM_OFFSET: 2
; COMPUTE_PGM_RSRC3_GFX90A:TG_SPLIT: 0
	.section	.text._Z34exclusive_scan_reduce_array_kernelILj6ELj32ELN6hipcub18BlockScanAlgorithmE0EfEvPT2_S3_S2_,"axG",@progbits,_Z34exclusive_scan_reduce_array_kernelILj6ELj32ELN6hipcub18BlockScanAlgorithmE0EfEvPT2_S3_S2_,comdat
	.protected	_Z34exclusive_scan_reduce_array_kernelILj6ELj32ELN6hipcub18BlockScanAlgorithmE0EfEvPT2_S3_S2_ ; -- Begin function _Z34exclusive_scan_reduce_array_kernelILj6ELj32ELN6hipcub18BlockScanAlgorithmE0EfEvPT2_S3_S2_
	.globl	_Z34exclusive_scan_reduce_array_kernelILj6ELj32ELN6hipcub18BlockScanAlgorithmE0EfEvPT2_S3_S2_
	.p2align	8
	.type	_Z34exclusive_scan_reduce_array_kernelILj6ELj32ELN6hipcub18BlockScanAlgorithmE0EfEvPT2_S3_S2_,@function
_Z34exclusive_scan_reduce_array_kernelILj6ELj32ELN6hipcub18BlockScanAlgorithmE0EfEvPT2_S3_S2_: ; @_Z34exclusive_scan_reduce_array_kernelILj6ELj32ELN6hipcub18BlockScanAlgorithmE0EfEvPT2_S3_S2_
; %bb.0:
	s_load_dwordx4 s[0:3], s[4:5], 0x0
	s_mul_i32 s7, s6, 6
	v_add_lshl_u32 v36, s7, v0, 5
	v_mov_b32_e32 v37, 0
	v_lshlrev_b64 v[2:3], 2, v[36:37]
	s_waitcnt lgkmcnt(0)
	v_mov_b32_e32 v1, s1
	v_add_co_u32_e32 v34, vcc, s0, v2
	v_addc_co_u32_e32 v35, vcc, v1, v3, vcc
	global_load_dwordx4 v[30:33], v[34:35], off
	global_load_dwordx4 v[26:29], v[34:35], off offset:16
	global_load_dwordx4 v[22:25], v[34:35], off offset:32
	;; [unrolled: 1-line block ×7, first 2 shown]
	v_mbcnt_lo_u32_b32 v1, -1, 0
	v_mbcnt_hi_u32_b32 v1, -1, v1
	v_and_b32_e32 v36, 7, v1
	v_cmp_eq_u32_e32 vcc, 0, v36
	s_waitcnt vmcnt(7)
	v_add_f32_e32 v38, v30, v31
	v_add_f32_e32 v38, v38, v32
	v_add_f32_e32 v38, v38, v33
	s_waitcnt vmcnt(6)
	v_add_f32_e32 v38, v38, v26
	v_add_f32_e32 v38, v38, v27
	v_add_f32_e32 v38, v38, v28
	v_add_f32_e32 v38, v38, v29
	s_waitcnt vmcnt(5)
	v_add_f32_e32 v38, v38, v22
	;; [unrolled: 5-line block ×7, first 2 shown]
	v_add_f32_e32 v38, v38, v3
	v_add_f32_e32 v38, v38, v4
	;; [unrolled: 1-line block ×3, first 2 shown]
	s_nop 1
	v_mov_b32_dpp v38, v5 row_shr:1 row_mask:0xf bank_mask:0xf
	v_add_f32_e32 v38, v5, v38
	v_cndmask_b32_e32 v5, v38, v5, vcc
	v_cmp_lt_u32_e32 vcc, 1, v36
	s_nop 0
	v_mov_b32_dpp v38, v5 row_shr:2 row_mask:0xf bank_mask:0xf
	v_add_f32_e32 v38, v5, v38
	v_cndmask_b32_e32 v5, v5, v38, vcc
	v_cmp_lt_u32_e32 vcc, 3, v36
	s_nop 0
	v_mov_b32_dpp v38, v5 row_shr:4 row_mask:0xf bank_mask:0xf
	v_add_f32_e32 v38, v5, v38
	v_cndmask_b32_e32 v5, v5, v38, vcc
	v_cmp_eq_u32_e32 vcc, 5, v0
	s_and_saveexec_b64 s[0:1], vcc
	s_cbranch_execz .LBB267_2
; %bb.1:
	ds_write_b32 v37, v5
.LBB267_2:
	s_or_b64 exec, exec, s[0:1]
	s_load_dword s4, s[4:5], 0x10
	v_add_u32_e32 v36, -1, v1
	v_and_b32_e32 v37, 0x78, v1
	v_cmp_lt_i32_e32 vcc, v36, v37
	v_cndmask_b32_e32 v36, v36, v1, vcc
	s_waitcnt lgkmcnt(0)
	v_add_f32_e32 v5, s4, v5
	v_lshlrev_b32_e32 v36, 2, v36
	ds_bpermute_b32 v5, v36, v5
	v_cmp_eq_u32_e32 vcc, 0, v1
	v_cmp_eq_u32_e64 s[0:1], 0, v0
	v_mov_b32_e32 v0, s4
	s_or_b64 vcc, s[0:1], vcc
	s_waitcnt lgkmcnt(0)
	v_cndmask_b32_e32 v36, v5, v0, vcc
	v_add_f32_e32 v37, v30, v36
	v_add_f32_e32 v38, v31, v37
	;; [unrolled: 1-line block ×30, first 2 shown]
	s_waitcnt lgkmcnt(0)
	; wave barrier
	v_add_f32_e32 v3, v2, v4
	global_store_dwordx4 v[34:35], v[36:39], off
	global_store_dwordx4 v[34:35], v[30:33], off offset:16
	global_store_dwordx4 v[34:35], v[26:29], off offset:32
	;; [unrolled: 1-line block ×7, first 2 shown]
	s_and_saveexec_b64 s[4:5], s[0:1]
	s_cbranch_execz .LBB267_4
; %bb.3:
	v_mov_b32_e32 v0, 0
	ds_read_b32 v1, v0
	s_mov_b32 s7, 0
	s_lshl_b64 s[0:1], s[6:7], 2
	s_add_u32 s0, s2, s0
	s_addc_u32 s1, s3, s1
	s_waitcnt lgkmcnt(0)
	global_store_dword v0, v1, s[0:1]
.LBB267_4:
	s_endpgm
	.section	.rodata,"a",@progbits
	.p2align	6, 0x0
	.amdhsa_kernel _Z34exclusive_scan_reduce_array_kernelILj6ELj32ELN6hipcub18BlockScanAlgorithmE0EfEvPT2_S3_S2_
		.amdhsa_group_segment_fixed_size 4
		.amdhsa_private_segment_fixed_size 0
		.amdhsa_kernarg_size 20
		.amdhsa_user_sgpr_count 6
		.amdhsa_user_sgpr_private_segment_buffer 1
		.amdhsa_user_sgpr_dispatch_ptr 0
		.amdhsa_user_sgpr_queue_ptr 0
		.amdhsa_user_sgpr_kernarg_segment_ptr 1
		.amdhsa_user_sgpr_dispatch_id 0
		.amdhsa_user_sgpr_flat_scratch_init 0
		.amdhsa_user_sgpr_kernarg_preload_length 0
		.amdhsa_user_sgpr_kernarg_preload_offset 0
		.amdhsa_user_sgpr_private_segment_size 0
		.amdhsa_uses_dynamic_stack 0
		.amdhsa_system_sgpr_private_segment_wavefront_offset 0
		.amdhsa_system_sgpr_workgroup_id_x 1
		.amdhsa_system_sgpr_workgroup_id_y 0
		.amdhsa_system_sgpr_workgroup_id_z 0
		.amdhsa_system_sgpr_workgroup_info 0
		.amdhsa_system_vgpr_workitem_id 0
		.amdhsa_next_free_vgpr 40
		.amdhsa_next_free_sgpr 8
		.amdhsa_accum_offset 40
		.amdhsa_reserve_vcc 1
		.amdhsa_reserve_flat_scratch 0
		.amdhsa_float_round_mode_32 0
		.amdhsa_float_round_mode_16_64 0
		.amdhsa_float_denorm_mode_32 3
		.amdhsa_float_denorm_mode_16_64 3
		.amdhsa_dx10_clamp 1
		.amdhsa_ieee_mode 1
		.amdhsa_fp16_overflow 0
		.amdhsa_tg_split 0
		.amdhsa_exception_fp_ieee_invalid_op 0
		.amdhsa_exception_fp_denorm_src 0
		.amdhsa_exception_fp_ieee_div_zero 0
		.amdhsa_exception_fp_ieee_overflow 0
		.amdhsa_exception_fp_ieee_underflow 0
		.amdhsa_exception_fp_ieee_inexact 0
		.amdhsa_exception_int_div_zero 0
	.end_amdhsa_kernel
	.section	.text._Z34exclusive_scan_reduce_array_kernelILj6ELj32ELN6hipcub18BlockScanAlgorithmE0EfEvPT2_S3_S2_,"axG",@progbits,_Z34exclusive_scan_reduce_array_kernelILj6ELj32ELN6hipcub18BlockScanAlgorithmE0EfEvPT2_S3_S2_,comdat
.Lfunc_end267:
	.size	_Z34exclusive_scan_reduce_array_kernelILj6ELj32ELN6hipcub18BlockScanAlgorithmE0EfEvPT2_S3_S2_, .Lfunc_end267-_Z34exclusive_scan_reduce_array_kernelILj6ELj32ELN6hipcub18BlockScanAlgorithmE0EfEvPT2_S3_S2_
                                        ; -- End function
	.section	.AMDGPU.csdata,"",@progbits
; Kernel info:
; codeLenInByte = 704
; NumSgprs: 12
; NumVgprs: 40
; NumAgprs: 0
; TotalNumVgprs: 40
; ScratchSize: 0
; MemoryBound: 0
; FloatMode: 240
; IeeeMode: 1
; LDSByteSize: 4 bytes/workgroup (compile time only)
; SGPRBlocks: 1
; VGPRBlocks: 4
; NumSGPRsForWavesPerEU: 12
; NumVGPRsForWavesPerEU: 40
; AccumOffset: 40
; Occupancy: 8
; WaveLimiterHint : 0
; COMPUTE_PGM_RSRC2:SCRATCH_EN: 0
; COMPUTE_PGM_RSRC2:USER_SGPR: 6
; COMPUTE_PGM_RSRC2:TRAP_HANDLER: 0
; COMPUTE_PGM_RSRC2:TGID_X_EN: 1
; COMPUTE_PGM_RSRC2:TGID_Y_EN: 0
; COMPUTE_PGM_RSRC2:TGID_Z_EN: 0
; COMPUTE_PGM_RSRC2:TIDIG_COMP_CNT: 0
; COMPUTE_PGM_RSRC3_GFX90A:ACCUM_OFFSET: 9
; COMPUTE_PGM_RSRC3_GFX90A:TG_SPLIT: 0
	.section	.text._Z43exclusive_scan_prefix_callback_array_kernelILj16ELj5ELN6hipcub18BlockScanAlgorithmE1E12hip_bfloat16EvPT2_S4_S3_,"axG",@progbits,_Z43exclusive_scan_prefix_callback_array_kernelILj16ELj5ELN6hipcub18BlockScanAlgorithmE1E12hip_bfloat16EvPT2_S4_S3_,comdat
	.protected	_Z43exclusive_scan_prefix_callback_array_kernelILj16ELj5ELN6hipcub18BlockScanAlgorithmE1E12hip_bfloat16EvPT2_S4_S3_ ; -- Begin function _Z43exclusive_scan_prefix_callback_array_kernelILj16ELj5ELN6hipcub18BlockScanAlgorithmE1E12hip_bfloat16EvPT2_S4_S3_
	.globl	_Z43exclusive_scan_prefix_callback_array_kernelILj16ELj5ELN6hipcub18BlockScanAlgorithmE1E12hip_bfloat16EvPT2_S4_S3_
	.p2align	8
	.type	_Z43exclusive_scan_prefix_callback_array_kernelILj16ELj5ELN6hipcub18BlockScanAlgorithmE1E12hip_bfloat16EvPT2_S4_S3_,@function
_Z43exclusive_scan_prefix_callback_array_kernelILj16ELj5ELN6hipcub18BlockScanAlgorithmE1E12hip_bfloat16EvPT2_S4_S3_: ; @_Z43exclusive_scan_prefix_callback_array_kernelILj16ELj5ELN6hipcub18BlockScanAlgorithmE1E12hip_bfloat16EvPT2_S4_S3_
; %bb.0:
	s_load_dwordx4 s[0:3], s[4:5], 0x0
	v_lshl_or_b32 v1, s6, 4, v0
	v_lshl_add_u32 v8, v1, 2, v1
	v_mov_b32_e32 v9, 0
	v_lshlrev_b64 v[2:3], 1, v[8:9]
	s_waitcnt lgkmcnt(0)
	v_mov_b32_e32 v1, s1
	v_add_co_u32_e32 v2, vcc, s0, v2
	v_add_u32_e32 v4, 1, v8
	v_mov_b32_e32 v5, v9
	v_addc_co_u32_e32 v3, vcc, v1, v3, vcc
	v_lshlrev_b64 v[4:5], 1, v[4:5]
	v_add_co_u32_e32 v4, vcc, s0, v4
	v_add_u32_e32 v6, 3, v8
	v_mov_b32_e32 v7, v9
	v_addc_co_u32_e32 v5, vcc, v1, v5, vcc
	v_lshlrev_b64 v[6:7], 1, v[6:7]
	v_add_u32_e32 v10, 2, v8
	v_add_co_u32_e32 v6, vcc, s0, v6
	v_add_u32_e32 v8, 4, v8
	v_mov_b32_e32 v11, v9
	v_addc_co_u32_e32 v7, vcc, v1, v7, vcc
	v_lshlrev_b64 v[8:9], 1, v[8:9]
	v_add_co_u32_e32 v8, vcc, s0, v8
	v_addc_co_u32_e32 v9, vcc, v1, v9, vcc
	global_load_ushort v16, v[6:7], off
	global_load_ushort v1, v[8:9], off
	;; [unrolled: 1-line block ×4, first 2 shown]
	v_lshlrev_b64 v[10:11], 1, v[10:11]
	v_mov_b32_e32 v14, s1
	v_add_co_u32_e32 v10, vcc, s0, v10
	v_addc_co_u32_e32 v11, vcc, v14, v11, vcc
	global_load_ushort v17, v[10:11], off
	s_mov_b32 s0, 0x7f800000
                                        ; implicit-def: $vgpr18
	s_waitcnt vmcnt(2)
	v_lshlrev_b32_e32 v13, 16, v13
	s_waitcnt vmcnt(1)
	v_lshlrev_b32_e32 v12, 16, v12
	v_mov_b32_e32 v14, v13
	v_pk_add_f32 v[14:15], v[14:15], v[12:13] op_sel_hi:[0,1]
	v_and_b32_e32 v15, 0x7f800000, v14
	v_cmp_ne_u32_e32 vcc, s0, v15
	s_and_saveexec_b64 s[0:1], vcc
	s_xor_b64 s[0:1], exec, s[0:1]
; %bb.1:
	v_bfe_u32 v15, v14, 16, 1
	s_movk_i32 s7, 0x7fff
	v_add3_u32 v18, v14, v15, s7
                                        ; implicit-def: $vgpr14_vgpr15
; %bb.2:
	s_andn2_saveexec_b64 s[0:1], s[0:1]
; %bb.3:
	v_mov_b32_e32 v15, 0
	v_or_b32_e32 v18, 0x10000, v14
	v_cmp_eq_u32_sdwa vcc, v14, v15 src0_sel:WORD_0 src1_sel:DWORD
	v_cndmask_b32_e32 v18, v18, v14, vcc
; %bb.4:
	s_or_b64 exec, exec, s[0:1]
	v_and_b32_e32 v15, 0xffff0000, v18
	s_waitcnt vmcnt(0)
	v_lshlrev_b32_e32 v14, 16, v17
	v_add_f32_e32 v15, v15, v14
	s_mov_b32 s0, 0x7f800000
	v_and_b32_e32 v17, 0x7f800000, v15
	v_cmp_ne_u32_e32 vcc, s0, v17
                                        ; implicit-def: $vgpr17
	s_and_saveexec_b64 s[0:1], vcc
	s_xor_b64 s[0:1], exec, s[0:1]
; %bb.5:
	v_bfe_u32 v17, v15, 16, 1
	s_movk_i32 s7, 0x7fff
	v_add3_u32 v17, v15, v17, s7
                                        ; implicit-def: $vgpr15
; %bb.6:
	s_andn2_saveexec_b64 s[0:1], s[0:1]
; %bb.7:
	v_mov_b32_e32 v17, 0
	v_or_b32_e32 v18, 0x10000, v15
	v_cmp_eq_u32_sdwa vcc, v15, v17 src0_sel:WORD_0 src1_sel:DWORD
	v_cndmask_b32_e32 v17, v18, v15, vcc
; %bb.8:
	s_or_b64 exec, exec, s[0:1]
	v_and_b32_e32 v17, 0xffff0000, v17
	v_lshlrev_b32_e32 v15, 16, v16
	v_add_f32_e32 v16, v17, v15
	s_mov_b32 s0, 0x7f800000
	v_and_b32_e32 v17, 0x7f800000, v16
	v_cmp_ne_u32_e32 vcc, s0, v17
                                        ; implicit-def: $vgpr17
	s_and_saveexec_b64 s[0:1], vcc
	s_xor_b64 s[0:1], exec, s[0:1]
; %bb.9:
	v_bfe_u32 v17, v16, 16, 1
	s_movk_i32 s7, 0x7fff
	v_add3_u32 v17, v16, v17, s7
                                        ; implicit-def: $vgpr16
; %bb.10:
	s_andn2_saveexec_b64 s[0:1], s[0:1]
; %bb.11:
	v_mov_b32_e32 v17, 0
	v_or_b32_e32 v18, 0x10000, v16
	v_cmp_eq_u32_sdwa vcc, v16, v17 src0_sel:WORD_0 src1_sel:DWORD
	v_cndmask_b32_e32 v17, v18, v16, vcc
; %bb.12:
	s_or_b64 exec, exec, s[0:1]
	v_and_b32_e32 v16, 0xffff0000, v17
	v_lshlrev_b32_e32 v1, 16, v1
	v_add_f32_e32 v1, v16, v1
	s_mov_b32 s0, 0x7f800000
	v_and_b32_e32 v16, 0x7f800000, v1
	v_cmp_ne_u32_e32 vcc, s0, v16
                                        ; implicit-def: $vgpr16
	s_and_saveexec_b64 s[0:1], vcc
	s_xor_b64 s[0:1], exec, s[0:1]
; %bb.13:
	v_bfe_u32 v16, v1, 16, 1
	s_movk_i32 s7, 0x7fff
	v_add3_u32 v16, v1, v16, s7
                                        ; implicit-def: $vgpr1
; %bb.14:
	s_andn2_saveexec_b64 s[0:1], s[0:1]
; %bb.15:
	v_mov_b32_e32 v16, 0
	v_or_b32_e32 v17, 0x10000, v1
	v_cmp_eq_u32_sdwa vcc, v1, v16 src0_sel:WORD_0 src1_sel:DWORD
	v_cndmask_b32_e32 v16, v17, v1, vcc
; %bb.16:
	s_or_b64 exec, exec, s[0:1]
	v_lshrrev_b32_e32 v17, 16, v16
	v_and_b32_e32 v18, 0xffff0000, v16
	s_mov_b32 s0, 0x7f800000
	v_mov_b32_dpp v1, v17 row_shr:1 row_mask:0xf bank_mask:0xf
	v_lshlrev_b32_e32 v1, 16, v1
	v_add_f32_e32 v1, v18, v1
	v_and_b32_e32 v16, 0x7f800000, v1
	v_cmp_ne_u32_e32 vcc, s0, v16
                                        ; implicit-def: $vgpr19
	s_and_saveexec_b64 s[0:1], vcc
	s_xor_b64 s[0:1], exec, s[0:1]
; %bb.17:
	v_bfe_u32 v16, v1, 16, 1
	s_movk_i32 s7, 0x7fff
	v_add3_u32 v19, v1, v16, s7
                                        ; implicit-def: $vgpr1
; %bb.18:
	s_andn2_saveexec_b64 s[0:1], s[0:1]
; %bb.19:
	v_mov_b32_e32 v16, 0
	v_or_b32_e32 v19, 0x10000, v1
	v_cmp_eq_u32_sdwa vcc, v1, v16 src0_sel:WORD_0 src1_sel:DWORD
	v_cndmask_b32_e32 v19, v19, v1, vcc
; %bb.20:
	s_or_b64 exec, exec, s[0:1]
	v_mbcnt_lo_u32_b32 v1, -1, 0
	v_mbcnt_hi_u32_b32 v1, -1, v1
	v_and_b32_e32 v16, 15, v1
	v_lshrrev_b32_e32 v20, 16, v19
	v_cmp_eq_u32_e32 vcc, 0, v16
	v_and_b32_e32 v19, 0xffff0000, v19
	v_cndmask_b32_e32 v17, v20, v17, vcc
	v_cndmask_b32_e32 v18, v19, v18, vcc
	s_mov_b32 s0, 0x7f800000
	v_mov_b32_dpp v19, v17 row_shr:2 row_mask:0xf bank_mask:0xf
	v_lshlrev_b32_e32 v19, 16, v19
	v_add_f32_e32 v19, v18, v19
	v_and_b32_e32 v20, 0x7f800000, v19
	v_cmp_ne_u32_e32 vcc, s0, v20
                                        ; implicit-def: $vgpr20
	s_and_saveexec_b64 s[0:1], vcc
	s_xor_b64 s[0:1], exec, s[0:1]
; %bb.21:
	v_bfe_u32 v20, v19, 16, 1
	s_movk_i32 s7, 0x7fff
	v_add3_u32 v20, v19, v20, s7
                                        ; implicit-def: $vgpr19
; %bb.22:
	s_andn2_saveexec_b64 s[0:1], s[0:1]
; %bb.23:
	v_mov_b32_e32 v20, 0
	v_or_b32_e32 v21, 0x10000, v19
	v_cmp_eq_u32_sdwa vcc, v19, v20 src0_sel:WORD_0 src1_sel:DWORD
	v_cndmask_b32_e32 v20, v21, v19, vcc
; %bb.24:
	s_or_b64 exec, exec, s[0:1]
	v_lshrrev_b32_e32 v19, 16, v20
	v_cmp_lt_u32_e32 vcc, 1, v16
	v_cndmask_b32_e32 v17, v17, v19, vcc
	v_and_b32_e32 v20, 0xffff0000, v20
	v_cndmask_b32_e32 v18, v18, v20, vcc
	v_mov_b32_dpp v19, v17 row_shr:4 row_mask:0xf bank_mask:0xf
	v_lshlrev_b32_e32 v19, 16, v19
	v_add_f32_e32 v19, v18, v19
	s_mov_b32 s0, 0x7f800000
	v_and_b32_e32 v20, 0x7f800000, v19
	v_cmp_ne_u32_e32 vcc, s0, v20
                                        ; implicit-def: $vgpr20
	s_and_saveexec_b64 s[0:1], vcc
	s_xor_b64 s[0:1], exec, s[0:1]
; %bb.25:
	v_bfe_u32 v20, v19, 16, 1
	s_movk_i32 s7, 0x7fff
	v_add3_u32 v20, v19, v20, s7
                                        ; implicit-def: $vgpr19
; %bb.26:
	s_andn2_saveexec_b64 s[0:1], s[0:1]
; %bb.27:
	v_mov_b32_e32 v20, 0
	v_or_b32_e32 v21, 0x10000, v19
	v_cmp_eq_u32_sdwa vcc, v19, v20 src0_sel:WORD_0 src1_sel:DWORD
	v_cndmask_b32_e32 v20, v21, v19, vcc
; %bb.28:
	s_or_b64 exec, exec, s[0:1]
	v_lshrrev_b32_e32 v19, 16, v20
	v_cmp_lt_u32_e32 vcc, 3, v16
	v_cndmask_b32_e32 v17, v17, v19, vcc
	v_and_b32_e32 v20, 0xffff0000, v20
	v_cndmask_b32_e32 v18, v18, v20, vcc
	v_mov_b32_dpp v19, v17 row_shr:8 row_mask:0xf bank_mask:0xf
	v_lshlrev_b32_e32 v19, 16, v19
	v_add_f32_e32 v18, v18, v19
	s_mov_b32 s0, 0x7f800000
	v_and_b32_e32 v19, 0x7f800000, v18
	v_cmp_ne_u32_e32 vcc, s0, v19
                                        ; implicit-def: $vgpr19
	s_and_saveexec_b64 s[0:1], vcc
	s_xor_b64 s[0:1], exec, s[0:1]
; %bb.29:
	v_bfe_u32 v19, v18, 16, 1
	s_movk_i32 s7, 0x7fff
	v_add3_u32 v19, v18, v19, s7
                                        ; implicit-def: $vgpr18
; %bb.30:
	s_andn2_saveexec_b64 s[0:1], s[0:1]
; %bb.31:
	v_mov_b32_e32 v19, 0
	v_or_b32_e32 v20, 0x10000, v18
	v_cmp_eq_u32_sdwa vcc, v18, v19 src0_sel:WORD_0 src1_sel:DWORD
	v_cndmask_b32_e32 v19, v20, v18, vcc
; %bb.32:
	s_or_b64 exec, exec, s[0:1]
	v_lshrrev_b32_e32 v18, 16, v19
	v_cmp_lt_u32_e32 vcc, 7, v16
	v_cndmask_b32_e32 v16, v17, v18, vcc
	v_cmp_eq_u32_e32 vcc, 15, v0
	s_and_saveexec_b64 s[0:1], vcc
	s_cbranch_execz .LBB268_34
; %bb.33:
	v_mov_b32_e32 v17, 0
	ds_write_b16 v17, v16
.LBB268_34:
	s_or_b64 exec, exec, s[0:1]
	v_add_u32_e32 v17, -1, v1
	v_and_b32_e32 v18, 0x70, v1
	v_cmp_lt_i32_e32 vcc, v17, v18
	v_cndmask_b32_e32 v1, v17, v1, vcc
	s_load_dword s7, s[4:5], 0x10
	v_lshlrev_b32_e32 v1, 2, v1
	ds_bpermute_b32 v17, v1, v16
	v_cmp_gt_u32_e32 vcc, 64, v0
	s_waitcnt lgkmcnt(0)
	v_mov_b32_e32 v16, s7
	; wave barrier
	s_and_saveexec_b64 s[0:1], vcc
	s_cbranch_execz .LBB268_42
; %bb.35:
	v_mov_b32_e32 v1, 0
	ds_read_u16 v1, v1
	s_lshl_b32 s4, s7, 16
	s_waitcnt lgkmcnt(0)
	v_lshlrev_b32_e32 v16, 16, v1
	v_pk_add_f32 v[18:19], v[16:17], s[4:5] op_sel_hi:[0,1]
	v_readfirstlane_b32 s8, v18
	s_and_b32 s4, s8, 0x7f800000
	s_cmp_eq_u32 s4, 0x7f800000
	s_cbranch_scc1 .LBB268_37
; %bb.36:
	s_bfe_u32 s4, s8, 0x10010
	s_add_i32 s4, s8, s4
	s_add_i32 s9, s4, 0x7fff
	s_cbranch_execz .LBB268_38
	s_branch .LBB268_39
.LBB268_37:
                                        ; implicit-def: $sgpr9
.LBB268_38:
	s_and_b32 s4, s8, 0xffff
	s_or_b32 s5, s8, 0x10000
	s_cmp_eq_u32 s4, 0
	s_cselect_b32 s9, s8, s5
.LBB268_39:
	s_lshr_b32 s8, s9, 16
	v_cmp_eq_u32_e32 vcc, 0, v0
	s_and_saveexec_b64 s[4:5], vcc
	s_cbranch_execz .LBB268_41
; %bb.40:
	v_mov_b32_e32 v1, 0
	v_mov_b32_e32 v16, s7
	ds_write_b16 v1, v16
.LBB268_41:
	s_or_b64 exec, exec, s[4:5]
	v_mov_b32_e32 v16, s8
.LBB268_42:
	s_or_b64 exec, exec, s[0:1]
	v_mov_b32_e32 v1, 0
	s_waitcnt lgkmcnt(0)
	; wave barrier
	s_waitcnt lgkmcnt(0)
	ds_read_u16 v1, v1
	v_cmp_eq_u32_e32 vcc, 0, v0
	v_cmp_ne_u32_e64 s[0:1], 0, v0
	s_and_saveexec_b64 s[4:5], s[0:1]
	s_cbranch_execz .LBB268_48
; %bb.43:
	v_lshlrev_b32_e32 v0, 16, v17
	s_waitcnt lgkmcnt(0)
	v_lshlrev_b32_e32 v18, 16, v1
	v_pk_add_f32 v[0:1], v[18:19], v[0:1] op_sel_hi:[0,1]
	s_mov_b32 s0, 0x7f800000
	v_and_b32_e32 v1, 0x7f800000, v0
	v_cmp_ne_u32_e64 s[0:1], s0, v1
                                        ; implicit-def: $vgpr17
	s_and_saveexec_b64 s[8:9], s[0:1]
	s_xor_b64 s[0:1], exec, s[8:9]
; %bb.44:
	v_bfe_u32 v1, v0, 16, 1
	s_movk_i32 s7, 0x7fff
	v_add3_u32 v17, v0, v1, s7
                                        ; implicit-def: $vgpr0_vgpr1
; %bb.45:
	s_andn2_saveexec_b64 s[8:9], s[0:1]
; %bb.46:
	v_mov_b32_e32 v1, 0
	v_or_b32_e32 v17, 0x10000, v0
	v_cmp_eq_u32_sdwa s[0:1], v0, v1 src0_sel:WORD_0 src1_sel:DWORD
	v_cndmask_b32_e64 v17, v17, v0, s[0:1]
; %bb.47:
	s_or_b64 exec, exec, s[8:9]
	v_lshrrev_b32_e32 v1, 16, v17
.LBB268_48:
	s_or_b64 exec, exec, s[4:5]
	s_waitcnt lgkmcnt(0)
	v_lshlrev_b32_e32 v0, 16, v1
	v_add_f32_e32 v12, v12, v0
	s_mov_b32 s0, 0x7f800000
	v_and_b32_e32 v0, 0x7f800000, v12
	v_cmp_ne_u32_e64 s[0:1], s0, v0
                                        ; implicit-def: $vgpr0
	s_and_saveexec_b64 s[4:5], s[0:1]
	s_xor_b64 s[0:1], exec, s[4:5]
; %bb.49:
	v_bfe_u32 v0, v12, 16, 1
	s_movk_i32 s4, 0x7fff
	v_add3_u32 v0, v12, v0, s4
                                        ; implicit-def: $vgpr12
; %bb.50:
	s_andn2_saveexec_b64 s[4:5], s[0:1]
; %bb.51:
	v_mov_b32_e32 v0, 0
	v_or_b32_e32 v17, 0x10000, v12
	v_cmp_eq_u32_sdwa s[0:1], v12, v0 src0_sel:WORD_0 src1_sel:DWORD
	v_cndmask_b32_e64 v0, v17, v12, s[0:1]
; %bb.52:
	s_or_b64 exec, exec, s[4:5]
	v_and_b32_e32 v12, 0xffff0000, v0
	v_add_f32_e32 v13, v13, v12
	s_mov_b32 s0, 0x7f800000
	v_and_b32_e32 v12, 0x7f800000, v13
	v_cmp_ne_u32_e64 s[0:1], s0, v12
                                        ; implicit-def: $vgpr12
	s_and_saveexec_b64 s[4:5], s[0:1]
	s_xor_b64 s[0:1], exec, s[4:5]
; %bb.53:
	v_bfe_u32 v12, v13, 16, 1
	s_movk_i32 s4, 0x7fff
	v_add3_u32 v12, v13, v12, s4
                                        ; implicit-def: $vgpr13
; %bb.54:
	s_andn2_saveexec_b64 s[4:5], s[0:1]
; %bb.55:
	v_mov_b32_e32 v12, 0
	v_or_b32_e32 v17, 0x10000, v13
	v_cmp_eq_u32_sdwa s[0:1], v13, v12 src0_sel:WORD_0 src1_sel:DWORD
	v_cndmask_b32_e64 v12, v17, v13, s[0:1]
; %bb.56:
	s_or_b64 exec, exec, s[4:5]
	v_and_b32_e32 v13, 0xffff0000, v12
	v_add_f32_e32 v14, v13, v14
	s_mov_b32 s0, 0x7f800000
	v_and_b32_e32 v13, 0x7f800000, v14
	v_cmp_ne_u32_e64 s[0:1], s0, v13
                                        ; implicit-def: $vgpr13
	s_and_saveexec_b64 s[4:5], s[0:1]
	s_xor_b64 s[0:1], exec, s[4:5]
; %bb.57:
	v_bfe_u32 v13, v14, 16, 1
	s_movk_i32 s4, 0x7fff
	v_add3_u32 v13, v14, v13, s4
                                        ; implicit-def: $vgpr14
; %bb.58:
	s_andn2_saveexec_b64 s[4:5], s[0:1]
; %bb.59:
	v_mov_b32_e32 v13, 0
	v_or_b32_e32 v17, 0x10000, v14
	v_cmp_eq_u32_sdwa s[0:1], v14, v13 src0_sel:WORD_0 src1_sel:DWORD
	v_cndmask_b32_e64 v13, v17, v14, s[0:1]
; %bb.60:
	s_or_b64 exec, exec, s[4:5]
	v_and_b32_e32 v14, 0xffff0000, v13
	v_add_f32_e32 v14, v14, v15
	s_mov_b32 s0, 0x7f800000
	v_and_b32_e32 v15, 0x7f800000, v14
	v_cmp_ne_u32_e64 s[0:1], s0, v15
                                        ; implicit-def: $vgpr15
	s_and_saveexec_b64 s[4:5], s[0:1]
	s_xor_b64 s[0:1], exec, s[4:5]
; %bb.61:
	v_bfe_u32 v15, v14, 16, 1
	s_movk_i32 s4, 0x7fff
	v_add3_u32 v15, v14, v15, s4
                                        ; implicit-def: $vgpr14
; %bb.62:
	s_andn2_saveexec_b64 s[4:5], s[0:1]
; %bb.63:
	v_mov_b32_e32 v15, 0
	v_or_b32_e32 v17, 0x10000, v14
	v_cmp_eq_u32_sdwa s[0:1], v14, v15 src0_sel:WORD_0 src1_sel:DWORD
	v_cndmask_b32_e64 v15, v17, v14, s[0:1]
; %bb.64:
	s_or_b64 exec, exec, s[4:5]
	global_store_short v[2:3], v1, off
	global_store_short_d16_hi v[4:5], v0, off
	global_store_short_d16_hi v[10:11], v12, off
	;; [unrolled: 1-line block ×4, first 2 shown]
	s_and_saveexec_b64 s[0:1], vcc
	s_cbranch_execz .LBB268_66
; %bb.65:
	s_mov_b32 s7, 0
	s_lshl_b64 s[0:1], s[6:7], 1
	s_add_u32 s0, s2, s0
	s_addc_u32 s1, s3, s1
	v_mov_b32_e32 v0, 0
	global_store_short v0, v16, s[0:1]
.LBB268_66:
	s_endpgm
	.section	.rodata,"a",@progbits
	.p2align	6, 0x0
	.amdhsa_kernel _Z43exclusive_scan_prefix_callback_array_kernelILj16ELj5ELN6hipcub18BlockScanAlgorithmE1E12hip_bfloat16EvPT2_S4_S3_
		.amdhsa_group_segment_fixed_size 2
		.amdhsa_private_segment_fixed_size 0
		.amdhsa_kernarg_size 20
		.amdhsa_user_sgpr_count 6
		.amdhsa_user_sgpr_private_segment_buffer 1
		.amdhsa_user_sgpr_dispatch_ptr 0
		.amdhsa_user_sgpr_queue_ptr 0
		.amdhsa_user_sgpr_kernarg_segment_ptr 1
		.amdhsa_user_sgpr_dispatch_id 0
		.amdhsa_user_sgpr_flat_scratch_init 0
		.amdhsa_user_sgpr_kernarg_preload_length 0
		.amdhsa_user_sgpr_kernarg_preload_offset 0
		.amdhsa_user_sgpr_private_segment_size 0
		.amdhsa_uses_dynamic_stack 0
		.amdhsa_system_sgpr_private_segment_wavefront_offset 0
		.amdhsa_system_sgpr_workgroup_id_x 1
		.amdhsa_system_sgpr_workgroup_id_y 0
		.amdhsa_system_sgpr_workgroup_id_z 0
		.amdhsa_system_sgpr_workgroup_info 0
		.amdhsa_system_vgpr_workitem_id 0
		.amdhsa_next_free_vgpr 22
		.amdhsa_next_free_sgpr 10
		.amdhsa_accum_offset 24
		.amdhsa_reserve_vcc 1
		.amdhsa_reserve_flat_scratch 0
		.amdhsa_float_round_mode_32 0
		.amdhsa_float_round_mode_16_64 0
		.amdhsa_float_denorm_mode_32 3
		.amdhsa_float_denorm_mode_16_64 3
		.amdhsa_dx10_clamp 1
		.amdhsa_ieee_mode 1
		.amdhsa_fp16_overflow 0
		.amdhsa_tg_split 0
		.amdhsa_exception_fp_ieee_invalid_op 0
		.amdhsa_exception_fp_denorm_src 0
		.amdhsa_exception_fp_ieee_div_zero 0
		.amdhsa_exception_fp_ieee_overflow 0
		.amdhsa_exception_fp_ieee_underflow 0
		.amdhsa_exception_fp_ieee_inexact 0
		.amdhsa_exception_int_div_zero 0
	.end_amdhsa_kernel
	.section	.text._Z43exclusive_scan_prefix_callback_array_kernelILj16ELj5ELN6hipcub18BlockScanAlgorithmE1E12hip_bfloat16EvPT2_S4_S3_,"axG",@progbits,_Z43exclusive_scan_prefix_callback_array_kernelILj16ELj5ELN6hipcub18BlockScanAlgorithmE1E12hip_bfloat16EvPT2_S4_S3_,comdat
.Lfunc_end268:
	.size	_Z43exclusive_scan_prefix_callback_array_kernelILj16ELj5ELN6hipcub18BlockScanAlgorithmE1E12hip_bfloat16EvPT2_S4_S3_, .Lfunc_end268-_Z43exclusive_scan_prefix_callback_array_kernelILj16ELj5ELN6hipcub18BlockScanAlgorithmE1E12hip_bfloat16EvPT2_S4_S3_
                                        ; -- End function
	.section	.AMDGPU.csdata,"",@progbits
; Kernel info:
; codeLenInByte = 1964
; NumSgprs: 14
; NumVgprs: 22
; NumAgprs: 0
; TotalNumVgprs: 22
; ScratchSize: 0
; MemoryBound: 0
; FloatMode: 240
; IeeeMode: 1
; LDSByteSize: 2 bytes/workgroup (compile time only)
; SGPRBlocks: 1
; VGPRBlocks: 2
; NumSGPRsForWavesPerEU: 14
; NumVGPRsForWavesPerEU: 22
; AccumOffset: 24
; Occupancy: 8
; WaveLimiterHint : 0
; COMPUTE_PGM_RSRC2:SCRATCH_EN: 0
; COMPUTE_PGM_RSRC2:USER_SGPR: 6
; COMPUTE_PGM_RSRC2:TRAP_HANDLER: 0
; COMPUTE_PGM_RSRC2:TGID_X_EN: 1
; COMPUTE_PGM_RSRC2:TGID_Y_EN: 0
; COMPUTE_PGM_RSRC2:TGID_Z_EN: 0
; COMPUTE_PGM_RSRC2:TIDIG_COMP_CNT: 0
; COMPUTE_PGM_RSRC3_GFX90A:ACCUM_OFFSET: 5
; COMPUTE_PGM_RSRC3_GFX90A:TG_SPLIT: 0
	.section	.text._Z43exclusive_scan_prefix_callback_array_kernelILj65ELj5ELN6hipcub18BlockScanAlgorithmE1E6__halfEvPT2_S4_S3_,"axG",@progbits,_Z43exclusive_scan_prefix_callback_array_kernelILj65ELj5ELN6hipcub18BlockScanAlgorithmE1E6__halfEvPT2_S4_S3_,comdat
	.protected	_Z43exclusive_scan_prefix_callback_array_kernelILj65ELj5ELN6hipcub18BlockScanAlgorithmE1E6__halfEvPT2_S4_S3_ ; -- Begin function _Z43exclusive_scan_prefix_callback_array_kernelILj65ELj5ELN6hipcub18BlockScanAlgorithmE1E6__halfEvPT2_S4_S3_
	.globl	_Z43exclusive_scan_prefix_callback_array_kernelILj65ELj5ELN6hipcub18BlockScanAlgorithmE1E6__halfEvPT2_S4_S3_
	.p2align	8
	.type	_Z43exclusive_scan_prefix_callback_array_kernelILj65ELj5ELN6hipcub18BlockScanAlgorithmE1E6__halfEvPT2_S4_S3_,@function
_Z43exclusive_scan_prefix_callback_array_kernelILj65ELj5ELN6hipcub18BlockScanAlgorithmE1E6__halfEvPT2_S4_S3_: ; @_Z43exclusive_scan_prefix_callback_array_kernelILj65ELj5ELN6hipcub18BlockScanAlgorithmE1E6__halfEvPT2_S4_S3_
; %bb.0:
	s_load_dwordx4 s[8:11], s[4:5], 0x0
	s_load_dword s7, s[4:5], 0x10
	s_mul_i32 s0, s6, 0x41
	v_add_u32_e32 v1, s0, v0
	v_lshl_add_u32 v10, v1, 2, v1
	v_mov_b32_e32 v11, 0
	v_lshlrev_b64 v[2:3], 1, v[10:11]
	s_waitcnt lgkmcnt(0)
	v_mov_b32_e32 v1, s9
	v_add_co_u32_e32 v2, vcc, s8, v2
	v_add_u32_e32 v4, 1, v10
	v_mov_b32_e32 v5, v11
	v_addc_co_u32_e32 v3, vcc, v1, v3, vcc
	v_lshlrev_b64 v[4:5], 1, v[4:5]
	v_add_co_u32_e32 v4, vcc, s8, v4
	v_add_u32_e32 v6, 2, v10
	v_mov_b32_e32 v7, v11
	v_addc_co_u32_e32 v5, vcc, v1, v5, vcc
	v_lshlrev_b64 v[6:7], 1, v[6:7]
	v_add_co_u32_e32 v6, vcc, s8, v6
	v_add_u32_e32 v8, 3, v10
	v_mov_b32_e32 v9, v11
	v_addc_co_u32_e32 v7, vcc, v1, v7, vcc
	v_lshlrev_b64 v[8:9], 1, v[8:9]
	v_add_co_u32_e32 v8, vcc, s8, v8
	v_add_u32_e32 v10, 4, v10
	v_addc_co_u32_e32 v9, vcc, v1, v9, vcc
	v_lshlrev_b64 v[10:11], 1, v[10:11]
	v_add_co_u32_e32 v10, vcc, s8, v10
	v_addc_co_u32_e32 v11, vcc, v1, v11, vcc
	global_load_ushort v14, v[2:3], off
	global_load_ushort v1, v[4:5], off
	;; [unrolled: 1-line block ×5, first 2 shown]
	v_lshrrev_b32_e32 v16, 5, v0
	v_add_lshl_u32 v16, v16, v0, 1
	v_cmp_gt_u32_e32 vcc, 64, v0
	s_waitcnt vmcnt(3)
	v_add_f16_e32 v17, v14, v1
	s_waitcnt vmcnt(2)
	v_add_f16_e32 v17, v17, v12
	;; [unrolled: 2-line block ×4, first 2 shown]
	ds_write_b16 v16, v15
	s_waitcnt lgkmcnt(0)
	s_barrier
	s_and_saveexec_b64 s[2:3], vcc
	s_cbranch_execz .LBB269_2
; %bb.1:
	v_lshlrev_b32_e32 v16, 1, v0
	v_lshrrev_b32_e32 v17, 4, v0
	v_add_lshl_u32 v16, v17, v16, 1
	ds_read_u16 v17, v16
	ds_read_u16 v18, v16 offset:2
	v_mbcnt_lo_u32_b32 v19, -1, 0
	v_mbcnt_hi_u32_b32 v19, -1, v19
	v_and_b32_e32 v21, 15, v19
	v_cmp_eq_u32_e64 s[0:1], 0, v21
	s_waitcnt lgkmcnt(0)
	v_add_f16_e32 v20, v17, v18
	s_nop 1
	v_mov_b32_dpp v22, v20 row_shr:1 row_mask:0xf bank_mask:0xf
	v_add_f16_e32 v22, v20, v22
	v_cndmask_b32_e64 v20, v22, v20, s[0:1]
	v_and_b32_e32 v22, 0xffff, v20
	v_cmp_lt_u32_e64 s[0:1], 1, v21
	s_nop 0
	v_mov_b32_dpp v22, v22 row_shr:2 row_mask:0xf bank_mask:0xf
	v_add_f16_e32 v22, v20, v22
	v_cndmask_b32_e64 v20, v20, v22, s[0:1]
	v_and_b32_e32 v22, 0xffff, v20
	v_cmp_lt_u32_e64 s[0:1], 3, v21
	;; [unrolled: 6-line block ×3, first 2 shown]
	s_nop 0
	v_mov_b32_dpp v22, v22 row_shr:8 row_mask:0xf bank_mask:0xf
	v_add_f16_e32 v22, v20, v22
	v_cndmask_b32_e64 v20, v20, v22, s[0:1]
	v_and_b32_e32 v21, 0xffff, v20
	v_and_b32_e32 v22, 16, v19
	v_cmp_eq_u32_e64 s[0:1], 0, v22
	v_mov_b32_dpp v21, v21 row_bcast:15 row_mask:0xf bank_mask:0xf
	v_add_f16_e32 v21, v20, v21
	v_cndmask_b32_e64 v20, v21, v20, s[0:1]
	v_and_b32_e32 v21, 0xffff, v20
	v_cmp_lt_u32_e64 s[0:1], 31, v19
	v_and_b32_e32 v22, 64, v19
	v_mov_b32_dpp v21, v21 row_bcast:31 row_mask:0xf bank_mask:0xf
	v_add_f16_e32 v21, v20, v21
	v_cndmask_b32_e64 v20, v20, v21, s[0:1]
	v_add_u32_e32 v21, -1, v19
	v_cmp_lt_i32_e64 s[0:1], v21, v22
	v_cndmask_b32_e64 v19, v21, v19, s[0:1]
	v_and_b32_e32 v20, 0xffff, v20
	v_lshlrev_b32_e32 v19, 2, v19
	ds_bpermute_b32 v19, v19, v20
	v_cmp_eq_u32_e64 s[0:1], 0, v0
	s_waitcnt lgkmcnt(0)
	v_add_f16_e32 v17, v17, v19
	v_cndmask_b32_e64 v17, v17, v15, s[0:1]
	ds_write_b16 v16, v17
	v_add_f16_e32 v17, v18, v17
	ds_write_b16 v16, v17 offset:2
.LBB269_2:
	s_or_b64 exec, exec, s[2:3]
	v_cmp_eq_u32_e64 s[0:1], 0, v0
	v_cmp_ne_u32_e64 s[2:3], 0, v0
	s_waitcnt lgkmcnt(0)
	s_barrier
	s_and_saveexec_b64 s[4:5], s[2:3]
	s_cbranch_execz .LBB269_4
; %bb.3:
	v_add_u32_e32 v0, -1, v0
	v_lshrrev_b32_e32 v15, 5, v0
	v_add_lshl_u32 v0, v15, v0, 1
	ds_read_u16 v15, v0
.LBB269_4:
	s_or_b64 exec, exec, s[4:5]
	v_mov_b32_e32 v0, s7
	s_and_saveexec_b64 s[2:3], vcc
	s_cbranch_execz .LBB269_8
; %bb.5:
	v_mov_b32_e32 v16, 0
	ds_read_u16 v0, v16 offset:132
	s_and_saveexec_b64 s[4:5], s[0:1]
	s_cbranch_execz .LBB269_7
; %bb.6:
	v_mov_b32_e32 v17, s7
	ds_write_b16 v16, v17
.LBB269_7:
	s_or_b64 exec, exec, s[4:5]
	s_waitcnt lgkmcnt(0)
	v_add_f16_e32 v0, s7, v0
.LBB269_8:
	s_or_b64 exec, exec, s[2:3]
	v_mov_b32_e32 v16, 0
	s_waitcnt lgkmcnt(0)
	s_barrier
	ds_read_u16 v17, v16
	s_waitcnt lgkmcnt(0)
	v_add_f16_e32 v15, v15, v17
	v_cndmask_b32_e64 v15, v15, v17, s[0:1]
	v_add_f16_e32 v14, v14, v15
	v_add_f16_e32 v1, v1, v14
	global_store_short v[2:3], v15, off
	v_add_f16_e32 v2, v12, v1
	v_add_f16_e32 v3, v13, v2
	global_store_short v[4:5], v14, off
	global_store_short v[6:7], v1, off
	;; [unrolled: 1-line block ×4, first 2 shown]
	s_and_saveexec_b64 s[2:3], s[0:1]
	s_cbranch_execz .LBB269_10
; %bb.9:
	s_mov_b32 s7, 0
	s_lshl_b64 s[0:1], s[6:7], 1
	s_add_u32 s0, s10, s0
	s_addc_u32 s1, s11, s1
	global_store_short v16, v0, s[0:1]
.LBB269_10:
	s_endpgm
	.section	.rodata,"a",@progbits
	.p2align	6, 0x0
	.amdhsa_kernel _Z43exclusive_scan_prefix_callback_array_kernelILj65ELj5ELN6hipcub18BlockScanAlgorithmE1E6__halfEvPT2_S4_S3_
		.amdhsa_group_segment_fixed_size 264
		.amdhsa_private_segment_fixed_size 0
		.amdhsa_kernarg_size 20
		.amdhsa_user_sgpr_count 6
		.amdhsa_user_sgpr_private_segment_buffer 1
		.amdhsa_user_sgpr_dispatch_ptr 0
		.amdhsa_user_sgpr_queue_ptr 0
		.amdhsa_user_sgpr_kernarg_segment_ptr 1
		.amdhsa_user_sgpr_dispatch_id 0
		.amdhsa_user_sgpr_flat_scratch_init 0
		.amdhsa_user_sgpr_kernarg_preload_length 0
		.amdhsa_user_sgpr_kernarg_preload_offset 0
		.amdhsa_user_sgpr_private_segment_size 0
		.amdhsa_uses_dynamic_stack 0
		.amdhsa_system_sgpr_private_segment_wavefront_offset 0
		.amdhsa_system_sgpr_workgroup_id_x 1
		.amdhsa_system_sgpr_workgroup_id_y 0
		.amdhsa_system_sgpr_workgroup_id_z 0
		.amdhsa_system_sgpr_workgroup_info 0
		.amdhsa_system_vgpr_workitem_id 0
		.amdhsa_next_free_vgpr 23
		.amdhsa_next_free_sgpr 12
		.amdhsa_accum_offset 24
		.amdhsa_reserve_vcc 1
		.amdhsa_reserve_flat_scratch 0
		.amdhsa_float_round_mode_32 0
		.amdhsa_float_round_mode_16_64 0
		.amdhsa_float_denorm_mode_32 3
		.amdhsa_float_denorm_mode_16_64 3
		.amdhsa_dx10_clamp 1
		.amdhsa_ieee_mode 1
		.amdhsa_fp16_overflow 0
		.amdhsa_tg_split 0
		.amdhsa_exception_fp_ieee_invalid_op 0
		.amdhsa_exception_fp_denorm_src 0
		.amdhsa_exception_fp_ieee_div_zero 0
		.amdhsa_exception_fp_ieee_overflow 0
		.amdhsa_exception_fp_ieee_underflow 0
		.amdhsa_exception_fp_ieee_inexact 0
		.amdhsa_exception_int_div_zero 0
	.end_amdhsa_kernel
	.section	.text._Z43exclusive_scan_prefix_callback_array_kernelILj65ELj5ELN6hipcub18BlockScanAlgorithmE1E6__halfEvPT2_S4_S3_,"axG",@progbits,_Z43exclusive_scan_prefix_callback_array_kernelILj65ELj5ELN6hipcub18BlockScanAlgorithmE1E6__halfEvPT2_S4_S3_,comdat
.Lfunc_end269:
	.size	_Z43exclusive_scan_prefix_callback_array_kernelILj65ELj5ELN6hipcub18BlockScanAlgorithmE1E6__halfEvPT2_S4_S3_, .Lfunc_end269-_Z43exclusive_scan_prefix_callback_array_kernelILj65ELj5ELN6hipcub18BlockScanAlgorithmE1E6__halfEvPT2_S4_S3_
                                        ; -- End function
	.section	.AMDGPU.csdata,"",@progbits
; Kernel info:
; codeLenInByte = 896
; NumSgprs: 16
; NumVgprs: 23
; NumAgprs: 0
; TotalNumVgprs: 23
; ScratchSize: 0
; MemoryBound: 0
; FloatMode: 240
; IeeeMode: 1
; LDSByteSize: 264 bytes/workgroup (compile time only)
; SGPRBlocks: 1
; VGPRBlocks: 2
; NumSGPRsForWavesPerEU: 16
; NumVGPRsForWavesPerEU: 23
; AccumOffset: 24
; Occupancy: 8
; WaveLimiterHint : 0
; COMPUTE_PGM_RSRC2:SCRATCH_EN: 0
; COMPUTE_PGM_RSRC2:USER_SGPR: 6
; COMPUTE_PGM_RSRC2:TRAP_HANDLER: 0
; COMPUTE_PGM_RSRC2:TGID_X_EN: 1
; COMPUTE_PGM_RSRC2:TGID_Y_EN: 0
; COMPUTE_PGM_RSRC2:TGID_Z_EN: 0
; COMPUTE_PGM_RSRC2:TIDIG_COMP_CNT: 0
; COMPUTE_PGM_RSRC3_GFX90A:ACCUM_OFFSET: 5
; COMPUTE_PGM_RSRC3_GFX90A:TG_SPLIT: 0
	.section	.text._Z43exclusive_scan_prefix_callback_array_kernelILj255ELj15ELN6hipcub18BlockScanAlgorithmE1EfEvPT2_S3_S2_,"axG",@progbits,_Z43exclusive_scan_prefix_callback_array_kernelILj255ELj15ELN6hipcub18BlockScanAlgorithmE1EfEvPT2_S3_S2_,comdat
	.protected	_Z43exclusive_scan_prefix_callback_array_kernelILj255ELj15ELN6hipcub18BlockScanAlgorithmE1EfEvPT2_S3_S2_ ; -- Begin function _Z43exclusive_scan_prefix_callback_array_kernelILj255ELj15ELN6hipcub18BlockScanAlgorithmE1EfEvPT2_S3_S2_
	.globl	_Z43exclusive_scan_prefix_callback_array_kernelILj255ELj15ELN6hipcub18BlockScanAlgorithmE1EfEvPT2_S3_S2_
	.p2align	8
	.type	_Z43exclusive_scan_prefix_callback_array_kernelILj255ELj15ELN6hipcub18BlockScanAlgorithmE1EfEvPT2_S3_S2_,@function
_Z43exclusive_scan_prefix_callback_array_kernelILj255ELj15ELN6hipcub18BlockScanAlgorithmE1EfEvPT2_S3_S2_: ; @_Z43exclusive_scan_prefix_callback_array_kernelILj255ELj15ELN6hipcub18BlockScanAlgorithmE1EfEvPT2_S3_S2_
; %bb.0:
	s_load_dwordx4 s[8:11], s[4:5], 0x0
	s_mul_i32 s0, s6, 0xff
	v_add_u32_e32 v1, s0, v0
	v_mul_lo_u32 v30, v1, 15
	v_mov_b32_e32 v31, 0
	v_lshlrev_b64 v[2:3], 2, v[30:31]
	s_waitcnt lgkmcnt(0)
	v_mov_b32_e32 v1, s9
	v_add_co_u32_e32 v4, vcc, s8, v2
	v_addc_co_u32_e32 v5, vcc, v1, v3, vcc
	v_add_u32_e32 v2, 1, v30
	v_mov_b32_e32 v3, v31
	v_lshlrev_b64 v[2:3], 2, v[2:3]
	v_add_co_u32_e32 v2, vcc, s8, v2
	v_add_u32_e32 v6, 2, v30
	v_mov_b32_e32 v7, v31
	v_addc_co_u32_e32 v3, vcc, v1, v3, vcc
	v_lshlrev_b64 v[6:7], 2, v[6:7]
	v_add_co_u32_e32 v6, vcc, s8, v6
	v_add_u32_e32 v8, 3, v30
	v_mov_b32_e32 v9, v31
	v_addc_co_u32_e32 v7, vcc, v1, v7, vcc
	;; [unrolled: 5-line block ×7, first 2 shown]
	v_lshlrev_b64 v[18:19], 2, v[18:19]
	v_mov_b32_e32 v20, s9
	v_add_co_u32_e32 v18, vcc, s8, v18
	v_addc_co_u32_e32 v19, vcc, v20, v19, vcc
	v_add_u32_e32 v20, 9, v30
	v_mov_b32_e32 v21, v31
	v_lshlrev_b64 v[20:21], 2, v[20:21]
	v_mov_b32_e32 v22, s9
	v_add_co_u32_e32 v20, vcc, s8, v20
	v_addc_co_u32_e32 v21, vcc, v22, v21, vcc
	v_add_u32_e32 v22, 10, v30
	v_mov_b32_e32 v23, v31
	;; [unrolled: 6-line block ×4, first 2 shown]
	global_load_dword v38, v[4:5], off
	global_load_dword v1, v[2:3], off
	;; [unrolled: 1-line block ×8, first 2 shown]
	v_lshlrev_b64 v[26:27], 2, v[26:27]
	v_mov_b32_e32 v28, s9
	v_add_co_u32_e32 v26, vcc, s8, v26
	v_addc_co_u32_e32 v27, vcc, v28, v27, vcc
	v_add_u32_e32 v28, 13, v30
	v_mov_b32_e32 v29, v31
	v_lshlrev_b64 v[28:29], 2, v[28:29]
	v_mov_b32_e32 v39, s9
	v_add_co_u32_e32 v28, vcc, s8, v28
	v_add_u32_e32 v30, 14, v30
	v_addc_co_u32_e32 v29, vcc, v39, v29, vcc
	v_lshlrev_b64 v[30:31], 2, v[30:31]
	v_add_co_u32_e32 v30, vcc, s8, v30
	v_addc_co_u32_e32 v31, vcc, v39, v31, vcc
	global_load_dword v39, v[18:19], off
	global_load_dword v40, v[20:21], off
	;; [unrolled: 1-line block ×7, first 2 shown]
	v_cmp_gt_u32_e64 s[0:1], 64, v0
	s_waitcnt vmcnt(13)
	v_add_f32_e32 v46, v38, v1
	s_waitcnt vmcnt(12)
	v_add_f32_e32 v46, v32, v46
	;; [unrolled: 2-line block ×14, first 2 shown]
	v_lshrrev_b32_e32 v46, 5, v0
	v_add_lshl_u32 v46, v46, v0, 2
	ds_write_b32 v46, v45
	s_waitcnt lgkmcnt(0)
	s_barrier
	s_and_saveexec_b64 s[2:3], s[0:1]
	s_cbranch_execz .LBB270_2
; %bb.1:
	v_lshlrev_b32_e32 v46, 2, v0
	v_lshrrev_b32_e32 v47, 3, v0
	v_add_lshl_u32 v50, v47, v46, 2
	ds_read2_b32 v[46:47], v50 offset1:1
	ds_read2_b32 v[48:49], v50 offset0:2 offset1:3
	v_mbcnt_lo_u32_b32 v51, -1, 0
	v_mbcnt_hi_u32_b32 v51, -1, v51
	v_and_b32_e32 v53, 15, v51
	s_waitcnt lgkmcnt(1)
	v_add_f32_e32 v52, v46, v47
	s_waitcnt lgkmcnt(0)
	v_add_f32_e32 v52, v52, v48
	v_add_f32_e32 v52, v52, v49
	v_cmp_eq_u32_e32 vcc, 0, v53
	s_nop 0
	v_mov_b32_dpp v54, v52 row_shr:1 row_mask:0xf bank_mask:0xf
	v_add_f32_e32 v54, v52, v54
	v_cndmask_b32_e32 v52, v54, v52, vcc
	v_cmp_lt_u32_e32 vcc, 1, v53
	s_nop 0
	v_mov_b32_dpp v54, v52 row_shr:2 row_mask:0xf bank_mask:0xf
	v_add_f32_e32 v54, v52, v54
	v_cndmask_b32_e32 v52, v52, v54, vcc
	v_cmp_lt_u32_e32 vcc, 3, v53
	;; [unrolled: 5-line block ×3, first 2 shown]
	s_nop 0
	v_mov_b32_dpp v54, v52 row_shr:8 row_mask:0xf bank_mask:0xf
	v_add_f32_e32 v54, v52, v54
	v_cndmask_b32_e32 v52, v52, v54, vcc
	v_and_b32_e32 v54, 16, v51
	v_cmp_eq_u32_e32 vcc, 0, v54
	v_mov_b32_dpp v53, v52 row_bcast:15 row_mask:0xf bank_mask:0xf
	v_add_f32_e32 v53, v52, v53
	v_cndmask_b32_e32 v52, v53, v52, vcc
	v_cmp_lt_u32_e32 vcc, 31, v51
	v_and_b32_e32 v54, 64, v51
	v_mov_b32_dpp v53, v52 row_bcast:31 row_mask:0xf bank_mask:0xf
	v_add_f32_e32 v53, v52, v53
	v_cndmask_b32_e32 v52, v52, v53, vcc
	v_add_u32_e32 v53, -1, v51
	v_cmp_lt_i32_e32 vcc, v53, v54
	v_cndmask_b32_e32 v51, v53, v51, vcc
	v_lshlrev_b32_e32 v51, 2, v51
	ds_bpermute_b32 v51, v51, v52
	v_cmp_eq_u32_e32 vcc, 0, v0
	s_waitcnt lgkmcnt(0)
	v_add_f32_e32 v46, v46, v51
	v_cndmask_b32_e32 v46, v46, v45, vcc
	v_add_f32_e32 v47, v47, v46
	ds_write2_b32 v50, v46, v47 offset1:1
	v_add_f32_e32 v46, v48, v47
	v_add_f32_e32 v47, v49, v46
	ds_write2_b32 v50, v46, v47 offset0:2 offset1:3
.LBB270_2:
	s_or_b64 exec, exec, s[2:3]
	v_cmp_eq_u32_e32 vcc, 0, v0
	v_cmp_ne_u32_e64 s[2:3], 0, v0
	s_waitcnt lgkmcnt(0)
	s_barrier
	s_and_saveexec_b64 s[8:9], s[2:3]
	s_cbranch_execz .LBB270_4
; %bb.3:
	v_add_u32_e32 v0, -1, v0
	v_lshrrev_b32_e32 v45, 5, v0
	v_add_lshl_u32 v0, v45, v0, 2
	ds_read_b32 v45, v0
.LBB270_4:
	s_or_b64 exec, exec, s[8:9]
	s_load_dword s4, s[4:5], 0x10
	s_waitcnt lgkmcnt(0)
	v_mov_b32_e32 v0, s4
	s_and_saveexec_b64 s[2:3], s[0:1]
	s_cbranch_execz .LBB270_8
; %bb.5:
	v_mov_b32_e32 v46, 0
	ds_read_b32 v0, v46 offset:1044
	s_and_saveexec_b64 s[0:1], vcc
	s_cbranch_execz .LBB270_7
; %bb.6:
	v_mov_b32_e32 v47, s4
	ds_write_b32 v46, v47
.LBB270_7:
	s_or_b64 exec, exec, s[0:1]
	s_waitcnt lgkmcnt(0)
	v_add_f32_e32 v0, s4, v0
.LBB270_8:
	s_or_b64 exec, exec, s[2:3]
	v_mov_b32_e32 v46, 0
	s_barrier
	ds_read_b32 v47, v46
	s_waitcnt lgkmcnt(0)
	v_add_f32_e32 v45, v45, v47
	v_cndmask_b32_e32 v45, v45, v47, vcc
	v_add_f32_e32 v38, v38, v45
	v_add_f32_e32 v1, v1, v38
	global_store_dword v[4:5], v45, off
	v_add_f32_e32 v4, v32, v1
	v_add_f32_e32 v5, v33, v4
	;; [unrolled: 1-line block ×12, first 2 shown]
	global_store_dword v[2:3], v38, off
	global_store_dword v[6:7], v1, off
	global_store_dword v[8:9], v4, off
	global_store_dword v[10:11], v5, off
	global_store_dword v[12:13], v32, off
	global_store_dword v[14:15], v33, off
	global_store_dword v[16:17], v34, off
	global_store_dword v[18:19], v35, off
	global_store_dword v[20:21], v36, off
	global_store_dword v[22:23], v37, off
	global_store_dword v[24:25], v39, off
	global_store_dword v[26:27], v40, off
	global_store_dword v[28:29], v41, off
	global_store_dword v[30:31], v42, off
	s_and_saveexec_b64 s[0:1], vcc
	s_cbranch_execz .LBB270_10
; %bb.9:
	s_mov_b32 s7, 0
	s_lshl_b64 s[0:1], s[6:7], 2
	s_add_u32 s0, s10, s0
	s_addc_u32 s1, s11, s1
	global_store_dword v46, v0, s[0:1]
.LBB270_10:
	s_endpgm
	.section	.rodata,"a",@progbits
	.p2align	6, 0x0
	.amdhsa_kernel _Z43exclusive_scan_prefix_callback_array_kernelILj255ELj15ELN6hipcub18BlockScanAlgorithmE1EfEvPT2_S3_S2_
		.amdhsa_group_segment_fixed_size 1056
		.amdhsa_private_segment_fixed_size 0
		.amdhsa_kernarg_size 20
		.amdhsa_user_sgpr_count 6
		.amdhsa_user_sgpr_private_segment_buffer 1
		.amdhsa_user_sgpr_dispatch_ptr 0
		.amdhsa_user_sgpr_queue_ptr 0
		.amdhsa_user_sgpr_kernarg_segment_ptr 1
		.amdhsa_user_sgpr_dispatch_id 0
		.amdhsa_user_sgpr_flat_scratch_init 0
		.amdhsa_user_sgpr_kernarg_preload_length 0
		.amdhsa_user_sgpr_kernarg_preload_offset 0
		.amdhsa_user_sgpr_private_segment_size 0
		.amdhsa_uses_dynamic_stack 0
		.amdhsa_system_sgpr_private_segment_wavefront_offset 0
		.amdhsa_system_sgpr_workgroup_id_x 1
		.amdhsa_system_sgpr_workgroup_id_y 0
		.amdhsa_system_sgpr_workgroup_id_z 0
		.amdhsa_system_sgpr_workgroup_info 0
		.amdhsa_system_vgpr_workitem_id 0
		.amdhsa_next_free_vgpr 55
		.amdhsa_next_free_sgpr 12
		.amdhsa_accum_offset 56
		.amdhsa_reserve_vcc 1
		.amdhsa_reserve_flat_scratch 0
		.amdhsa_float_round_mode_32 0
		.amdhsa_float_round_mode_16_64 0
		.amdhsa_float_denorm_mode_32 3
		.amdhsa_float_denorm_mode_16_64 3
		.amdhsa_dx10_clamp 1
		.amdhsa_ieee_mode 1
		.amdhsa_fp16_overflow 0
		.amdhsa_tg_split 0
		.amdhsa_exception_fp_ieee_invalid_op 0
		.amdhsa_exception_fp_denorm_src 0
		.amdhsa_exception_fp_ieee_div_zero 0
		.amdhsa_exception_fp_ieee_overflow 0
		.amdhsa_exception_fp_ieee_underflow 0
		.amdhsa_exception_fp_ieee_inexact 0
		.amdhsa_exception_int_div_zero 0
	.end_amdhsa_kernel
	.section	.text._Z43exclusive_scan_prefix_callback_array_kernelILj255ELj15ELN6hipcub18BlockScanAlgorithmE1EfEvPT2_S3_S2_,"axG",@progbits,_Z43exclusive_scan_prefix_callback_array_kernelILj255ELj15ELN6hipcub18BlockScanAlgorithmE1EfEvPT2_S3_S2_,comdat
.Lfunc_end270:
	.size	_Z43exclusive_scan_prefix_callback_array_kernelILj255ELj15ELN6hipcub18BlockScanAlgorithmE1EfEvPT2_S3_S2_, .Lfunc_end270-_Z43exclusive_scan_prefix_callback_array_kernelILj255ELj15ELN6hipcub18BlockScanAlgorithmE1EfEvPT2_S3_S2_
                                        ; -- End function
	.section	.AMDGPU.csdata,"",@progbits
; Kernel info:
; codeLenInByte = 1344
; NumSgprs: 16
; NumVgprs: 55
; NumAgprs: 0
; TotalNumVgprs: 55
; ScratchSize: 0
; MemoryBound: 0
; FloatMode: 240
; IeeeMode: 1
; LDSByteSize: 1056 bytes/workgroup (compile time only)
; SGPRBlocks: 1
; VGPRBlocks: 6
; NumSGPRsForWavesPerEU: 16
; NumVGPRsForWavesPerEU: 55
; AccumOffset: 56
; Occupancy: 8
; WaveLimiterHint : 0
; COMPUTE_PGM_RSRC2:SCRATCH_EN: 0
; COMPUTE_PGM_RSRC2:USER_SGPR: 6
; COMPUTE_PGM_RSRC2:TRAP_HANDLER: 0
; COMPUTE_PGM_RSRC2:TGID_X_EN: 1
; COMPUTE_PGM_RSRC2:TGID_Y_EN: 0
; COMPUTE_PGM_RSRC2:TGID_Z_EN: 0
; COMPUTE_PGM_RSRC2:TIDIG_COMP_CNT: 0
; COMPUTE_PGM_RSRC3_GFX90A:ACCUM_OFFSET: 13
; COMPUTE_PGM_RSRC3_GFX90A:TG_SPLIT: 0
	.section	.text._Z43exclusive_scan_prefix_callback_array_kernelILj162ELj7ELN6hipcub18BlockScanAlgorithmE1EfEvPT2_S3_S2_,"axG",@progbits,_Z43exclusive_scan_prefix_callback_array_kernelILj162ELj7ELN6hipcub18BlockScanAlgorithmE1EfEvPT2_S3_S2_,comdat
	.protected	_Z43exclusive_scan_prefix_callback_array_kernelILj162ELj7ELN6hipcub18BlockScanAlgorithmE1EfEvPT2_S3_S2_ ; -- Begin function _Z43exclusive_scan_prefix_callback_array_kernelILj162ELj7ELN6hipcub18BlockScanAlgorithmE1EfEvPT2_S3_S2_
	.globl	_Z43exclusive_scan_prefix_callback_array_kernelILj162ELj7ELN6hipcub18BlockScanAlgorithmE1EfEvPT2_S3_S2_
	.p2align	8
	.type	_Z43exclusive_scan_prefix_callback_array_kernelILj162ELj7ELN6hipcub18BlockScanAlgorithmE1EfEvPT2_S3_S2_,@function
_Z43exclusive_scan_prefix_callback_array_kernelILj162ELj7ELN6hipcub18BlockScanAlgorithmE1EfEvPT2_S3_S2_: ; @_Z43exclusive_scan_prefix_callback_array_kernelILj162ELj7ELN6hipcub18BlockScanAlgorithmE1EfEvPT2_S3_S2_
; %bb.0:
	s_load_dwordx4 s[8:11], s[4:5], 0x0
	s_mul_i32 s0, s6, 0xa2
	v_add_u32_e32 v1, s0, v0
	v_mul_lo_u32 v14, v1, 7
	v_mov_b32_e32 v15, 0
	v_lshlrev_b64 v[2:3], 2, v[14:15]
	s_waitcnt lgkmcnt(0)
	v_mov_b32_e32 v1, s9
	v_add_co_u32_e32 v2, vcc, s8, v2
	v_add_u32_e32 v4, 1, v14
	v_mov_b32_e32 v5, v15
	v_addc_co_u32_e32 v3, vcc, v1, v3, vcc
	v_lshlrev_b64 v[4:5], 2, v[4:5]
	v_add_co_u32_e32 v4, vcc, s8, v4
	v_add_u32_e32 v6, 2, v14
	v_mov_b32_e32 v7, v15
	v_addc_co_u32_e32 v5, vcc, v1, v5, vcc
	v_lshlrev_b64 v[6:7], 2, v[6:7]
	;; [unrolled: 5-line block ×5, first 2 shown]
	v_add_co_u32_e32 v12, vcc, s8, v12
	v_add_u32_e32 v14, 6, v14
	v_addc_co_u32_e32 v13, vcc, v1, v13, vcc
	v_lshlrev_b64 v[14:15], 2, v[14:15]
	v_add_co_u32_e32 v14, vcc, s8, v14
	v_addc_co_u32_e32 v15, vcc, v1, v15, vcc
	global_load_dword v20, v[2:3], off
	global_load_dword v1, v[4:5], off
	;; [unrolled: 1-line block ×7, first 2 shown]
	v_lshlrev_b32_e32 v22, 2, v0
	v_cmp_gt_u32_e32 vcc, 64, v0
	s_waitcnt vmcnt(5)
	v_add_f32_e32 v23, v20, v1
	s_waitcnt vmcnt(4)
	v_add_f32_e32 v23, v16, v23
	;; [unrolled: 2-line block ×6, first 2 shown]
	ds_write_b32 v22, v21
	s_waitcnt lgkmcnt(0)
	s_barrier
	s_and_saveexec_b64 s[2:3], vcc
	s_cbranch_execz .LBB271_2
; %bb.1:
	v_mul_u32_u24_e32 v23, 3, v0
	v_lshlrev_b32_e32 v23, 2, v23
	ds_read2_b32 v[24:25], v23 offset1:1
	ds_read_b32 v26, v23 offset:8
	v_mbcnt_lo_u32_b32 v27, -1, 0
	v_mbcnt_hi_u32_b32 v27, -1, v27
	v_and_b32_e32 v28, 15, v27
	s_waitcnt lgkmcnt(1)
	v_add_f32_e32 v29, v24, v25
	s_waitcnt lgkmcnt(0)
	v_add_f32_e32 v29, v29, v26
	v_cmp_eq_u32_e64 s[0:1], 0, v28
	s_nop 0
	v_mov_b32_dpp v30, v29 row_shr:1 row_mask:0xf bank_mask:0xf
	v_add_f32_e32 v30, v29, v30
	v_cndmask_b32_e64 v29, v30, v29, s[0:1]
	v_cmp_lt_u32_e64 s[0:1], 1, v28
	s_nop 0
	v_mov_b32_dpp v30, v29 row_shr:2 row_mask:0xf bank_mask:0xf
	v_add_f32_e32 v30, v29, v30
	v_cndmask_b32_e64 v29, v29, v30, s[0:1]
	v_cmp_lt_u32_e64 s[0:1], 3, v28
	;; [unrolled: 5-line block ×3, first 2 shown]
	s_nop 0
	v_mov_b32_dpp v30, v29 row_shr:8 row_mask:0xf bank_mask:0xf
	v_add_f32_e32 v30, v29, v30
	v_cndmask_b32_e64 v28, v29, v30, s[0:1]
	v_and_b32_e32 v30, 16, v27
	v_cmp_eq_u32_e64 s[0:1], 0, v30
	v_mov_b32_dpp v29, v28 row_bcast:15 row_mask:0xf bank_mask:0xf
	v_add_f32_e32 v29, v28, v29
	v_cndmask_b32_e64 v28, v29, v28, s[0:1]
	v_cmp_lt_u32_e64 s[0:1], 31, v27
	v_and_b32_e32 v30, 64, v27
	v_mov_b32_dpp v29, v28 row_bcast:31 row_mask:0xf bank_mask:0xf
	v_add_f32_e32 v29, v28, v29
	v_cndmask_b32_e64 v28, v28, v29, s[0:1]
	v_add_u32_e32 v29, -1, v27
	v_cmp_lt_i32_e64 s[0:1], v29, v30
	v_cndmask_b32_e64 v27, v29, v27, s[0:1]
	v_lshlrev_b32_e32 v27, 2, v27
	ds_bpermute_b32 v27, v27, v28
	v_cmp_eq_u32_e64 s[0:1], 0, v0
	s_waitcnt lgkmcnt(0)
	v_add_f32_e32 v24, v24, v27
	v_cndmask_b32_e64 v24, v24, v21, s[0:1]
	v_add_f32_e32 v25, v25, v24
	ds_write2_b32 v23, v24, v25 offset1:1
	v_add_f32_e32 v24, v26, v25
	ds_write_b32 v23, v24 offset:8
.LBB271_2:
	s_or_b64 exec, exec, s[2:3]
	v_cmp_eq_u32_e64 s[0:1], 0, v0
	v_cmp_ne_u32_e64 s[2:3], 0, v0
	s_waitcnt lgkmcnt(0)
	s_barrier
	s_and_saveexec_b64 s[8:9], s[2:3]
	s_cbranch_execz .LBB271_4
; %bb.3:
	v_add_u32_e32 v0, -4, v22
	ds_read_b32 v21, v0
.LBB271_4:
	s_or_b64 exec, exec, s[8:9]
	s_load_dword s7, s[4:5], 0x10
	s_waitcnt lgkmcnt(0)
	v_mov_b32_e32 v0, s7
	s_and_saveexec_b64 s[2:3], vcc
	s_cbranch_execz .LBB271_8
; %bb.5:
	v_mov_b32_e32 v22, 0
	ds_read_b32 v0, v22 offset:644
	s_and_saveexec_b64 s[4:5], s[0:1]
	s_cbranch_execz .LBB271_7
; %bb.6:
	v_mov_b32_e32 v23, s7
	ds_write_b32 v22, v23
.LBB271_7:
	s_or_b64 exec, exec, s[4:5]
	s_waitcnt lgkmcnt(0)
	v_add_f32_e32 v0, s7, v0
.LBB271_8:
	s_or_b64 exec, exec, s[2:3]
	v_mov_b32_e32 v22, 0
	s_barrier
	ds_read_b32 v23, v22
	s_waitcnt lgkmcnt(0)
	v_add_f32_e32 v21, v21, v23
	v_cndmask_b32_e64 v21, v21, v23, s[0:1]
	v_add_f32_e32 v20, v20, v21
	v_add_f32_e32 v1, v1, v20
	global_store_dword v[2:3], v21, off
	v_add_f32_e32 v2, v16, v1
	v_add_f32_e32 v3, v17, v2
	;; [unrolled: 1-line block ×4, first 2 shown]
	global_store_dword v[4:5], v20, off
	global_store_dword v[6:7], v1, off
	;; [unrolled: 1-line block ×6, first 2 shown]
	s_and_saveexec_b64 s[2:3], s[0:1]
	s_cbranch_execz .LBB271_10
; %bb.9:
	s_mov_b32 s7, 0
	s_lshl_b64 s[0:1], s[6:7], 2
	s_add_u32 s0, s10, s0
	s_addc_u32 s1, s11, s1
	global_store_dword v22, v0, s[0:1]
.LBB271_10:
	s_endpgm
	.section	.rodata,"a",@progbits
	.p2align	6, 0x0
	.amdhsa_kernel _Z43exclusive_scan_prefix_callback_array_kernelILj162ELj7ELN6hipcub18BlockScanAlgorithmE1EfEvPT2_S3_S2_
		.amdhsa_group_segment_fixed_size 768
		.amdhsa_private_segment_fixed_size 0
		.amdhsa_kernarg_size 20
		.amdhsa_user_sgpr_count 6
		.amdhsa_user_sgpr_private_segment_buffer 1
		.amdhsa_user_sgpr_dispatch_ptr 0
		.amdhsa_user_sgpr_queue_ptr 0
		.amdhsa_user_sgpr_kernarg_segment_ptr 1
		.amdhsa_user_sgpr_dispatch_id 0
		.amdhsa_user_sgpr_flat_scratch_init 0
		.amdhsa_user_sgpr_kernarg_preload_length 0
		.amdhsa_user_sgpr_kernarg_preload_offset 0
		.amdhsa_user_sgpr_private_segment_size 0
		.amdhsa_uses_dynamic_stack 0
		.amdhsa_system_sgpr_private_segment_wavefront_offset 0
		.amdhsa_system_sgpr_workgroup_id_x 1
		.amdhsa_system_sgpr_workgroup_id_y 0
		.amdhsa_system_sgpr_workgroup_id_z 0
		.amdhsa_system_sgpr_workgroup_info 0
		.amdhsa_system_vgpr_workitem_id 0
		.amdhsa_next_free_vgpr 31
		.amdhsa_next_free_sgpr 12
		.amdhsa_accum_offset 32
		.amdhsa_reserve_vcc 1
		.amdhsa_reserve_flat_scratch 0
		.amdhsa_float_round_mode_32 0
		.amdhsa_float_round_mode_16_64 0
		.amdhsa_float_denorm_mode_32 3
		.amdhsa_float_denorm_mode_16_64 3
		.amdhsa_dx10_clamp 1
		.amdhsa_ieee_mode 1
		.amdhsa_fp16_overflow 0
		.amdhsa_tg_split 0
		.amdhsa_exception_fp_ieee_invalid_op 0
		.amdhsa_exception_fp_denorm_src 0
		.amdhsa_exception_fp_ieee_div_zero 0
		.amdhsa_exception_fp_ieee_overflow 0
		.amdhsa_exception_fp_ieee_underflow 0
		.amdhsa_exception_fp_ieee_inexact 0
		.amdhsa_exception_int_div_zero 0
	.end_amdhsa_kernel
	.section	.text._Z43exclusive_scan_prefix_callback_array_kernelILj162ELj7ELN6hipcub18BlockScanAlgorithmE1EfEvPT2_S3_S2_,"axG",@progbits,_Z43exclusive_scan_prefix_callback_array_kernelILj162ELj7ELN6hipcub18BlockScanAlgorithmE1EfEvPT2_S3_S2_,comdat
.Lfunc_end271:
	.size	_Z43exclusive_scan_prefix_callback_array_kernelILj162ELj7ELN6hipcub18BlockScanAlgorithmE1EfEvPT2_S3_S2_, .Lfunc_end271-_Z43exclusive_scan_prefix_callback_array_kernelILj162ELj7ELN6hipcub18BlockScanAlgorithmE1EfEvPT2_S3_S2_
                                        ; -- End function
	.section	.AMDGPU.csdata,"",@progbits
; Kernel info:
; codeLenInByte = 936
; NumSgprs: 16
; NumVgprs: 31
; NumAgprs: 0
; TotalNumVgprs: 31
; ScratchSize: 0
; MemoryBound: 0
; FloatMode: 240
; IeeeMode: 1
; LDSByteSize: 768 bytes/workgroup (compile time only)
; SGPRBlocks: 1
; VGPRBlocks: 3
; NumSGPRsForWavesPerEU: 16
; NumVGPRsForWavesPerEU: 31
; AccumOffset: 32
; Occupancy: 8
; WaveLimiterHint : 0
; COMPUTE_PGM_RSRC2:SCRATCH_EN: 0
; COMPUTE_PGM_RSRC2:USER_SGPR: 6
; COMPUTE_PGM_RSRC2:TRAP_HANDLER: 0
; COMPUTE_PGM_RSRC2:TGID_X_EN: 1
; COMPUTE_PGM_RSRC2:TGID_Y_EN: 0
; COMPUTE_PGM_RSRC2:TGID_Z_EN: 0
; COMPUTE_PGM_RSRC2:TIDIG_COMP_CNT: 0
; COMPUTE_PGM_RSRC3_GFX90A:ACCUM_OFFSET: 7
; COMPUTE_PGM_RSRC3_GFX90A:TG_SPLIT: 0
	.section	.text._Z43exclusive_scan_prefix_callback_array_kernelILj65ELj5ELN6hipcub18BlockScanAlgorithmE1EfEvPT2_S3_S2_,"axG",@progbits,_Z43exclusive_scan_prefix_callback_array_kernelILj65ELj5ELN6hipcub18BlockScanAlgorithmE1EfEvPT2_S3_S2_,comdat
	.protected	_Z43exclusive_scan_prefix_callback_array_kernelILj65ELj5ELN6hipcub18BlockScanAlgorithmE1EfEvPT2_S3_S2_ ; -- Begin function _Z43exclusive_scan_prefix_callback_array_kernelILj65ELj5ELN6hipcub18BlockScanAlgorithmE1EfEvPT2_S3_S2_
	.globl	_Z43exclusive_scan_prefix_callback_array_kernelILj65ELj5ELN6hipcub18BlockScanAlgorithmE1EfEvPT2_S3_S2_
	.p2align	8
	.type	_Z43exclusive_scan_prefix_callback_array_kernelILj65ELj5ELN6hipcub18BlockScanAlgorithmE1EfEvPT2_S3_S2_,@function
_Z43exclusive_scan_prefix_callback_array_kernelILj65ELj5ELN6hipcub18BlockScanAlgorithmE1EfEvPT2_S3_S2_: ; @_Z43exclusive_scan_prefix_callback_array_kernelILj65ELj5ELN6hipcub18BlockScanAlgorithmE1EfEvPT2_S3_S2_
; %bb.0:
	s_load_dwordx4 s[8:11], s[4:5], 0x0
	s_mul_i32 s0, s6, 0x41
	v_add_u32_e32 v1, s0, v0
	v_lshl_add_u32 v10, v1, 2, v1
	v_mov_b32_e32 v11, 0
	v_lshlrev_b64 v[2:3], 2, v[10:11]
	s_waitcnt lgkmcnt(0)
	v_mov_b32_e32 v1, s9
	v_add_co_u32_e32 v2, vcc, s8, v2
	v_add_u32_e32 v4, 1, v10
	v_mov_b32_e32 v5, v11
	v_addc_co_u32_e32 v3, vcc, v1, v3, vcc
	v_lshlrev_b64 v[4:5], 2, v[4:5]
	v_add_co_u32_e32 v4, vcc, s8, v4
	v_add_u32_e32 v6, 2, v10
	v_mov_b32_e32 v7, v11
	v_addc_co_u32_e32 v5, vcc, v1, v5, vcc
	v_lshlrev_b64 v[6:7], 2, v[6:7]
	;; [unrolled: 5-line block ×3, first 2 shown]
	v_add_co_u32_e32 v8, vcc, s8, v8
	v_add_u32_e32 v10, 4, v10
	v_addc_co_u32_e32 v9, vcc, v1, v9, vcc
	v_lshlrev_b64 v[10:11], 2, v[10:11]
	v_add_co_u32_e32 v10, vcc, s8, v10
	v_addc_co_u32_e32 v11, vcc, v1, v11, vcc
	global_load_dword v14, v[2:3], off
	global_load_dword v1, v[4:5], off
	;; [unrolled: 1-line block ×5, first 2 shown]
	v_lshrrev_b32_e32 v16, 5, v0
	v_add_lshl_u32 v16, v16, v0, 2
	v_cmp_gt_u32_e32 vcc, 64, v0
	s_waitcnt vmcnt(3)
	v_add_f32_e32 v17, v14, v1
	s_waitcnt vmcnt(2)
	v_add_f32_e32 v17, v12, v17
	;; [unrolled: 2-line block ×4, first 2 shown]
	ds_write_b32 v16, v15
	s_waitcnt lgkmcnt(0)
	s_barrier
	s_and_saveexec_b64 s[2:3], vcc
	s_cbranch_execz .LBB272_2
; %bb.1:
	v_lshlrev_b32_e32 v16, 1, v0
	v_lshrrev_b32_e32 v17, 4, v0
	v_add_lshl_u32 v18, v17, v16, 2
	ds_read2_b32 v[16:17], v18 offset1:1
	v_mbcnt_lo_u32_b32 v19, -1, 0
	v_mbcnt_hi_u32_b32 v19, -1, v19
	v_and_b32_e32 v20, 15, v19
	v_cmp_eq_u32_e64 s[0:1], 0, v20
	s_waitcnt lgkmcnt(0)
	v_add_f32_e32 v21, v16, v17
	s_nop 1
	v_mov_b32_dpp v22, v21 row_shr:1 row_mask:0xf bank_mask:0xf
	v_add_f32_e32 v22, v21, v22
	v_cndmask_b32_e64 v21, v22, v21, s[0:1]
	v_cmp_lt_u32_e64 s[0:1], 1, v20
	s_nop 0
	v_mov_b32_dpp v22, v21 row_shr:2 row_mask:0xf bank_mask:0xf
	v_add_f32_e32 v22, v21, v22
	v_cndmask_b32_e64 v21, v21, v22, s[0:1]
	v_cmp_lt_u32_e64 s[0:1], 3, v20
	;; [unrolled: 5-line block ×3, first 2 shown]
	s_nop 0
	v_mov_b32_dpp v22, v21 row_shr:8 row_mask:0xf bank_mask:0xf
	v_add_f32_e32 v22, v21, v22
	v_cndmask_b32_e64 v20, v21, v22, s[0:1]
	v_and_b32_e32 v22, 16, v19
	v_cmp_eq_u32_e64 s[0:1], 0, v22
	v_mov_b32_dpp v21, v20 row_bcast:15 row_mask:0xf bank_mask:0xf
	v_add_f32_e32 v21, v20, v21
	v_cndmask_b32_e64 v20, v21, v20, s[0:1]
	v_cmp_lt_u32_e64 s[0:1], 31, v19
	v_and_b32_e32 v22, 64, v19
	v_mov_b32_dpp v21, v20 row_bcast:31 row_mask:0xf bank_mask:0xf
	v_add_f32_e32 v21, v20, v21
	v_cndmask_b32_e64 v20, v20, v21, s[0:1]
	v_add_u32_e32 v21, -1, v19
	v_cmp_lt_i32_e64 s[0:1], v21, v22
	v_cndmask_b32_e64 v19, v21, v19, s[0:1]
	v_lshlrev_b32_e32 v19, 2, v19
	ds_bpermute_b32 v19, v19, v20
	v_cmp_eq_u32_e64 s[0:1], 0, v0
	s_waitcnt lgkmcnt(0)
	v_add_f32_e32 v16, v16, v19
	v_cndmask_b32_e64 v16, v16, v15, s[0:1]
	v_add_f32_e32 v17, v17, v16
	ds_write2_b32 v18, v16, v17 offset1:1
.LBB272_2:
	s_or_b64 exec, exec, s[2:3]
	v_cmp_eq_u32_e64 s[0:1], 0, v0
	v_cmp_ne_u32_e64 s[2:3], 0, v0
	s_waitcnt lgkmcnt(0)
	s_barrier
	s_and_saveexec_b64 s[8:9], s[2:3]
	s_cbranch_execz .LBB272_4
; %bb.3:
	v_add_u32_e32 v0, -1, v0
	v_lshrrev_b32_e32 v15, 5, v0
	v_add_lshl_u32 v0, v15, v0, 2
	ds_read_b32 v15, v0
.LBB272_4:
	s_or_b64 exec, exec, s[8:9]
	s_load_dword s7, s[4:5], 0x10
	s_waitcnt lgkmcnt(0)
	v_mov_b32_e32 v0, s7
	s_and_saveexec_b64 s[2:3], vcc
	s_cbranch_execz .LBB272_8
; %bb.5:
	v_mov_b32_e32 v16, 0
	ds_read_b32 v0, v16 offset:264
	s_and_saveexec_b64 s[4:5], s[0:1]
	s_cbranch_execz .LBB272_7
; %bb.6:
	v_mov_b32_e32 v17, s7
	ds_write_b32 v16, v17
.LBB272_7:
	s_or_b64 exec, exec, s[4:5]
	s_waitcnt lgkmcnt(0)
	v_add_f32_e32 v0, s7, v0
.LBB272_8:
	s_or_b64 exec, exec, s[2:3]
	v_mov_b32_e32 v16, 0
	s_barrier
	ds_read_b32 v17, v16
	s_waitcnt lgkmcnt(0)
	v_add_f32_e32 v15, v15, v17
	v_cndmask_b32_e64 v15, v15, v17, s[0:1]
	v_add_f32_e32 v14, v14, v15
	v_add_f32_e32 v1, v1, v14
	global_store_dword v[2:3], v15, off
	v_add_f32_e32 v2, v12, v1
	v_add_f32_e32 v3, v13, v2
	global_store_dword v[4:5], v14, off
	global_store_dword v[6:7], v1, off
	;; [unrolled: 1-line block ×4, first 2 shown]
	s_and_saveexec_b64 s[2:3], s[0:1]
	s_cbranch_execz .LBB272_10
; %bb.9:
	s_mov_b32 s7, 0
	s_lshl_b64 s[0:1], s[6:7], 2
	s_add_u32 s0, s10, s0
	s_addc_u32 s1, s11, s1
	global_store_dword v16, v0, s[0:1]
.LBB272_10:
	s_endpgm
	.section	.rodata,"a",@progbits
	.p2align	6, 0x0
	.amdhsa_kernel _Z43exclusive_scan_prefix_callback_array_kernelILj65ELj5ELN6hipcub18BlockScanAlgorithmE1EfEvPT2_S3_S2_
		.amdhsa_group_segment_fixed_size 528
		.amdhsa_private_segment_fixed_size 0
		.amdhsa_kernarg_size 20
		.amdhsa_user_sgpr_count 6
		.amdhsa_user_sgpr_private_segment_buffer 1
		.amdhsa_user_sgpr_dispatch_ptr 0
		.amdhsa_user_sgpr_queue_ptr 0
		.amdhsa_user_sgpr_kernarg_segment_ptr 1
		.amdhsa_user_sgpr_dispatch_id 0
		.amdhsa_user_sgpr_flat_scratch_init 0
		.amdhsa_user_sgpr_kernarg_preload_length 0
		.amdhsa_user_sgpr_kernarg_preload_offset 0
		.amdhsa_user_sgpr_private_segment_size 0
		.amdhsa_uses_dynamic_stack 0
		.amdhsa_system_sgpr_private_segment_wavefront_offset 0
		.amdhsa_system_sgpr_workgroup_id_x 1
		.amdhsa_system_sgpr_workgroup_id_y 0
		.amdhsa_system_sgpr_workgroup_id_z 0
		.amdhsa_system_sgpr_workgroup_info 0
		.amdhsa_system_vgpr_workitem_id 0
		.amdhsa_next_free_vgpr 23
		.amdhsa_next_free_sgpr 12
		.amdhsa_accum_offset 24
		.amdhsa_reserve_vcc 1
		.amdhsa_reserve_flat_scratch 0
		.amdhsa_float_round_mode_32 0
		.amdhsa_float_round_mode_16_64 0
		.amdhsa_float_denorm_mode_32 3
		.amdhsa_float_denorm_mode_16_64 3
		.amdhsa_dx10_clamp 1
		.amdhsa_ieee_mode 1
		.amdhsa_fp16_overflow 0
		.amdhsa_tg_split 0
		.amdhsa_exception_fp_ieee_invalid_op 0
		.amdhsa_exception_fp_denorm_src 0
		.amdhsa_exception_fp_ieee_div_zero 0
		.amdhsa_exception_fp_ieee_overflow 0
		.amdhsa_exception_fp_ieee_underflow 0
		.amdhsa_exception_fp_ieee_inexact 0
		.amdhsa_exception_int_div_zero 0
	.end_amdhsa_kernel
	.section	.text._Z43exclusive_scan_prefix_callback_array_kernelILj65ELj5ELN6hipcub18BlockScanAlgorithmE1EfEvPT2_S3_S2_,"axG",@progbits,_Z43exclusive_scan_prefix_callback_array_kernelILj65ELj5ELN6hipcub18BlockScanAlgorithmE1EfEvPT2_S3_S2_,comdat
.Lfunc_end272:
	.size	_Z43exclusive_scan_prefix_callback_array_kernelILj65ELj5ELN6hipcub18BlockScanAlgorithmE1EfEvPT2_S3_S2_, .Lfunc_end272-_Z43exclusive_scan_prefix_callback_array_kernelILj65ELj5ELN6hipcub18BlockScanAlgorithmE1EfEvPT2_S3_S2_
                                        ; -- End function
	.section	.AMDGPU.csdata,"",@progbits
; Kernel info:
; codeLenInByte = 832
; NumSgprs: 16
; NumVgprs: 23
; NumAgprs: 0
; TotalNumVgprs: 23
; ScratchSize: 0
; MemoryBound: 0
; FloatMode: 240
; IeeeMode: 1
; LDSByteSize: 528 bytes/workgroup (compile time only)
; SGPRBlocks: 1
; VGPRBlocks: 2
; NumSGPRsForWavesPerEU: 16
; NumVGPRsForWavesPerEU: 23
; AccumOffset: 24
; Occupancy: 8
; WaveLimiterHint : 0
; COMPUTE_PGM_RSRC2:SCRATCH_EN: 0
; COMPUTE_PGM_RSRC2:USER_SGPR: 6
; COMPUTE_PGM_RSRC2:TRAP_HANDLER: 0
; COMPUTE_PGM_RSRC2:TGID_X_EN: 1
; COMPUTE_PGM_RSRC2:TGID_Y_EN: 0
; COMPUTE_PGM_RSRC2:TGID_Z_EN: 0
; COMPUTE_PGM_RSRC2:TIDIG_COMP_CNT: 0
; COMPUTE_PGM_RSRC3_GFX90A:ACCUM_OFFSET: 5
; COMPUTE_PGM_RSRC3_GFX90A:TG_SPLIT: 0
	.section	.text._Z43exclusive_scan_prefix_callback_array_kernelILj37ELj2ELN6hipcub18BlockScanAlgorithmE1EfEvPT2_S3_S2_,"axG",@progbits,_Z43exclusive_scan_prefix_callback_array_kernelILj37ELj2ELN6hipcub18BlockScanAlgorithmE1EfEvPT2_S3_S2_,comdat
	.protected	_Z43exclusive_scan_prefix_callback_array_kernelILj37ELj2ELN6hipcub18BlockScanAlgorithmE1EfEvPT2_S3_S2_ ; -- Begin function _Z43exclusive_scan_prefix_callback_array_kernelILj37ELj2ELN6hipcub18BlockScanAlgorithmE1EfEvPT2_S3_S2_
	.globl	_Z43exclusive_scan_prefix_callback_array_kernelILj37ELj2ELN6hipcub18BlockScanAlgorithmE1EfEvPT2_S3_S2_
	.p2align	8
	.type	_Z43exclusive_scan_prefix_callback_array_kernelILj37ELj2ELN6hipcub18BlockScanAlgorithmE1EfEvPT2_S3_S2_,@function
_Z43exclusive_scan_prefix_callback_array_kernelILj37ELj2ELN6hipcub18BlockScanAlgorithmE1EfEvPT2_S3_S2_: ; @_Z43exclusive_scan_prefix_callback_array_kernelILj37ELj2ELN6hipcub18BlockScanAlgorithmE1EfEvPT2_S3_S2_
; %bb.0:
	s_load_dwordx4 s[0:3], s[4:5], 0x0
	s_mul_i32 s7, s6, 37
	v_add_lshl_u32 v6, s7, v0, 1
	v_mov_b32_e32 v7, 0
	v_lshlrev_b64 v[2:3], 2, v[6:7]
	s_waitcnt lgkmcnt(0)
	v_mov_b32_e32 v1, s1
	v_add_co_u32_e32 v2, vcc, s0, v2
	v_addc_co_u32_e32 v3, vcc, v1, v3, vcc
	global_load_dwordx2 v[4:5], v[2:3], off
	v_mbcnt_lo_u32_b32 v1, -1, 0
	v_mbcnt_hi_u32_b32 v1, -1, v1
	v_and_b32_e32 v6, 15, v1
	v_cmp_eq_u32_e32 vcc, 0, v6
	v_and_b32_e32 v8, 16, v1
	s_waitcnt vmcnt(0)
	v_add_f32_e32 v5, v4, v5
	s_nop 1
	v_mov_b32_dpp v9, v5 row_shr:1 row_mask:0xf bank_mask:0xf
	v_add_f32_e32 v9, v5, v9
	v_cndmask_b32_e32 v5, v9, v5, vcc
	v_cmp_lt_u32_e32 vcc, 1, v6
	s_nop 0
	v_mov_b32_dpp v9, v5 row_shr:2 row_mask:0xf bank_mask:0xf
	v_add_f32_e32 v9, v5, v9
	v_cndmask_b32_e32 v5, v5, v9, vcc
	v_cmp_lt_u32_e32 vcc, 3, v6
	;; [unrolled: 5-line block ×3, first 2 shown]
	s_nop 0
	v_mov_b32_dpp v9, v5 row_shr:8 row_mask:0xf bank_mask:0xf
	v_add_f32_e32 v9, v5, v9
	v_cndmask_b32_e32 v5, v5, v9, vcc
	v_cmp_eq_u32_e32 vcc, 0, v8
	s_nop 0
	v_mov_b32_dpp v6, v5 row_bcast:15 row_mask:0xf bank_mask:0xf
	v_add_f32_e32 v6, v5, v6
	v_cndmask_b32_e32 v5, v6, v5, vcc
	v_cmp_lt_u32_e32 vcc, 31, v1
	s_nop 0
	v_mov_b32_dpp v6, v5 row_bcast:31 row_mask:0xf bank_mask:0xf
	v_add_f32_e32 v6, v5, v6
	v_cndmask_b32_e32 v5, v5, v6, vcc
	v_cmp_eq_u32_e32 vcc, 36, v0
	s_and_saveexec_b64 s[0:1], vcc
	s_cbranch_execz .LBB273_2
; %bb.1:
	ds_write_b32 v7, v5
.LBB273_2:
	s_or_b64 exec, exec, s[0:1]
	v_add_u32_e32 v6, -1, v1
	v_and_b32_e32 v7, 64, v1
	v_cmp_lt_i32_e32 vcc, v6, v7
	v_cndmask_b32_e32 v1, v6, v1, vcc
	s_load_dword s7, s[4:5], 0x10
	v_lshlrev_b32_e32 v1, 2, v1
	ds_bpermute_b32 v5, v1, v5
	v_cmp_gt_u32_e32 vcc, 64, v0
	s_waitcnt lgkmcnt(0)
	v_mov_b32_e32 v1, s7
	; wave barrier
	s_and_saveexec_b64 s[0:1], vcc
	s_cbranch_execz .LBB273_6
; %bb.3:
	v_mov_b32_e32 v6, 0
	ds_read_b32 v1, v6
	v_cmp_eq_u32_e32 vcc, 0, v0
	s_and_saveexec_b64 s[4:5], vcc
	s_cbranch_execz .LBB273_5
; %bb.4:
	v_mov_b32_e32 v7, s7
	ds_write_b32 v6, v7
.LBB273_5:
	s_or_b64 exec, exec, s[4:5]
	s_waitcnt lgkmcnt(0)
	v_add_f32_e32 v1, s7, v1
.LBB273_6:
	s_or_b64 exec, exec, s[0:1]
	v_mov_b32_e32 v6, 0
	s_waitcnt lgkmcnt(0)
	; wave barrier
	ds_read_b32 v7, v6
	v_cmp_eq_u32_e32 vcc, 0, v0
	s_mov_b32 s7, 0
	s_waitcnt lgkmcnt(0)
	v_add_f32_e32 v5, v7, v5
	v_cndmask_b32_e32 v8, v5, v7, vcc
	v_add_f32_e32 v9, v4, v8
	global_store_dwordx2 v[2:3], v[8:9], off
	s_and_saveexec_b64 s[0:1], vcc
	s_cbranch_execz .LBB273_8
; %bb.7:
	s_lshl_b64 s[0:1], s[6:7], 2
	s_add_u32 s0, s2, s0
	s_addc_u32 s1, s3, s1
	global_store_dword v6, v1, s[0:1]
.LBB273_8:
	s_endpgm
	.section	.rodata,"a",@progbits
	.p2align	6, 0x0
	.amdhsa_kernel _Z43exclusive_scan_prefix_callback_array_kernelILj37ELj2ELN6hipcub18BlockScanAlgorithmE1EfEvPT2_S3_S2_
		.amdhsa_group_segment_fixed_size 4
		.amdhsa_private_segment_fixed_size 0
		.amdhsa_kernarg_size 20
		.amdhsa_user_sgpr_count 6
		.amdhsa_user_sgpr_private_segment_buffer 1
		.amdhsa_user_sgpr_dispatch_ptr 0
		.amdhsa_user_sgpr_queue_ptr 0
		.amdhsa_user_sgpr_kernarg_segment_ptr 1
		.amdhsa_user_sgpr_dispatch_id 0
		.amdhsa_user_sgpr_flat_scratch_init 0
		.amdhsa_user_sgpr_kernarg_preload_length 0
		.amdhsa_user_sgpr_kernarg_preload_offset 0
		.amdhsa_user_sgpr_private_segment_size 0
		.amdhsa_uses_dynamic_stack 0
		.amdhsa_system_sgpr_private_segment_wavefront_offset 0
		.amdhsa_system_sgpr_workgroup_id_x 1
		.amdhsa_system_sgpr_workgroup_id_y 0
		.amdhsa_system_sgpr_workgroup_id_z 0
		.amdhsa_system_sgpr_workgroup_info 0
		.amdhsa_system_vgpr_workitem_id 0
		.amdhsa_next_free_vgpr 10
		.amdhsa_next_free_sgpr 8
		.amdhsa_accum_offset 12
		.amdhsa_reserve_vcc 1
		.amdhsa_reserve_flat_scratch 0
		.amdhsa_float_round_mode_32 0
		.amdhsa_float_round_mode_16_64 0
		.amdhsa_float_denorm_mode_32 3
		.amdhsa_float_denorm_mode_16_64 3
		.amdhsa_dx10_clamp 1
		.amdhsa_ieee_mode 1
		.amdhsa_fp16_overflow 0
		.amdhsa_tg_split 0
		.amdhsa_exception_fp_ieee_invalid_op 0
		.amdhsa_exception_fp_denorm_src 0
		.amdhsa_exception_fp_ieee_div_zero 0
		.amdhsa_exception_fp_ieee_overflow 0
		.amdhsa_exception_fp_ieee_underflow 0
		.amdhsa_exception_fp_ieee_inexact 0
		.amdhsa_exception_int_div_zero 0
	.end_amdhsa_kernel
	.section	.text._Z43exclusive_scan_prefix_callback_array_kernelILj37ELj2ELN6hipcub18BlockScanAlgorithmE1EfEvPT2_S3_S2_,"axG",@progbits,_Z43exclusive_scan_prefix_callback_array_kernelILj37ELj2ELN6hipcub18BlockScanAlgorithmE1EfEvPT2_S3_S2_,comdat
.Lfunc_end273:
	.size	_Z43exclusive_scan_prefix_callback_array_kernelILj37ELj2ELN6hipcub18BlockScanAlgorithmE1EfEvPT2_S3_S2_, .Lfunc_end273-_Z43exclusive_scan_prefix_callback_array_kernelILj37ELj2ELN6hipcub18BlockScanAlgorithmE1EfEvPT2_S3_S2_
                                        ; -- End function
	.section	.AMDGPU.csdata,"",@progbits
; Kernel info:
; codeLenInByte = 444
; NumSgprs: 12
; NumVgprs: 10
; NumAgprs: 0
; TotalNumVgprs: 10
; ScratchSize: 0
; MemoryBound: 0
; FloatMode: 240
; IeeeMode: 1
; LDSByteSize: 4 bytes/workgroup (compile time only)
; SGPRBlocks: 1
; VGPRBlocks: 1
; NumSGPRsForWavesPerEU: 12
; NumVGPRsForWavesPerEU: 10
; AccumOffset: 12
; Occupancy: 8
; WaveLimiterHint : 0
; COMPUTE_PGM_RSRC2:SCRATCH_EN: 0
; COMPUTE_PGM_RSRC2:USER_SGPR: 6
; COMPUTE_PGM_RSRC2:TRAP_HANDLER: 0
; COMPUTE_PGM_RSRC2:TGID_X_EN: 1
; COMPUTE_PGM_RSRC2:TGID_Y_EN: 0
; COMPUTE_PGM_RSRC2:TGID_Z_EN: 0
; COMPUTE_PGM_RSRC2:TIDIG_COMP_CNT: 0
; COMPUTE_PGM_RSRC3_GFX90A:ACCUM_OFFSET: 2
; COMPUTE_PGM_RSRC3_GFX90A:TG_SPLIT: 0
	.section	.text._Z43exclusive_scan_prefix_callback_array_kernelILj512ELj4ELN6hipcub18BlockScanAlgorithmE1EjEvPT2_S3_S2_,"axG",@progbits,_Z43exclusive_scan_prefix_callback_array_kernelILj512ELj4ELN6hipcub18BlockScanAlgorithmE1EjEvPT2_S3_S2_,comdat
	.protected	_Z43exclusive_scan_prefix_callback_array_kernelILj512ELj4ELN6hipcub18BlockScanAlgorithmE1EjEvPT2_S3_S2_ ; -- Begin function _Z43exclusive_scan_prefix_callback_array_kernelILj512ELj4ELN6hipcub18BlockScanAlgorithmE1EjEvPT2_S3_S2_
	.globl	_Z43exclusive_scan_prefix_callback_array_kernelILj512ELj4ELN6hipcub18BlockScanAlgorithmE1EjEvPT2_S3_S2_
	.p2align	8
	.type	_Z43exclusive_scan_prefix_callback_array_kernelILj512ELj4ELN6hipcub18BlockScanAlgorithmE1EjEvPT2_S3_S2_,@function
_Z43exclusive_scan_prefix_callback_array_kernelILj512ELj4ELN6hipcub18BlockScanAlgorithmE1EjEvPT2_S3_S2_: ; @_Z43exclusive_scan_prefix_callback_array_kernelILj512ELj4ELN6hipcub18BlockScanAlgorithmE1EjEvPT2_S3_S2_
; %bb.0:
	s_load_dwordx4 s[8:11], s[4:5], 0x0
	v_lshlrev_b32_e32 v1, 2, v0
	v_lshl_or_b32 v8, s6, 11, v1
	v_mov_b32_e32 v9, 0
	v_lshlrev_b64 v[2:3], 2, v[8:9]
	s_waitcnt lgkmcnt(0)
	v_mov_b32_e32 v1, s9
	v_add_co_u32_e32 v6, vcc, s8, v2
	v_addc_co_u32_e32 v7, vcc, v1, v3, vcc
	global_load_dwordx4 v[2:5], v[6:7], off
	v_lshrrev_b32_e32 v1, 5, v0
	v_add_lshl_u32 v8, v1, v0, 2
	v_cmp_gt_u32_e32 vcc, 64, v0
	s_waitcnt vmcnt(0)
	v_add_u32_e32 v1, v3, v2
	v_add3_u32 v1, v1, v4, v5
	ds_write_b32 v8, v1
	s_waitcnt lgkmcnt(0)
	s_barrier
	s_and_saveexec_b64 s[2:3], vcc
	s_cbranch_execz .LBB274_2
; %bb.1:
	v_lshlrev_b32_e32 v5, 3, v0
	v_lshrrev_b32_e32 v8, 2, v0
	v_add_lshl_u32 v5, v8, v5, 2
	ds_read2_b32 v[10:11], v5 offset1:1
	ds_read2_b32 v[12:13], v5 offset0:2 offset1:3
	ds_read2_b32 v[14:15], v5 offset0:4 offset1:5
	;; [unrolled: 1-line block ×3, first 2 shown]
	v_mbcnt_lo_u32_b32 v18, -1, 0
	s_waitcnt lgkmcnt(3)
	v_add_u32_e32 v8, v11, v10
	s_waitcnt lgkmcnt(2)
	v_add3_u32 v8, v8, v12, v13
	s_waitcnt lgkmcnt(1)
	v_add3_u32 v8, v8, v14, v15
	v_mbcnt_hi_u32_b32 v18, -1, v18
	s_waitcnt lgkmcnt(0)
	v_add3_u32 v8, v8, v16, v17
	v_and_b32_e32 v19, 15, v18
	v_cmp_ne_u32_e64 s[0:1], 0, v19
	v_mov_b32_dpp v20, v8 row_shr:1 row_mask:0xf bank_mask:0xf
	v_cndmask_b32_e64 v20, 0, v20, s[0:1]
	v_add_u32_e32 v8, v20, v8
	v_cmp_lt_u32_e64 s[0:1], 1, v19
	s_nop 0
	v_mov_b32_dpp v20, v8 row_shr:2 row_mask:0xf bank_mask:0xf
	v_cndmask_b32_e64 v20, 0, v20, s[0:1]
	v_add_u32_e32 v8, v8, v20
	v_cmp_lt_u32_e64 s[0:1], 3, v19
	s_nop 0
	;; [unrolled: 5-line block ×3, first 2 shown]
	v_mov_b32_dpp v20, v8 row_shr:8 row_mask:0xf bank_mask:0xf
	v_cndmask_b32_e64 v19, 0, v20, s[0:1]
	v_add_u32_e32 v8, v8, v19
	v_bfe_i32 v20, v18, 4, 1
	v_cmp_lt_u32_e64 s[0:1], 31, v18
	v_mov_b32_dpp v19, v8 row_bcast:15 row_mask:0xf bank_mask:0xf
	v_and_b32_e32 v19, v20, v19
	v_add_u32_e32 v8, v8, v19
	v_and_b32_e32 v20, 64, v18
	s_nop 0
	v_mov_b32_dpp v19, v8 row_bcast:31 row_mask:0xf bank_mask:0xf
	v_cndmask_b32_e64 v19, 0, v19, s[0:1]
	v_add_u32_e32 v8, v8, v19
	v_add_u32_e32 v19, -1, v18
	v_cmp_lt_i32_e64 s[0:1], v19, v20
	v_cndmask_b32_e64 v18, v19, v18, s[0:1]
	v_lshlrev_b32_e32 v18, 2, v18
	ds_bpermute_b32 v8, v18, v8
	v_cmp_eq_u32_e64 s[0:1], 0, v0
	s_waitcnt lgkmcnt(0)
	v_add_u32_e32 v8, v8, v10
	v_cndmask_b32_e64 v1, v8, v1, s[0:1]
	v_add_u32_e32 v8, v1, v11
	ds_write2_b32 v5, v1, v8 offset1:1
	v_add_u32_e32 v1, v8, v12
	v_add_u32_e32 v8, v1, v13
	ds_write2_b32 v5, v1, v8 offset0:2 offset1:3
	v_add_u32_e32 v1, v8, v14
	v_add_u32_e32 v8, v1, v15
	ds_write2_b32 v5, v1, v8 offset0:4 offset1:5
	;; [unrolled: 3-line block ×3, first 2 shown]
.LBB274_2:
	s_or_b64 exec, exec, s[2:3]
	v_cmp_eq_u32_e64 s[0:1], 0, v0
	v_cmp_ne_u32_e64 s[2:3], 0, v0
	s_waitcnt lgkmcnt(0)
	s_barrier
	s_and_saveexec_b64 s[8:9], s[2:3]
	s_cbranch_execz .LBB274_4
; %bb.3:
	v_add_u32_e32 v0, -1, v0
	v_lshrrev_b32_e32 v1, 5, v0
	v_add_lshl_u32 v0, v1, v0, 2
	ds_read_b32 v9, v0
.LBB274_4:
	s_or_b64 exec, exec, s[8:9]
	s_load_dword s7, s[4:5], 0x10
	s_waitcnt lgkmcnt(0)
	v_mov_b32_e32 v0, s7
	s_and_saveexec_b64 s[2:3], vcc
	s_cbranch_execz .LBB274_8
; %bb.5:
	v_mov_b32_e32 v1, 0
	ds_read_b32 v0, v1 offset:2104
	s_and_saveexec_b64 s[4:5], s[0:1]
	s_cbranch_execz .LBB274_7
; %bb.6:
	v_mov_b32_e32 v5, s7
	ds_write_b32 v1, v5
.LBB274_7:
	s_or_b64 exec, exec, s[4:5]
	s_waitcnt lgkmcnt(0)
	v_add_u32_e32 v0, s7, v0
.LBB274_8:
	s_or_b64 exec, exec, s[2:3]
	v_mov_b32_e32 v1, 0
	s_barrier
	ds_read_b32 v5, v1
	s_waitcnt lgkmcnt(0)
	v_add_u32_e32 v8, v5, v9
	v_add_u32_e32 v9, v8, v2
	;; [unrolled: 1-line block ×4, first 2 shown]
	global_store_dwordx4 v[6:7], v[8:11], off
	s_and_saveexec_b64 s[2:3], s[0:1]
	s_cbranch_execz .LBB274_10
; %bb.9:
	s_mov_b32 s7, 0
	s_lshl_b64 s[0:1], s[6:7], 2
	s_add_u32 s0, s10, s0
	s_addc_u32 s1, s11, s1
	global_store_dword v1, v0, s[0:1]
.LBB274_10:
	s_endpgm
	.section	.rodata,"a",@progbits
	.p2align	6, 0x0
	.amdhsa_kernel _Z43exclusive_scan_prefix_callback_array_kernelILj512ELj4ELN6hipcub18BlockScanAlgorithmE1EjEvPT2_S3_S2_
		.amdhsa_group_segment_fixed_size 2112
		.amdhsa_private_segment_fixed_size 0
		.amdhsa_kernarg_size 20
		.amdhsa_user_sgpr_count 6
		.amdhsa_user_sgpr_private_segment_buffer 1
		.amdhsa_user_sgpr_dispatch_ptr 0
		.amdhsa_user_sgpr_queue_ptr 0
		.amdhsa_user_sgpr_kernarg_segment_ptr 1
		.amdhsa_user_sgpr_dispatch_id 0
		.amdhsa_user_sgpr_flat_scratch_init 0
		.amdhsa_user_sgpr_kernarg_preload_length 0
		.amdhsa_user_sgpr_kernarg_preload_offset 0
		.amdhsa_user_sgpr_private_segment_size 0
		.amdhsa_uses_dynamic_stack 0
		.amdhsa_system_sgpr_private_segment_wavefront_offset 0
		.amdhsa_system_sgpr_workgroup_id_x 1
		.amdhsa_system_sgpr_workgroup_id_y 0
		.amdhsa_system_sgpr_workgroup_id_z 0
		.amdhsa_system_sgpr_workgroup_info 0
		.amdhsa_system_vgpr_workitem_id 0
		.amdhsa_next_free_vgpr 21
		.amdhsa_next_free_sgpr 12
		.amdhsa_accum_offset 24
		.amdhsa_reserve_vcc 1
		.amdhsa_reserve_flat_scratch 0
		.amdhsa_float_round_mode_32 0
		.amdhsa_float_round_mode_16_64 0
		.amdhsa_float_denorm_mode_32 3
		.amdhsa_float_denorm_mode_16_64 3
		.amdhsa_dx10_clamp 1
		.amdhsa_ieee_mode 1
		.amdhsa_fp16_overflow 0
		.amdhsa_tg_split 0
		.amdhsa_exception_fp_ieee_invalid_op 0
		.amdhsa_exception_fp_denorm_src 0
		.amdhsa_exception_fp_ieee_div_zero 0
		.amdhsa_exception_fp_ieee_overflow 0
		.amdhsa_exception_fp_ieee_underflow 0
		.amdhsa_exception_fp_ieee_inexact 0
		.amdhsa_exception_int_div_zero 0
	.end_amdhsa_kernel
	.section	.text._Z43exclusive_scan_prefix_callback_array_kernelILj512ELj4ELN6hipcub18BlockScanAlgorithmE1EjEvPT2_S3_S2_,"axG",@progbits,_Z43exclusive_scan_prefix_callback_array_kernelILj512ELj4ELN6hipcub18BlockScanAlgorithmE1EjEvPT2_S3_S2_,comdat
.Lfunc_end274:
	.size	_Z43exclusive_scan_prefix_callback_array_kernelILj512ELj4ELN6hipcub18BlockScanAlgorithmE1EjEvPT2_S3_S2_, .Lfunc_end274-_Z43exclusive_scan_prefix_callback_array_kernelILj512ELj4ELN6hipcub18BlockScanAlgorithmE1EjEvPT2_S3_S2_
                                        ; -- End function
	.section	.AMDGPU.csdata,"",@progbits
; Kernel info:
; codeLenInByte = 740
; NumSgprs: 16
; NumVgprs: 21
; NumAgprs: 0
; TotalNumVgprs: 21
; ScratchSize: 0
; MemoryBound: 0
; FloatMode: 240
; IeeeMode: 1
; LDSByteSize: 2112 bytes/workgroup (compile time only)
; SGPRBlocks: 1
; VGPRBlocks: 2
; NumSGPRsForWavesPerEU: 16
; NumVGPRsForWavesPerEU: 21
; AccumOffset: 24
; Occupancy: 8
; WaveLimiterHint : 0
; COMPUTE_PGM_RSRC2:SCRATCH_EN: 0
; COMPUTE_PGM_RSRC2:USER_SGPR: 6
; COMPUTE_PGM_RSRC2:TRAP_HANDLER: 0
; COMPUTE_PGM_RSRC2:TGID_X_EN: 1
; COMPUTE_PGM_RSRC2:TGID_Y_EN: 0
; COMPUTE_PGM_RSRC2:TGID_Z_EN: 0
; COMPUTE_PGM_RSRC2:TIDIG_COMP_CNT: 0
; COMPUTE_PGM_RSRC3_GFX90A:ACCUM_OFFSET: 5
; COMPUTE_PGM_RSRC3_GFX90A:TG_SPLIT: 0
	.section	.text._Z43exclusive_scan_prefix_callback_array_kernelILj256ELj3ELN6hipcub18BlockScanAlgorithmE1EiEvPT2_S3_S2_,"axG",@progbits,_Z43exclusive_scan_prefix_callback_array_kernelILj256ELj3ELN6hipcub18BlockScanAlgorithmE1EiEvPT2_S3_S2_,comdat
	.protected	_Z43exclusive_scan_prefix_callback_array_kernelILj256ELj3ELN6hipcub18BlockScanAlgorithmE1EiEvPT2_S3_S2_ ; -- Begin function _Z43exclusive_scan_prefix_callback_array_kernelILj256ELj3ELN6hipcub18BlockScanAlgorithmE1EiEvPT2_S3_S2_
	.globl	_Z43exclusive_scan_prefix_callback_array_kernelILj256ELj3ELN6hipcub18BlockScanAlgorithmE1EiEvPT2_S3_S2_
	.p2align	8
	.type	_Z43exclusive_scan_prefix_callback_array_kernelILj256ELj3ELN6hipcub18BlockScanAlgorithmE1EiEvPT2_S3_S2_,@function
_Z43exclusive_scan_prefix_callback_array_kernelILj256ELj3ELN6hipcub18BlockScanAlgorithmE1EiEvPT2_S3_S2_: ; @_Z43exclusive_scan_prefix_callback_array_kernelILj256ELj3ELN6hipcub18BlockScanAlgorithmE1EiEvPT2_S3_S2_
; %bb.0:
	s_load_dwordx4 s[8:11], s[4:5], 0x0
	v_lshl_or_b32 v1, s6, 8, v0
	v_lshl_add_u32 v4, v1, 1, v1
	v_mov_b32_e32 v5, 0
	v_lshlrev_b64 v[2:3], 2, v[4:5]
	s_waitcnt lgkmcnt(0)
	v_mov_b32_e32 v1, s9
	v_add_co_u32_e32 v2, vcc, s8, v2
	v_add_u32_e32 v6, 1, v4
	v_mov_b32_e32 v7, v5
	v_addc_co_u32_e32 v3, vcc, v1, v3, vcc
	v_lshlrev_b64 v[6:7], 2, v[6:7]
	v_add_co_u32_e32 v6, vcc, s8, v6
	v_add_u32_e32 v4, 2, v4
	v_addc_co_u32_e32 v7, vcc, v1, v7, vcc
	v_lshlrev_b64 v[8:9], 2, v[4:5]
	v_add_co_u32_e32 v8, vcc, s8, v8
	v_addc_co_u32_e32 v9, vcc, v1, v9, vcc
	global_load_dword v4, v[2:3], off
	global_load_dword v1, v[6:7], off
	;; [unrolled: 1-line block ×3, first 2 shown]
	v_lshrrev_b32_e32 v11, 5, v0
	v_add_lshl_u32 v11, v11, v0, 2
	v_cmp_gt_u32_e32 vcc, 64, v0
	s_waitcnt vmcnt(0)
	v_add3_u32 v10, v1, v4, v10
	ds_write_b32 v11, v10
	s_waitcnt lgkmcnt(0)
	s_barrier
	s_and_saveexec_b64 s[2:3], vcc
	s_cbranch_execz .LBB275_2
; %bb.1:
	v_lshlrev_b32_e32 v11, 2, v0
	v_lshrrev_b32_e32 v12, 3, v0
	v_add_lshl_u32 v11, v12, v11, 2
	ds_read2_b32 v[12:13], v11 offset1:1
	ds_read2_b32 v[14:15], v11 offset0:2 offset1:3
	v_mbcnt_lo_u32_b32 v16, -1, 0
	v_mbcnt_hi_u32_b32 v16, -1, v16
	v_and_b32_e32 v18, 15, v16
	s_waitcnt lgkmcnt(1)
	v_add_u32_e32 v17, v13, v12
	s_waitcnt lgkmcnt(0)
	v_add3_u32 v17, v17, v14, v15
	v_cmp_ne_u32_e64 s[0:1], 0, v18
	s_nop 0
	v_mov_b32_dpp v19, v17 row_shr:1 row_mask:0xf bank_mask:0xf
	v_cndmask_b32_e64 v19, 0, v19, s[0:1]
	v_add_u32_e32 v17, v19, v17
	v_cmp_lt_u32_e64 s[0:1], 1, v18
	s_nop 0
	v_mov_b32_dpp v19, v17 row_shr:2 row_mask:0xf bank_mask:0xf
	v_cndmask_b32_e64 v19, 0, v19, s[0:1]
	v_add_u32_e32 v17, v17, v19
	v_cmp_lt_u32_e64 s[0:1], 3, v18
	;; [unrolled: 5-line block ×3, first 2 shown]
	s_nop 0
	v_mov_b32_dpp v19, v17 row_shr:8 row_mask:0xf bank_mask:0xf
	v_cndmask_b32_e64 v18, 0, v19, s[0:1]
	v_add_u32_e32 v17, v17, v18
	v_bfe_i32 v19, v16, 4, 1
	v_cmp_lt_u32_e64 s[0:1], 31, v16
	v_mov_b32_dpp v18, v17 row_bcast:15 row_mask:0xf bank_mask:0xf
	v_and_b32_e32 v18, v19, v18
	v_add_u32_e32 v17, v17, v18
	v_and_b32_e32 v19, 64, v16
	s_nop 0
	v_mov_b32_dpp v18, v17 row_bcast:31 row_mask:0xf bank_mask:0xf
	v_cndmask_b32_e64 v18, 0, v18, s[0:1]
	v_add_u32_e32 v17, v17, v18
	v_add_u32_e32 v18, -1, v16
	v_cmp_lt_i32_e64 s[0:1], v18, v19
	v_cndmask_b32_e64 v16, v18, v16, s[0:1]
	v_lshlrev_b32_e32 v16, 2, v16
	ds_bpermute_b32 v16, v16, v17
	v_cmp_eq_u32_e64 s[0:1], 0, v0
	s_waitcnt lgkmcnt(0)
	v_add_u32_e32 v12, v16, v12
	v_cndmask_b32_e64 v10, v12, v10, s[0:1]
	v_add_u32_e32 v12, v10, v13
	ds_write2_b32 v11, v10, v12 offset1:1
	v_add_u32_e32 v10, v12, v14
	v_add_u32_e32 v12, v10, v15
	ds_write2_b32 v11, v10, v12 offset0:2 offset1:3
.LBB275_2:
	s_or_b64 exec, exec, s[2:3]
	v_cmp_eq_u32_e64 s[0:1], 0, v0
	v_cmp_ne_u32_e64 s[2:3], 0, v0
	s_waitcnt lgkmcnt(0)
	s_barrier
	s_and_saveexec_b64 s[8:9], s[2:3]
	s_cbranch_execz .LBB275_4
; %bb.3:
	v_add_u32_e32 v0, -1, v0
	v_lshrrev_b32_e32 v5, 5, v0
	v_add_lshl_u32 v0, v5, v0, 2
	ds_read_b32 v5, v0
.LBB275_4:
	s_or_b64 exec, exec, s[8:9]
	s_load_dword s7, s[4:5], 0x10
	s_waitcnt lgkmcnt(0)
	v_mov_b32_e32 v0, s7
	s_and_saveexec_b64 s[2:3], vcc
	s_cbranch_execz .LBB275_8
; %bb.5:
	v_mov_b32_e32 v10, 0
	ds_read_b32 v0, v10 offset:1048
	s_and_saveexec_b64 s[4:5], s[0:1]
	s_cbranch_execz .LBB275_7
; %bb.6:
	v_mov_b32_e32 v11, s7
	ds_write_b32 v10, v11
.LBB275_7:
	s_or_b64 exec, exec, s[4:5]
	s_waitcnt lgkmcnt(0)
	v_add_u32_e32 v0, s7, v0
.LBB275_8:
	s_or_b64 exec, exec, s[2:3]
	v_mov_b32_e32 v10, 0
	s_barrier
	ds_read_b32 v11, v10
	s_waitcnt lgkmcnt(0)
	v_add_u32_e32 v5, v11, v5
	v_add_u32_e32 v4, v5, v4
	global_store_dword v[2:3], v5, off
	v_add_u32_e32 v1, v4, v1
	global_store_dword v[6:7], v4, off
	global_store_dword v[8:9], v1, off
	s_and_saveexec_b64 s[2:3], s[0:1]
	s_cbranch_execz .LBB275_10
; %bb.9:
	s_mov_b32 s7, 0
	s_lshl_b64 s[0:1], s[6:7], 2
	s_add_u32 s0, s10, s0
	s_addc_u32 s1, s11, s1
	global_store_dword v10, v0, s[0:1]
.LBB275_10:
	s_endpgm
	.section	.rodata,"a",@progbits
	.p2align	6, 0x0
	.amdhsa_kernel _Z43exclusive_scan_prefix_callback_array_kernelILj256ELj3ELN6hipcub18BlockScanAlgorithmE1EiEvPT2_S3_S2_
		.amdhsa_group_segment_fixed_size 1056
		.amdhsa_private_segment_fixed_size 0
		.amdhsa_kernarg_size 20
		.amdhsa_user_sgpr_count 6
		.amdhsa_user_sgpr_private_segment_buffer 1
		.amdhsa_user_sgpr_dispatch_ptr 0
		.amdhsa_user_sgpr_queue_ptr 0
		.amdhsa_user_sgpr_kernarg_segment_ptr 1
		.amdhsa_user_sgpr_dispatch_id 0
		.amdhsa_user_sgpr_flat_scratch_init 0
		.amdhsa_user_sgpr_kernarg_preload_length 0
		.amdhsa_user_sgpr_kernarg_preload_offset 0
		.amdhsa_user_sgpr_private_segment_size 0
		.amdhsa_uses_dynamic_stack 0
		.amdhsa_system_sgpr_private_segment_wavefront_offset 0
		.amdhsa_system_sgpr_workgroup_id_x 1
		.amdhsa_system_sgpr_workgroup_id_y 0
		.amdhsa_system_sgpr_workgroup_id_z 0
		.amdhsa_system_sgpr_workgroup_info 0
		.amdhsa_system_vgpr_workitem_id 0
		.amdhsa_next_free_vgpr 20
		.amdhsa_next_free_sgpr 12
		.amdhsa_accum_offset 20
		.amdhsa_reserve_vcc 1
		.amdhsa_reserve_flat_scratch 0
		.amdhsa_float_round_mode_32 0
		.amdhsa_float_round_mode_16_64 0
		.amdhsa_float_denorm_mode_32 3
		.amdhsa_float_denorm_mode_16_64 3
		.amdhsa_dx10_clamp 1
		.amdhsa_ieee_mode 1
		.amdhsa_fp16_overflow 0
		.amdhsa_tg_split 0
		.amdhsa_exception_fp_ieee_invalid_op 0
		.amdhsa_exception_fp_denorm_src 0
		.amdhsa_exception_fp_ieee_div_zero 0
		.amdhsa_exception_fp_ieee_overflow 0
		.amdhsa_exception_fp_ieee_underflow 0
		.amdhsa_exception_fp_ieee_inexact 0
		.amdhsa_exception_int_div_zero 0
	.end_amdhsa_kernel
	.section	.text._Z43exclusive_scan_prefix_callback_array_kernelILj256ELj3ELN6hipcub18BlockScanAlgorithmE1EiEvPT2_S3_S2_,"axG",@progbits,_Z43exclusive_scan_prefix_callback_array_kernelILj256ELj3ELN6hipcub18BlockScanAlgorithmE1EiEvPT2_S3_S2_,comdat
.Lfunc_end275:
	.size	_Z43exclusive_scan_prefix_callback_array_kernelILj256ELj3ELN6hipcub18BlockScanAlgorithmE1EiEvPT2_S3_S2_, .Lfunc_end275-_Z43exclusive_scan_prefix_callback_array_kernelILj256ELj3ELN6hipcub18BlockScanAlgorithmE1EiEvPT2_S3_S2_
                                        ; -- End function
	.section	.AMDGPU.csdata,"",@progbits
; Kernel info:
; codeLenInByte = 744
; NumSgprs: 16
; NumVgprs: 20
; NumAgprs: 0
; TotalNumVgprs: 20
; ScratchSize: 0
; MemoryBound: 0
; FloatMode: 240
; IeeeMode: 1
; LDSByteSize: 1056 bytes/workgroup (compile time only)
; SGPRBlocks: 1
; VGPRBlocks: 2
; NumSGPRsForWavesPerEU: 16
; NumVGPRsForWavesPerEU: 20
; AccumOffset: 20
; Occupancy: 8
; WaveLimiterHint : 0
; COMPUTE_PGM_RSRC2:SCRATCH_EN: 0
; COMPUTE_PGM_RSRC2:USER_SGPR: 6
; COMPUTE_PGM_RSRC2:TRAP_HANDLER: 0
; COMPUTE_PGM_RSRC2:TGID_X_EN: 1
; COMPUTE_PGM_RSRC2:TGID_Y_EN: 0
; COMPUTE_PGM_RSRC2:TGID_Z_EN: 0
; COMPUTE_PGM_RSRC2:TIDIG_COMP_CNT: 0
; COMPUTE_PGM_RSRC3_GFX90A:ACCUM_OFFSET: 4
; COMPUTE_PGM_RSRC3_GFX90A:TG_SPLIT: 0
	.section	.text._Z43exclusive_scan_prefix_callback_array_kernelILj32ELj2ELN6hipcub18BlockScanAlgorithmE1EfEvPT2_S3_S2_,"axG",@progbits,_Z43exclusive_scan_prefix_callback_array_kernelILj32ELj2ELN6hipcub18BlockScanAlgorithmE1EfEvPT2_S3_S2_,comdat
	.protected	_Z43exclusive_scan_prefix_callback_array_kernelILj32ELj2ELN6hipcub18BlockScanAlgorithmE1EfEvPT2_S3_S2_ ; -- Begin function _Z43exclusive_scan_prefix_callback_array_kernelILj32ELj2ELN6hipcub18BlockScanAlgorithmE1EfEvPT2_S3_S2_
	.globl	_Z43exclusive_scan_prefix_callback_array_kernelILj32ELj2ELN6hipcub18BlockScanAlgorithmE1EfEvPT2_S3_S2_
	.p2align	8
	.type	_Z43exclusive_scan_prefix_callback_array_kernelILj32ELj2ELN6hipcub18BlockScanAlgorithmE1EfEvPT2_S3_S2_,@function
_Z43exclusive_scan_prefix_callback_array_kernelILj32ELj2ELN6hipcub18BlockScanAlgorithmE1EfEvPT2_S3_S2_: ; @_Z43exclusive_scan_prefix_callback_array_kernelILj32ELj2ELN6hipcub18BlockScanAlgorithmE1EfEvPT2_S3_S2_
; %bb.0:
	s_load_dwordx4 s[0:3], s[4:5], 0x0
	v_lshlrev_b32_e32 v1, 1, v0
	v_lshl_or_b32 v6, s6, 6, v1
	v_mov_b32_e32 v7, 0
	v_lshlrev_b64 v[2:3], 2, v[6:7]
	s_waitcnt lgkmcnt(0)
	v_mov_b32_e32 v1, s1
	v_add_co_u32_e32 v2, vcc, s0, v2
	v_addc_co_u32_e32 v3, vcc, v1, v3, vcc
	global_load_dwordx2 v[4:5], v[2:3], off
	v_mbcnt_lo_u32_b32 v1, -1, 0
	v_mbcnt_hi_u32_b32 v1, -1, v1
	v_and_b32_e32 v6, 15, v1
	v_cmp_eq_u32_e32 vcc, 0, v6
	v_and_b32_e32 v8, 16, v1
	s_waitcnt vmcnt(0)
	v_add_f32_e32 v5, v4, v5
	s_nop 1
	v_mov_b32_dpp v9, v5 row_shr:1 row_mask:0xf bank_mask:0xf
	v_add_f32_e32 v9, v5, v9
	v_cndmask_b32_e32 v5, v9, v5, vcc
	v_cmp_lt_u32_e32 vcc, 1, v6
	s_nop 0
	v_mov_b32_dpp v9, v5 row_shr:2 row_mask:0xf bank_mask:0xf
	v_add_f32_e32 v9, v5, v9
	v_cndmask_b32_e32 v5, v5, v9, vcc
	v_cmp_lt_u32_e32 vcc, 3, v6
	;; [unrolled: 5-line block ×3, first 2 shown]
	s_nop 0
	v_mov_b32_dpp v9, v5 row_shr:8 row_mask:0xf bank_mask:0xf
	v_add_f32_e32 v9, v5, v9
	v_cndmask_b32_e32 v5, v5, v9, vcc
	v_cmp_eq_u32_e32 vcc, 0, v8
	s_nop 0
	v_mov_b32_dpp v6, v5 row_bcast:15 row_mask:0xf bank_mask:0xf
	v_add_f32_e32 v6, v5, v6
	v_cndmask_b32_e32 v5, v6, v5, vcc
	v_cmp_eq_u32_e32 vcc, 31, v0
	s_and_saveexec_b64 s[0:1], vcc
	s_cbranch_execz .LBB276_2
; %bb.1:
	ds_write_b32 v7, v5
.LBB276_2:
	s_or_b64 exec, exec, s[0:1]
	v_add_u32_e32 v6, -1, v1
	v_and_b32_e32 v7, 0x60, v1
	v_cmp_lt_i32_e32 vcc, v6, v7
	v_cndmask_b32_e32 v1, v6, v1, vcc
	s_load_dword s7, s[4:5], 0x10
	v_lshlrev_b32_e32 v1, 2, v1
	ds_bpermute_b32 v5, v1, v5
	v_cmp_gt_u32_e32 vcc, 64, v0
	s_waitcnt lgkmcnt(0)
	v_mov_b32_e32 v1, s7
	; wave barrier
	s_and_saveexec_b64 s[0:1], vcc
	s_cbranch_execz .LBB276_6
; %bb.3:
	v_mov_b32_e32 v6, 0
	ds_read_b32 v1, v6
	v_cmp_eq_u32_e32 vcc, 0, v0
	s_and_saveexec_b64 s[4:5], vcc
	s_cbranch_execz .LBB276_5
; %bb.4:
	v_mov_b32_e32 v7, s7
	ds_write_b32 v6, v7
.LBB276_5:
	s_or_b64 exec, exec, s[4:5]
	s_waitcnt lgkmcnt(0)
	v_add_f32_e32 v1, s7, v1
.LBB276_6:
	s_or_b64 exec, exec, s[0:1]
	v_mov_b32_e32 v6, 0
	s_waitcnt lgkmcnt(0)
	; wave barrier
	ds_read_b32 v7, v6
	v_cmp_eq_u32_e32 vcc, 0, v0
	s_mov_b32 s7, 0
	s_waitcnt lgkmcnt(0)
	v_add_f32_e32 v5, v7, v5
	v_cndmask_b32_e32 v8, v5, v7, vcc
	v_add_f32_e32 v9, v4, v8
	global_store_dwordx2 v[2:3], v[8:9], off
	s_and_saveexec_b64 s[0:1], vcc
	s_cbranch_execz .LBB276_8
; %bb.7:
	s_lshl_b64 s[0:1], s[6:7], 2
	s_add_u32 s0, s2, s0
	s_addc_u32 s1, s3, s1
	global_store_dword v6, v1, s[0:1]
.LBB276_8:
	s_endpgm
	.section	.rodata,"a",@progbits
	.p2align	6, 0x0
	.amdhsa_kernel _Z43exclusive_scan_prefix_callback_array_kernelILj32ELj2ELN6hipcub18BlockScanAlgorithmE1EfEvPT2_S3_S2_
		.amdhsa_group_segment_fixed_size 4
		.amdhsa_private_segment_fixed_size 0
		.amdhsa_kernarg_size 20
		.amdhsa_user_sgpr_count 6
		.amdhsa_user_sgpr_private_segment_buffer 1
		.amdhsa_user_sgpr_dispatch_ptr 0
		.amdhsa_user_sgpr_queue_ptr 0
		.amdhsa_user_sgpr_kernarg_segment_ptr 1
		.amdhsa_user_sgpr_dispatch_id 0
		.amdhsa_user_sgpr_flat_scratch_init 0
		.amdhsa_user_sgpr_kernarg_preload_length 0
		.amdhsa_user_sgpr_kernarg_preload_offset 0
		.amdhsa_user_sgpr_private_segment_size 0
		.amdhsa_uses_dynamic_stack 0
		.amdhsa_system_sgpr_private_segment_wavefront_offset 0
		.amdhsa_system_sgpr_workgroup_id_x 1
		.amdhsa_system_sgpr_workgroup_id_y 0
		.amdhsa_system_sgpr_workgroup_id_z 0
		.amdhsa_system_sgpr_workgroup_info 0
		.amdhsa_system_vgpr_workitem_id 0
		.amdhsa_next_free_vgpr 10
		.amdhsa_next_free_sgpr 8
		.amdhsa_accum_offset 12
		.amdhsa_reserve_vcc 1
		.amdhsa_reserve_flat_scratch 0
		.amdhsa_float_round_mode_32 0
		.amdhsa_float_round_mode_16_64 0
		.amdhsa_float_denorm_mode_32 3
		.amdhsa_float_denorm_mode_16_64 3
		.amdhsa_dx10_clamp 1
		.amdhsa_ieee_mode 1
		.amdhsa_fp16_overflow 0
		.amdhsa_tg_split 0
		.amdhsa_exception_fp_ieee_invalid_op 0
		.amdhsa_exception_fp_denorm_src 0
		.amdhsa_exception_fp_ieee_div_zero 0
		.amdhsa_exception_fp_ieee_overflow 0
		.amdhsa_exception_fp_ieee_underflow 0
		.amdhsa_exception_fp_ieee_inexact 0
		.amdhsa_exception_int_div_zero 0
	.end_amdhsa_kernel
	.section	.text._Z43exclusive_scan_prefix_callback_array_kernelILj32ELj2ELN6hipcub18BlockScanAlgorithmE1EfEvPT2_S3_S2_,"axG",@progbits,_Z43exclusive_scan_prefix_callback_array_kernelILj32ELj2ELN6hipcub18BlockScanAlgorithmE1EfEvPT2_S3_S2_,comdat
.Lfunc_end276:
	.size	_Z43exclusive_scan_prefix_callback_array_kernelILj32ELj2ELN6hipcub18BlockScanAlgorithmE1EfEvPT2_S3_S2_, .Lfunc_end276-_Z43exclusive_scan_prefix_callback_array_kernelILj32ELj2ELN6hipcub18BlockScanAlgorithmE1EfEvPT2_S3_S2_
                                        ; -- End function
	.section	.AMDGPU.csdata,"",@progbits
; Kernel info:
; codeLenInByte = 424
; NumSgprs: 12
; NumVgprs: 10
; NumAgprs: 0
; TotalNumVgprs: 10
; ScratchSize: 0
; MemoryBound: 0
; FloatMode: 240
; IeeeMode: 1
; LDSByteSize: 4 bytes/workgroup (compile time only)
; SGPRBlocks: 1
; VGPRBlocks: 1
; NumSGPRsForWavesPerEU: 12
; NumVGPRsForWavesPerEU: 10
; AccumOffset: 12
; Occupancy: 8
; WaveLimiterHint : 0
; COMPUTE_PGM_RSRC2:SCRATCH_EN: 0
; COMPUTE_PGM_RSRC2:USER_SGPR: 6
; COMPUTE_PGM_RSRC2:TRAP_HANDLER: 0
; COMPUTE_PGM_RSRC2:TGID_X_EN: 1
; COMPUTE_PGM_RSRC2:TGID_Y_EN: 0
; COMPUTE_PGM_RSRC2:TGID_Z_EN: 0
; COMPUTE_PGM_RSRC2:TIDIG_COMP_CNT: 0
; COMPUTE_PGM_RSRC3_GFX90A:ACCUM_OFFSET: 2
; COMPUTE_PGM_RSRC3_GFX90A:TG_SPLIT: 0
	.section	.text._Z43exclusive_scan_prefix_callback_array_kernelILj6ELj32ELN6hipcub18BlockScanAlgorithmE1EfEvPT2_S3_S2_,"axG",@progbits,_Z43exclusive_scan_prefix_callback_array_kernelILj6ELj32ELN6hipcub18BlockScanAlgorithmE1EfEvPT2_S3_S2_,comdat
	.protected	_Z43exclusive_scan_prefix_callback_array_kernelILj6ELj32ELN6hipcub18BlockScanAlgorithmE1EfEvPT2_S3_S2_ ; -- Begin function _Z43exclusive_scan_prefix_callback_array_kernelILj6ELj32ELN6hipcub18BlockScanAlgorithmE1EfEvPT2_S3_S2_
	.globl	_Z43exclusive_scan_prefix_callback_array_kernelILj6ELj32ELN6hipcub18BlockScanAlgorithmE1EfEvPT2_S3_S2_
	.p2align	8
	.type	_Z43exclusive_scan_prefix_callback_array_kernelILj6ELj32ELN6hipcub18BlockScanAlgorithmE1EfEvPT2_S3_S2_,@function
_Z43exclusive_scan_prefix_callback_array_kernelILj6ELj32ELN6hipcub18BlockScanAlgorithmE1EfEvPT2_S3_S2_: ; @_Z43exclusive_scan_prefix_callback_array_kernelILj6ELj32ELN6hipcub18BlockScanAlgorithmE1EfEvPT2_S3_S2_
; %bb.0:
	s_load_dwordx4 s[0:3], s[4:5], 0x0
	s_mul_i32 s7, s6, 6
	v_add_lshl_u32 v36, s7, v0, 5
	v_mov_b32_e32 v37, 0
	v_lshlrev_b64 v[2:3], 2, v[36:37]
	s_waitcnt lgkmcnt(0)
	v_mov_b32_e32 v1, s1
	v_add_co_u32_e32 v34, vcc, s0, v2
	v_addc_co_u32_e32 v35, vcc, v1, v3, vcc
	global_load_dwordx4 v[30:33], v[34:35], off
	global_load_dwordx4 v[26:29], v[34:35], off offset:16
	global_load_dwordx4 v[22:25], v[34:35], off offset:32
	;; [unrolled: 1-line block ×7, first 2 shown]
	v_mbcnt_lo_u32_b32 v1, -1, 0
	v_mbcnt_hi_u32_b32 v1, -1, v1
	v_and_b32_e32 v36, 7, v1
	v_cmp_eq_u32_e32 vcc, 0, v36
	s_waitcnt vmcnt(7)
	v_add_f32_e32 v38, v30, v31
	v_add_f32_e32 v38, v38, v32
	v_add_f32_e32 v38, v38, v33
	s_waitcnt vmcnt(6)
	v_add_f32_e32 v38, v38, v26
	v_add_f32_e32 v38, v38, v27
	v_add_f32_e32 v38, v38, v28
	v_add_f32_e32 v38, v38, v29
	s_waitcnt vmcnt(5)
	v_add_f32_e32 v38, v38, v22
	;; [unrolled: 5-line block ×7, first 2 shown]
	v_add_f32_e32 v38, v38, v3
	v_add_f32_e32 v38, v38, v4
	;; [unrolled: 1-line block ×3, first 2 shown]
	s_nop 1
	v_mov_b32_dpp v38, v5 row_shr:1 row_mask:0xf bank_mask:0xf
	v_add_f32_e32 v38, v5, v38
	v_cndmask_b32_e32 v5, v38, v5, vcc
	v_cmp_lt_u32_e32 vcc, 1, v36
	s_nop 0
	v_mov_b32_dpp v38, v5 row_shr:2 row_mask:0xf bank_mask:0xf
	v_add_f32_e32 v38, v5, v38
	v_cndmask_b32_e32 v5, v5, v38, vcc
	v_cmp_lt_u32_e32 vcc, 3, v36
	s_nop 0
	v_mov_b32_dpp v38, v5 row_shr:4 row_mask:0xf bank_mask:0xf
	v_add_f32_e32 v38, v5, v38
	v_cndmask_b32_e32 v5, v5, v38, vcc
	v_cmp_eq_u32_e32 vcc, 5, v0
	s_and_saveexec_b64 s[0:1], vcc
	s_cbranch_execz .LBB277_2
; %bb.1:
	ds_write_b32 v37, v5
.LBB277_2:
	s_or_b64 exec, exec, s[0:1]
	v_add_u32_e32 v36, -1, v1
	v_and_b32_e32 v37, 0x78, v1
	v_cmp_lt_i32_e32 vcc, v36, v37
	v_cndmask_b32_e32 v1, v36, v1, vcc
	s_load_dword s7, s[4:5], 0x10
	v_lshlrev_b32_e32 v1, 2, v1
	ds_bpermute_b32 v36, v1, v5
	v_cmp_gt_u32_e32 vcc, 64, v0
	s_waitcnt lgkmcnt(0)
	v_mov_b32_e32 v1, s7
	; wave barrier
	s_and_saveexec_b64 s[0:1], vcc
	s_cbranch_execz .LBB277_6
; %bb.3:
	v_mov_b32_e32 v5, 0
	ds_read_b32 v1, v5
	v_cmp_eq_u32_e32 vcc, 0, v0
	s_and_saveexec_b64 s[4:5], vcc
	s_cbranch_execz .LBB277_5
; %bb.4:
	v_mov_b32_e32 v37, s7
	ds_write_b32 v5, v37
.LBB277_5:
	s_or_b64 exec, exec, s[4:5]
	s_waitcnt lgkmcnt(0)
	v_add_f32_e32 v1, s7, v1
.LBB277_6:
	s_or_b64 exec, exec, s[0:1]
	v_mov_b32_e32 v5, 0
	s_waitcnt lgkmcnt(0)
	; wave barrier
	ds_read_b32 v37, v5
	v_cmp_eq_u32_e32 vcc, 0, v0
	s_mov_b32 s7, 0
	s_waitcnt lgkmcnt(0)
	v_add_f32_e32 v36, v37, v36
	v_cndmask_b32_e32 v36, v36, v37, vcc
	v_add_f32_e32 v37, v30, v36
	v_add_f32_e32 v38, v31, v37
	;; [unrolled: 1-line block ×31, first 2 shown]
	global_store_dwordx4 v[34:35], v[36:39], off
	global_store_dwordx4 v[34:35], v[30:33], off offset:16
	global_store_dwordx4 v[34:35], v[26:29], off offset:32
	global_store_dwordx4 v[34:35], v[22:25], off offset:48
	global_store_dwordx4 v[34:35], v[14:17], off offset:64
	global_store_dwordx4 v[34:35], v[18:21], off offset:80
	global_store_dwordx4 v[34:35], v[10:13], off offset:96
	global_store_dwordx4 v[34:35], v[6:9], off offset:112
	s_and_saveexec_b64 s[0:1], vcc
	s_cbranch_execz .LBB277_8
; %bb.7:
	s_lshl_b64 s[0:1], s[6:7], 2
	s_add_u32 s0, s2, s0
	s_addc_u32 s1, s3, s1
	global_store_dword v5, v1, s[0:1]
.LBB277_8:
	s_endpgm
	.section	.rodata,"a",@progbits
	.p2align	6, 0x0
	.amdhsa_kernel _Z43exclusive_scan_prefix_callback_array_kernelILj6ELj32ELN6hipcub18BlockScanAlgorithmE1EfEvPT2_S3_S2_
		.amdhsa_group_segment_fixed_size 4
		.amdhsa_private_segment_fixed_size 0
		.amdhsa_kernarg_size 20
		.amdhsa_user_sgpr_count 6
		.amdhsa_user_sgpr_private_segment_buffer 1
		.amdhsa_user_sgpr_dispatch_ptr 0
		.amdhsa_user_sgpr_queue_ptr 0
		.amdhsa_user_sgpr_kernarg_segment_ptr 1
		.amdhsa_user_sgpr_dispatch_id 0
		.amdhsa_user_sgpr_flat_scratch_init 0
		.amdhsa_user_sgpr_kernarg_preload_length 0
		.amdhsa_user_sgpr_kernarg_preload_offset 0
		.amdhsa_user_sgpr_private_segment_size 0
		.amdhsa_uses_dynamic_stack 0
		.amdhsa_system_sgpr_private_segment_wavefront_offset 0
		.amdhsa_system_sgpr_workgroup_id_x 1
		.amdhsa_system_sgpr_workgroup_id_y 0
		.amdhsa_system_sgpr_workgroup_id_z 0
		.amdhsa_system_sgpr_workgroup_info 0
		.amdhsa_system_vgpr_workitem_id 0
		.amdhsa_next_free_vgpr 40
		.amdhsa_next_free_sgpr 8
		.amdhsa_accum_offset 40
		.amdhsa_reserve_vcc 1
		.amdhsa_reserve_flat_scratch 0
		.amdhsa_float_round_mode_32 0
		.amdhsa_float_round_mode_16_64 0
		.amdhsa_float_denorm_mode_32 3
		.amdhsa_float_denorm_mode_16_64 3
		.amdhsa_dx10_clamp 1
		.amdhsa_ieee_mode 1
		.amdhsa_fp16_overflow 0
		.amdhsa_tg_split 0
		.amdhsa_exception_fp_ieee_invalid_op 0
		.amdhsa_exception_fp_denorm_src 0
		.amdhsa_exception_fp_ieee_div_zero 0
		.amdhsa_exception_fp_ieee_overflow 0
		.amdhsa_exception_fp_ieee_underflow 0
		.amdhsa_exception_fp_ieee_inexact 0
		.amdhsa_exception_int_div_zero 0
	.end_amdhsa_kernel
	.section	.text._Z43exclusive_scan_prefix_callback_array_kernelILj6ELj32ELN6hipcub18BlockScanAlgorithmE1EfEvPT2_S3_S2_,"axG",@progbits,_Z43exclusive_scan_prefix_callback_array_kernelILj6ELj32ELN6hipcub18BlockScanAlgorithmE1EfEvPT2_S3_S2_,comdat
.Lfunc_end277:
	.size	_Z43exclusive_scan_prefix_callback_array_kernelILj6ELj32ELN6hipcub18BlockScanAlgorithmE1EfEvPT2_S3_S2_, .Lfunc_end277-_Z43exclusive_scan_prefix_callback_array_kernelILj6ELj32ELN6hipcub18BlockScanAlgorithmE1EfEvPT2_S3_S2_
                                        ; -- End function
	.section	.AMDGPU.csdata,"",@progbits
; Kernel info:
; codeLenInByte = 752
; NumSgprs: 12
; NumVgprs: 40
; NumAgprs: 0
; TotalNumVgprs: 40
; ScratchSize: 0
; MemoryBound: 0
; FloatMode: 240
; IeeeMode: 1
; LDSByteSize: 4 bytes/workgroup (compile time only)
; SGPRBlocks: 1
; VGPRBlocks: 4
; NumSGPRsForWavesPerEU: 12
; NumVGPRsForWavesPerEU: 40
; AccumOffset: 40
; Occupancy: 8
; WaveLimiterHint : 0
; COMPUTE_PGM_RSRC2:SCRATCH_EN: 0
; COMPUTE_PGM_RSRC2:USER_SGPR: 6
; COMPUTE_PGM_RSRC2:TRAP_HANDLER: 0
; COMPUTE_PGM_RSRC2:TGID_X_EN: 1
; COMPUTE_PGM_RSRC2:TGID_Y_EN: 0
; COMPUTE_PGM_RSRC2:TGID_Z_EN: 0
; COMPUTE_PGM_RSRC2:TIDIG_COMP_CNT: 0
; COMPUTE_PGM_RSRC3_GFX90A:ACCUM_OFFSET: 9
; COMPUTE_PGM_RSRC3_GFX90A:TG_SPLIT: 0
	.section	.text._Z43exclusive_scan_prefix_callback_array_kernelILj16ELj5ELN6hipcub18BlockScanAlgorithmE0E12hip_bfloat16EvPT2_S4_S3_,"axG",@progbits,_Z43exclusive_scan_prefix_callback_array_kernelILj16ELj5ELN6hipcub18BlockScanAlgorithmE0E12hip_bfloat16EvPT2_S4_S3_,comdat
	.protected	_Z43exclusive_scan_prefix_callback_array_kernelILj16ELj5ELN6hipcub18BlockScanAlgorithmE0E12hip_bfloat16EvPT2_S4_S3_ ; -- Begin function _Z43exclusive_scan_prefix_callback_array_kernelILj16ELj5ELN6hipcub18BlockScanAlgorithmE0E12hip_bfloat16EvPT2_S4_S3_
	.globl	_Z43exclusive_scan_prefix_callback_array_kernelILj16ELj5ELN6hipcub18BlockScanAlgorithmE0E12hip_bfloat16EvPT2_S4_S3_
	.p2align	8
	.type	_Z43exclusive_scan_prefix_callback_array_kernelILj16ELj5ELN6hipcub18BlockScanAlgorithmE0E12hip_bfloat16EvPT2_S4_S3_,@function
_Z43exclusive_scan_prefix_callback_array_kernelILj16ELj5ELN6hipcub18BlockScanAlgorithmE0E12hip_bfloat16EvPT2_S4_S3_: ; @_Z43exclusive_scan_prefix_callback_array_kernelILj16ELj5ELN6hipcub18BlockScanAlgorithmE0E12hip_bfloat16EvPT2_S4_S3_
; %bb.0:
	s_load_dwordx4 s[0:3], s[4:5], 0x0
	v_lshl_or_b32 v1, s6, 4, v0
	v_lshl_add_u32 v8, v1, 2, v1
	v_mov_b32_e32 v9, 0
	v_lshlrev_b64 v[2:3], 1, v[8:9]
	s_waitcnt lgkmcnt(0)
	v_mov_b32_e32 v1, s1
	v_add_co_u32_e32 v2, vcc, s0, v2
	v_add_u32_e32 v4, 1, v8
	v_mov_b32_e32 v5, v9
	v_addc_co_u32_e32 v3, vcc, v1, v3, vcc
	v_lshlrev_b64 v[4:5], 1, v[4:5]
	v_add_co_u32_e32 v4, vcc, s0, v4
	v_add_u32_e32 v6, 3, v8
	v_mov_b32_e32 v7, v9
	v_addc_co_u32_e32 v5, vcc, v1, v5, vcc
	v_lshlrev_b64 v[6:7], 1, v[6:7]
	v_add_u32_e32 v10, 2, v8
	v_add_co_u32_e32 v6, vcc, s0, v6
	v_add_u32_e32 v8, 4, v8
	v_mov_b32_e32 v11, v9
	v_addc_co_u32_e32 v7, vcc, v1, v7, vcc
	v_lshlrev_b64 v[8:9], 1, v[8:9]
	v_add_co_u32_e32 v8, vcc, s0, v8
	v_addc_co_u32_e32 v9, vcc, v1, v9, vcc
	global_load_ushort v16, v[6:7], off
	global_load_ushort v1, v[8:9], off
	;; [unrolled: 1-line block ×4, first 2 shown]
	v_lshlrev_b64 v[10:11], 1, v[10:11]
	v_mov_b32_e32 v14, s1
	v_add_co_u32_e32 v10, vcc, s0, v10
	v_addc_co_u32_e32 v11, vcc, v14, v11, vcc
	global_load_ushort v17, v[10:11], off
	s_mov_b32 s0, 0x7f800000
                                        ; implicit-def: $vgpr18
	s_waitcnt vmcnt(2)
	v_lshlrev_b32_e32 v13, 16, v13
	s_waitcnt vmcnt(1)
	v_lshlrev_b32_e32 v12, 16, v12
	v_mov_b32_e32 v14, v13
	v_pk_add_f32 v[14:15], v[14:15], v[12:13] op_sel_hi:[0,1]
	v_and_b32_e32 v15, 0x7f800000, v14
	v_cmp_ne_u32_e32 vcc, s0, v15
	s_and_saveexec_b64 s[0:1], vcc
	s_xor_b64 s[0:1], exec, s[0:1]
; %bb.1:
	v_bfe_u32 v15, v14, 16, 1
	s_movk_i32 s7, 0x7fff
	v_add3_u32 v18, v14, v15, s7
                                        ; implicit-def: $vgpr14_vgpr15
; %bb.2:
	s_andn2_saveexec_b64 s[0:1], s[0:1]
; %bb.3:
	v_mov_b32_e32 v15, 0
	v_or_b32_e32 v18, 0x10000, v14
	v_cmp_eq_u32_sdwa vcc, v14, v15 src0_sel:WORD_0 src1_sel:DWORD
	v_cndmask_b32_e32 v18, v18, v14, vcc
; %bb.4:
	s_or_b64 exec, exec, s[0:1]
	v_and_b32_e32 v15, 0xffff0000, v18
	s_waitcnt vmcnt(0)
	v_lshlrev_b32_e32 v14, 16, v17
	v_add_f32_e32 v15, v15, v14
	s_mov_b32 s0, 0x7f800000
	v_and_b32_e32 v17, 0x7f800000, v15
	v_cmp_ne_u32_e32 vcc, s0, v17
                                        ; implicit-def: $vgpr17
	s_and_saveexec_b64 s[0:1], vcc
	s_xor_b64 s[0:1], exec, s[0:1]
; %bb.5:
	v_bfe_u32 v17, v15, 16, 1
	s_movk_i32 s7, 0x7fff
	v_add3_u32 v17, v15, v17, s7
                                        ; implicit-def: $vgpr15
; %bb.6:
	s_andn2_saveexec_b64 s[0:1], s[0:1]
; %bb.7:
	v_mov_b32_e32 v17, 0
	v_or_b32_e32 v18, 0x10000, v15
	v_cmp_eq_u32_sdwa vcc, v15, v17 src0_sel:WORD_0 src1_sel:DWORD
	v_cndmask_b32_e32 v17, v18, v15, vcc
; %bb.8:
	s_or_b64 exec, exec, s[0:1]
	v_and_b32_e32 v17, 0xffff0000, v17
	v_lshlrev_b32_e32 v15, 16, v16
	v_add_f32_e32 v16, v17, v15
	s_mov_b32 s0, 0x7f800000
	v_and_b32_e32 v17, 0x7f800000, v16
	v_cmp_ne_u32_e32 vcc, s0, v17
                                        ; implicit-def: $vgpr17
	s_and_saveexec_b64 s[0:1], vcc
	s_xor_b64 s[0:1], exec, s[0:1]
; %bb.9:
	v_bfe_u32 v17, v16, 16, 1
	s_movk_i32 s7, 0x7fff
	v_add3_u32 v17, v16, v17, s7
                                        ; implicit-def: $vgpr16
; %bb.10:
	s_andn2_saveexec_b64 s[0:1], s[0:1]
; %bb.11:
	v_mov_b32_e32 v17, 0
	v_or_b32_e32 v18, 0x10000, v16
	v_cmp_eq_u32_sdwa vcc, v16, v17 src0_sel:WORD_0 src1_sel:DWORD
	v_cndmask_b32_e32 v17, v18, v16, vcc
; %bb.12:
	s_or_b64 exec, exec, s[0:1]
	v_and_b32_e32 v16, 0xffff0000, v17
	v_lshlrev_b32_e32 v1, 16, v1
	v_add_f32_e32 v1, v16, v1
	s_mov_b32 s0, 0x7f800000
	v_and_b32_e32 v16, 0x7f800000, v1
	v_cmp_ne_u32_e32 vcc, s0, v16
                                        ; implicit-def: $vgpr16
	s_and_saveexec_b64 s[0:1], vcc
	s_xor_b64 s[0:1], exec, s[0:1]
; %bb.13:
	v_bfe_u32 v16, v1, 16, 1
	s_movk_i32 s7, 0x7fff
	v_add3_u32 v16, v1, v16, s7
                                        ; implicit-def: $vgpr1
; %bb.14:
	s_andn2_saveexec_b64 s[0:1], s[0:1]
; %bb.15:
	v_mov_b32_e32 v16, 0
	v_or_b32_e32 v17, 0x10000, v1
	v_cmp_eq_u32_sdwa vcc, v1, v16 src0_sel:WORD_0 src1_sel:DWORD
	v_cndmask_b32_e32 v16, v17, v1, vcc
; %bb.16:
	s_or_b64 exec, exec, s[0:1]
	v_lshrrev_b32_e32 v17, 16, v16
	v_and_b32_e32 v18, 0xffff0000, v16
	s_mov_b32 s0, 0x7f800000
	v_mov_b32_dpp v1, v17 row_shr:1 row_mask:0xf bank_mask:0xf
	v_lshlrev_b32_e32 v1, 16, v1
	v_add_f32_e32 v1, v18, v1
	v_and_b32_e32 v16, 0x7f800000, v1
	v_cmp_ne_u32_e32 vcc, s0, v16
                                        ; implicit-def: $vgpr19
	s_and_saveexec_b64 s[0:1], vcc
	s_xor_b64 s[0:1], exec, s[0:1]
; %bb.17:
	v_bfe_u32 v16, v1, 16, 1
	s_movk_i32 s7, 0x7fff
	v_add3_u32 v19, v1, v16, s7
                                        ; implicit-def: $vgpr1
; %bb.18:
	s_andn2_saveexec_b64 s[0:1], s[0:1]
; %bb.19:
	v_mov_b32_e32 v16, 0
	v_or_b32_e32 v19, 0x10000, v1
	v_cmp_eq_u32_sdwa vcc, v1, v16 src0_sel:WORD_0 src1_sel:DWORD
	v_cndmask_b32_e32 v19, v19, v1, vcc
; %bb.20:
	s_or_b64 exec, exec, s[0:1]
	v_mbcnt_lo_u32_b32 v1, -1, 0
	v_mbcnt_hi_u32_b32 v1, -1, v1
	v_and_b32_e32 v16, 15, v1
	v_lshrrev_b32_e32 v20, 16, v19
	v_cmp_eq_u32_e32 vcc, 0, v16
	v_and_b32_e32 v19, 0xffff0000, v19
	v_cndmask_b32_e32 v17, v20, v17, vcc
	v_cndmask_b32_e32 v18, v19, v18, vcc
	s_mov_b32 s0, 0x7f800000
	v_mov_b32_dpp v19, v17 row_shr:2 row_mask:0xf bank_mask:0xf
	v_lshlrev_b32_e32 v19, 16, v19
	v_add_f32_e32 v19, v18, v19
	v_and_b32_e32 v20, 0x7f800000, v19
	v_cmp_ne_u32_e32 vcc, s0, v20
                                        ; implicit-def: $vgpr20
	s_and_saveexec_b64 s[0:1], vcc
	s_xor_b64 s[0:1], exec, s[0:1]
; %bb.21:
	v_bfe_u32 v20, v19, 16, 1
	s_movk_i32 s7, 0x7fff
	v_add3_u32 v20, v19, v20, s7
                                        ; implicit-def: $vgpr19
; %bb.22:
	s_andn2_saveexec_b64 s[0:1], s[0:1]
; %bb.23:
	v_mov_b32_e32 v20, 0
	v_or_b32_e32 v21, 0x10000, v19
	v_cmp_eq_u32_sdwa vcc, v19, v20 src0_sel:WORD_0 src1_sel:DWORD
	v_cndmask_b32_e32 v20, v21, v19, vcc
; %bb.24:
	s_or_b64 exec, exec, s[0:1]
	v_lshrrev_b32_e32 v19, 16, v20
	v_cmp_lt_u32_e32 vcc, 1, v16
	v_cndmask_b32_e32 v17, v17, v19, vcc
	v_and_b32_e32 v20, 0xffff0000, v20
	v_cndmask_b32_e32 v18, v18, v20, vcc
	v_mov_b32_dpp v19, v17 row_shr:4 row_mask:0xf bank_mask:0xf
	v_lshlrev_b32_e32 v19, 16, v19
	v_add_f32_e32 v19, v18, v19
	s_mov_b32 s0, 0x7f800000
	v_and_b32_e32 v20, 0x7f800000, v19
	v_cmp_ne_u32_e32 vcc, s0, v20
                                        ; implicit-def: $vgpr20
	s_and_saveexec_b64 s[0:1], vcc
	s_xor_b64 s[0:1], exec, s[0:1]
; %bb.25:
	v_bfe_u32 v20, v19, 16, 1
	s_movk_i32 s7, 0x7fff
	v_add3_u32 v20, v19, v20, s7
                                        ; implicit-def: $vgpr19
; %bb.26:
	s_andn2_saveexec_b64 s[0:1], s[0:1]
; %bb.27:
	v_mov_b32_e32 v20, 0
	v_or_b32_e32 v21, 0x10000, v19
	v_cmp_eq_u32_sdwa vcc, v19, v20 src0_sel:WORD_0 src1_sel:DWORD
	v_cndmask_b32_e32 v20, v21, v19, vcc
; %bb.28:
	s_or_b64 exec, exec, s[0:1]
	v_lshrrev_b32_e32 v19, 16, v20
	v_cmp_lt_u32_e32 vcc, 3, v16
	v_cndmask_b32_e32 v17, v17, v19, vcc
	v_and_b32_e32 v20, 0xffff0000, v20
	v_cndmask_b32_e32 v18, v18, v20, vcc
	v_mov_b32_dpp v19, v17 row_shr:8 row_mask:0xf bank_mask:0xf
	v_lshlrev_b32_e32 v19, 16, v19
	v_add_f32_e32 v18, v18, v19
	s_mov_b32 s0, 0x7f800000
	v_and_b32_e32 v19, 0x7f800000, v18
	v_cmp_ne_u32_e32 vcc, s0, v19
                                        ; implicit-def: $vgpr19
	s_and_saveexec_b64 s[0:1], vcc
	s_xor_b64 s[0:1], exec, s[0:1]
; %bb.29:
	v_bfe_u32 v19, v18, 16, 1
	s_movk_i32 s7, 0x7fff
	v_add3_u32 v19, v18, v19, s7
                                        ; implicit-def: $vgpr18
; %bb.30:
	s_andn2_saveexec_b64 s[0:1], s[0:1]
; %bb.31:
	v_mov_b32_e32 v19, 0
	v_or_b32_e32 v20, 0x10000, v18
	v_cmp_eq_u32_sdwa vcc, v18, v19 src0_sel:WORD_0 src1_sel:DWORD
	v_cndmask_b32_e32 v19, v20, v18, vcc
; %bb.32:
	s_or_b64 exec, exec, s[0:1]
	v_lshrrev_b32_e32 v18, 16, v19
	v_cmp_lt_u32_e32 vcc, 7, v16
	v_cndmask_b32_e32 v16, v17, v18, vcc
	v_cmp_eq_u32_e32 vcc, 15, v0
	s_and_saveexec_b64 s[0:1], vcc
	s_cbranch_execz .LBB278_34
; %bb.33:
	v_mov_b32_e32 v17, 0
	ds_write_b16 v17, v16
.LBB278_34:
	s_or_b64 exec, exec, s[0:1]
	v_add_u32_e32 v17, -1, v1
	v_and_b32_e32 v18, 0x70, v1
	v_cmp_lt_i32_e32 vcc, v17, v18
	v_cndmask_b32_e32 v1, v17, v1, vcc
	s_load_dword s7, s[4:5], 0x10
	v_lshlrev_b32_e32 v1, 2, v1
	ds_bpermute_b32 v17, v1, v16
	v_cmp_gt_u32_e32 vcc, 64, v0
	s_waitcnt lgkmcnt(0)
	v_mov_b32_e32 v16, s7
	; wave barrier
	s_and_saveexec_b64 s[0:1], vcc
	s_cbranch_execz .LBB278_42
; %bb.35:
	v_mov_b32_e32 v1, 0
	ds_read_u16 v1, v1
	s_lshl_b32 s4, s7, 16
	s_waitcnt lgkmcnt(0)
	v_lshlrev_b32_e32 v16, 16, v1
	v_pk_add_f32 v[18:19], v[16:17], s[4:5] op_sel_hi:[0,1]
	v_readfirstlane_b32 s8, v18
	s_and_b32 s4, s8, 0x7f800000
	s_cmp_eq_u32 s4, 0x7f800000
	s_cbranch_scc1 .LBB278_37
; %bb.36:
	s_bfe_u32 s4, s8, 0x10010
	s_add_i32 s4, s8, s4
	s_add_i32 s9, s4, 0x7fff
	s_cbranch_execz .LBB278_38
	s_branch .LBB278_39
.LBB278_37:
                                        ; implicit-def: $sgpr9
.LBB278_38:
	s_and_b32 s4, s8, 0xffff
	s_or_b32 s5, s8, 0x10000
	s_cmp_eq_u32 s4, 0
	s_cselect_b32 s9, s8, s5
.LBB278_39:
	s_lshr_b32 s8, s9, 16
	v_cmp_eq_u32_e32 vcc, 0, v0
	s_and_saveexec_b64 s[4:5], vcc
	s_cbranch_execz .LBB278_41
; %bb.40:
	v_mov_b32_e32 v1, 0
	v_mov_b32_e32 v16, s7
	ds_write_b16 v1, v16
.LBB278_41:
	s_or_b64 exec, exec, s[4:5]
	v_mov_b32_e32 v16, s8
.LBB278_42:
	s_or_b64 exec, exec, s[0:1]
	v_mov_b32_e32 v1, 0
	s_waitcnt lgkmcnt(0)
	; wave barrier
	s_waitcnt lgkmcnt(0)
	ds_read_u16 v1, v1
	v_cmp_eq_u32_e32 vcc, 0, v0
	v_cmp_ne_u32_e64 s[0:1], 0, v0
	s_and_saveexec_b64 s[4:5], s[0:1]
	s_cbranch_execz .LBB278_48
; %bb.43:
	v_lshlrev_b32_e32 v0, 16, v17
	s_waitcnt lgkmcnt(0)
	v_lshlrev_b32_e32 v18, 16, v1
	v_pk_add_f32 v[0:1], v[18:19], v[0:1] op_sel_hi:[0,1]
	s_mov_b32 s0, 0x7f800000
	v_and_b32_e32 v1, 0x7f800000, v0
	v_cmp_ne_u32_e64 s[0:1], s0, v1
                                        ; implicit-def: $vgpr17
	s_and_saveexec_b64 s[8:9], s[0:1]
	s_xor_b64 s[0:1], exec, s[8:9]
; %bb.44:
	v_bfe_u32 v1, v0, 16, 1
	s_movk_i32 s7, 0x7fff
	v_add3_u32 v17, v0, v1, s7
                                        ; implicit-def: $vgpr0_vgpr1
; %bb.45:
	s_andn2_saveexec_b64 s[8:9], s[0:1]
; %bb.46:
	v_mov_b32_e32 v1, 0
	v_or_b32_e32 v17, 0x10000, v0
	v_cmp_eq_u32_sdwa s[0:1], v0, v1 src0_sel:WORD_0 src1_sel:DWORD
	v_cndmask_b32_e64 v17, v17, v0, s[0:1]
; %bb.47:
	s_or_b64 exec, exec, s[8:9]
	v_lshrrev_b32_e32 v1, 16, v17
.LBB278_48:
	s_or_b64 exec, exec, s[4:5]
	s_waitcnt lgkmcnt(0)
	v_lshlrev_b32_e32 v0, 16, v1
	v_add_f32_e32 v12, v12, v0
	s_mov_b32 s0, 0x7f800000
	v_and_b32_e32 v0, 0x7f800000, v12
	v_cmp_ne_u32_e64 s[0:1], s0, v0
                                        ; implicit-def: $vgpr0
	s_and_saveexec_b64 s[4:5], s[0:1]
	s_xor_b64 s[0:1], exec, s[4:5]
; %bb.49:
	v_bfe_u32 v0, v12, 16, 1
	s_movk_i32 s4, 0x7fff
	v_add3_u32 v0, v12, v0, s4
                                        ; implicit-def: $vgpr12
; %bb.50:
	s_andn2_saveexec_b64 s[4:5], s[0:1]
; %bb.51:
	v_mov_b32_e32 v0, 0
	v_or_b32_e32 v17, 0x10000, v12
	v_cmp_eq_u32_sdwa s[0:1], v12, v0 src0_sel:WORD_0 src1_sel:DWORD
	v_cndmask_b32_e64 v0, v17, v12, s[0:1]
; %bb.52:
	s_or_b64 exec, exec, s[4:5]
	v_and_b32_e32 v12, 0xffff0000, v0
	v_add_f32_e32 v13, v13, v12
	s_mov_b32 s0, 0x7f800000
	v_and_b32_e32 v12, 0x7f800000, v13
	v_cmp_ne_u32_e64 s[0:1], s0, v12
                                        ; implicit-def: $vgpr12
	s_and_saveexec_b64 s[4:5], s[0:1]
	s_xor_b64 s[0:1], exec, s[4:5]
; %bb.53:
	v_bfe_u32 v12, v13, 16, 1
	s_movk_i32 s4, 0x7fff
	v_add3_u32 v12, v13, v12, s4
                                        ; implicit-def: $vgpr13
; %bb.54:
	s_andn2_saveexec_b64 s[4:5], s[0:1]
; %bb.55:
	v_mov_b32_e32 v12, 0
	v_or_b32_e32 v17, 0x10000, v13
	v_cmp_eq_u32_sdwa s[0:1], v13, v12 src0_sel:WORD_0 src1_sel:DWORD
	v_cndmask_b32_e64 v12, v17, v13, s[0:1]
; %bb.56:
	s_or_b64 exec, exec, s[4:5]
	v_and_b32_e32 v13, 0xffff0000, v12
	v_add_f32_e32 v14, v13, v14
	s_mov_b32 s0, 0x7f800000
	v_and_b32_e32 v13, 0x7f800000, v14
	v_cmp_ne_u32_e64 s[0:1], s0, v13
                                        ; implicit-def: $vgpr13
	s_and_saveexec_b64 s[4:5], s[0:1]
	s_xor_b64 s[0:1], exec, s[4:5]
; %bb.57:
	v_bfe_u32 v13, v14, 16, 1
	s_movk_i32 s4, 0x7fff
	v_add3_u32 v13, v14, v13, s4
                                        ; implicit-def: $vgpr14
; %bb.58:
	s_andn2_saveexec_b64 s[4:5], s[0:1]
; %bb.59:
	v_mov_b32_e32 v13, 0
	v_or_b32_e32 v17, 0x10000, v14
	v_cmp_eq_u32_sdwa s[0:1], v14, v13 src0_sel:WORD_0 src1_sel:DWORD
	v_cndmask_b32_e64 v13, v17, v14, s[0:1]
; %bb.60:
	s_or_b64 exec, exec, s[4:5]
	v_and_b32_e32 v14, 0xffff0000, v13
	v_add_f32_e32 v14, v14, v15
	s_mov_b32 s0, 0x7f800000
	v_and_b32_e32 v15, 0x7f800000, v14
	v_cmp_ne_u32_e64 s[0:1], s0, v15
                                        ; implicit-def: $vgpr15
	s_and_saveexec_b64 s[4:5], s[0:1]
	s_xor_b64 s[0:1], exec, s[4:5]
; %bb.61:
	v_bfe_u32 v15, v14, 16, 1
	s_movk_i32 s4, 0x7fff
	v_add3_u32 v15, v14, v15, s4
                                        ; implicit-def: $vgpr14
; %bb.62:
	s_andn2_saveexec_b64 s[4:5], s[0:1]
; %bb.63:
	v_mov_b32_e32 v15, 0
	v_or_b32_e32 v17, 0x10000, v14
	v_cmp_eq_u32_sdwa s[0:1], v14, v15 src0_sel:WORD_0 src1_sel:DWORD
	v_cndmask_b32_e64 v15, v17, v14, s[0:1]
; %bb.64:
	s_or_b64 exec, exec, s[4:5]
	global_store_short v[2:3], v1, off
	global_store_short_d16_hi v[4:5], v0, off
	global_store_short_d16_hi v[10:11], v12, off
	global_store_short_d16_hi v[6:7], v13, off
	global_store_short_d16_hi v[8:9], v15, off
	s_and_saveexec_b64 s[0:1], vcc
	s_cbranch_execz .LBB278_66
; %bb.65:
	s_mov_b32 s7, 0
	s_lshl_b64 s[0:1], s[6:7], 1
	s_add_u32 s0, s2, s0
	s_addc_u32 s1, s3, s1
	v_mov_b32_e32 v0, 0
	global_store_short v0, v16, s[0:1]
.LBB278_66:
	s_endpgm
	.section	.rodata,"a",@progbits
	.p2align	6, 0x0
	.amdhsa_kernel _Z43exclusive_scan_prefix_callback_array_kernelILj16ELj5ELN6hipcub18BlockScanAlgorithmE0E12hip_bfloat16EvPT2_S4_S3_
		.amdhsa_group_segment_fixed_size 2
		.amdhsa_private_segment_fixed_size 0
		.amdhsa_kernarg_size 20
		.amdhsa_user_sgpr_count 6
		.amdhsa_user_sgpr_private_segment_buffer 1
		.amdhsa_user_sgpr_dispatch_ptr 0
		.amdhsa_user_sgpr_queue_ptr 0
		.amdhsa_user_sgpr_kernarg_segment_ptr 1
		.amdhsa_user_sgpr_dispatch_id 0
		.amdhsa_user_sgpr_flat_scratch_init 0
		.amdhsa_user_sgpr_kernarg_preload_length 0
		.amdhsa_user_sgpr_kernarg_preload_offset 0
		.amdhsa_user_sgpr_private_segment_size 0
		.amdhsa_uses_dynamic_stack 0
		.amdhsa_system_sgpr_private_segment_wavefront_offset 0
		.amdhsa_system_sgpr_workgroup_id_x 1
		.amdhsa_system_sgpr_workgroup_id_y 0
		.amdhsa_system_sgpr_workgroup_id_z 0
		.amdhsa_system_sgpr_workgroup_info 0
		.amdhsa_system_vgpr_workitem_id 0
		.amdhsa_next_free_vgpr 22
		.amdhsa_next_free_sgpr 10
		.amdhsa_accum_offset 24
		.amdhsa_reserve_vcc 1
		.amdhsa_reserve_flat_scratch 0
		.amdhsa_float_round_mode_32 0
		.amdhsa_float_round_mode_16_64 0
		.amdhsa_float_denorm_mode_32 3
		.amdhsa_float_denorm_mode_16_64 3
		.amdhsa_dx10_clamp 1
		.amdhsa_ieee_mode 1
		.amdhsa_fp16_overflow 0
		.amdhsa_tg_split 0
		.amdhsa_exception_fp_ieee_invalid_op 0
		.amdhsa_exception_fp_denorm_src 0
		.amdhsa_exception_fp_ieee_div_zero 0
		.amdhsa_exception_fp_ieee_overflow 0
		.amdhsa_exception_fp_ieee_underflow 0
		.amdhsa_exception_fp_ieee_inexact 0
		.amdhsa_exception_int_div_zero 0
	.end_amdhsa_kernel
	.section	.text._Z43exclusive_scan_prefix_callback_array_kernelILj16ELj5ELN6hipcub18BlockScanAlgorithmE0E12hip_bfloat16EvPT2_S4_S3_,"axG",@progbits,_Z43exclusive_scan_prefix_callback_array_kernelILj16ELj5ELN6hipcub18BlockScanAlgorithmE0E12hip_bfloat16EvPT2_S4_S3_,comdat
.Lfunc_end278:
	.size	_Z43exclusive_scan_prefix_callback_array_kernelILj16ELj5ELN6hipcub18BlockScanAlgorithmE0E12hip_bfloat16EvPT2_S4_S3_, .Lfunc_end278-_Z43exclusive_scan_prefix_callback_array_kernelILj16ELj5ELN6hipcub18BlockScanAlgorithmE0E12hip_bfloat16EvPT2_S4_S3_
                                        ; -- End function
	.section	.AMDGPU.csdata,"",@progbits
; Kernel info:
; codeLenInByte = 1964
; NumSgprs: 14
; NumVgprs: 22
; NumAgprs: 0
; TotalNumVgprs: 22
; ScratchSize: 0
; MemoryBound: 0
; FloatMode: 240
; IeeeMode: 1
; LDSByteSize: 2 bytes/workgroup (compile time only)
; SGPRBlocks: 1
; VGPRBlocks: 2
; NumSGPRsForWavesPerEU: 14
; NumVGPRsForWavesPerEU: 22
; AccumOffset: 24
; Occupancy: 8
; WaveLimiterHint : 0
; COMPUTE_PGM_RSRC2:SCRATCH_EN: 0
; COMPUTE_PGM_RSRC2:USER_SGPR: 6
; COMPUTE_PGM_RSRC2:TRAP_HANDLER: 0
; COMPUTE_PGM_RSRC2:TGID_X_EN: 1
; COMPUTE_PGM_RSRC2:TGID_Y_EN: 0
; COMPUTE_PGM_RSRC2:TGID_Z_EN: 0
; COMPUTE_PGM_RSRC2:TIDIG_COMP_CNT: 0
; COMPUTE_PGM_RSRC3_GFX90A:ACCUM_OFFSET: 5
; COMPUTE_PGM_RSRC3_GFX90A:TG_SPLIT: 0
	.section	.text._Z43exclusive_scan_prefix_callback_array_kernelILj65ELj5ELN6hipcub18BlockScanAlgorithmE0E6__halfEvPT2_S4_S3_,"axG",@progbits,_Z43exclusive_scan_prefix_callback_array_kernelILj65ELj5ELN6hipcub18BlockScanAlgorithmE0E6__halfEvPT2_S4_S3_,comdat
	.protected	_Z43exclusive_scan_prefix_callback_array_kernelILj65ELj5ELN6hipcub18BlockScanAlgorithmE0E6__halfEvPT2_S4_S3_ ; -- Begin function _Z43exclusive_scan_prefix_callback_array_kernelILj65ELj5ELN6hipcub18BlockScanAlgorithmE0E6__halfEvPT2_S4_S3_
	.globl	_Z43exclusive_scan_prefix_callback_array_kernelILj65ELj5ELN6hipcub18BlockScanAlgorithmE0E6__halfEvPT2_S4_S3_
	.p2align	8
	.type	_Z43exclusive_scan_prefix_callback_array_kernelILj65ELj5ELN6hipcub18BlockScanAlgorithmE0E6__halfEvPT2_S4_S3_,@function
_Z43exclusive_scan_prefix_callback_array_kernelILj65ELj5ELN6hipcub18BlockScanAlgorithmE0E6__halfEvPT2_S4_S3_: ; @_Z43exclusive_scan_prefix_callback_array_kernelILj65ELj5ELN6hipcub18BlockScanAlgorithmE0E6__halfEvPT2_S4_S3_
; %bb.0:
	s_load_dwordx4 s[8:11], s[4:5], 0x0
	s_mul_i32 s0, s6, 0x41
	v_add_u32_e32 v1, s0, v0
	v_lshl_add_u32 v10, v1, 2, v1
	v_mov_b32_e32 v11, 0
	v_lshlrev_b64 v[2:3], 1, v[10:11]
	s_waitcnt lgkmcnt(0)
	v_mov_b32_e32 v1, s9
	v_add_co_u32_e32 v2, vcc, s8, v2
	v_add_u32_e32 v4, 1, v10
	v_mov_b32_e32 v5, v11
	v_addc_co_u32_e32 v3, vcc, v1, v3, vcc
	v_lshlrev_b64 v[4:5], 1, v[4:5]
	v_add_co_u32_e32 v4, vcc, s8, v4
	v_add_u32_e32 v6, 2, v10
	v_mov_b32_e32 v7, v11
	v_addc_co_u32_e32 v5, vcc, v1, v5, vcc
	v_lshlrev_b64 v[6:7], 1, v[6:7]
	;; [unrolled: 5-line block ×3, first 2 shown]
	v_add_co_u32_e32 v8, vcc, s8, v8
	v_add_u32_e32 v10, 4, v10
	v_addc_co_u32_e32 v9, vcc, v1, v9, vcc
	v_lshlrev_b64 v[10:11], 1, v[10:11]
	v_add_co_u32_e32 v10, vcc, s8, v10
	v_addc_co_u32_e32 v11, vcc, v1, v11, vcc
	global_load_ushort v1, v[2:3], off
	global_load_ushort v12, v[4:5], off
	global_load_ushort v13, v[6:7], off
	global_load_ushort v14, v[8:9], off
	global_load_ushort v17, v[10:11], off
	v_mbcnt_lo_u32_b32 v15, -1, 0
	v_mbcnt_hi_u32_b32 v15, -1, v15
	v_and_b32_e32 v18, 15, v15
	v_cmp_eq_u32_e64 s[2:3], 0, v18
	v_and_b32_e32 v20, 16, v15
	v_cmp_gt_u32_e32 vcc, 64, v0
	v_cndmask_b32_e64 v19, 64, 63, vcc
	v_lshrrev_b32_e32 v16, 6, v0
	v_cmp_lt_u32_e64 s[0:1], 63, v0
	s_waitcnt vmcnt(3)
	v_add_f16_e32 v21, v1, v12
	s_waitcnt vmcnt(2)
	v_add_f16_e32 v21, v21, v13
	s_waitcnt vmcnt(1)
	v_add_f16_e32 v21, v21, v14
	s_waitcnt vmcnt(0)
	v_add_f16_e32 v17, v21, v17
	s_nop 1
	v_mov_b32_dpp v21, v17 row_shr:1 row_mask:0xf bank_mask:0xf
	v_add_f16_e32 v21, v17, v21
	v_cndmask_b32_e64 v17, v21, v17, s[2:3]
	v_and_b32_e32 v21, 0xffff, v17
	v_cmp_lt_u32_e64 s[2:3], 1, v18
	s_nop 0
	v_mov_b32_dpp v21, v21 row_shr:2 row_mask:0xf bank_mask:0xf
	v_add_f16_e32 v21, v17, v21
	v_cndmask_b32_e64 v17, v17, v21, s[2:3]
	v_and_b32_e32 v21, 0xffff, v17
	v_cmp_lt_u32_e64 s[2:3], 3, v18
	;; [unrolled: 6-line block ×3, first 2 shown]
	s_nop 0
	v_mov_b32_dpp v21, v21 row_shr:8 row_mask:0xf bank_mask:0xf
	v_add_f16_e32 v21, v17, v21
	v_cndmask_b32_e64 v17, v17, v21, s[2:3]
	v_and_b32_e32 v18, 0xffff, v17
	v_cmp_eq_u32_e64 s[2:3], 0, v20
	s_nop 0
	v_mov_b32_dpp v18, v18 row_bcast:15 row_mask:0xf bank_mask:0xf
	v_add_f16_e32 v18, v17, v18
	v_cndmask_b32_e64 v17, v18, v17, s[2:3]
	v_and_b32_e32 v18, 0xffff, v17
	v_cmp_lt_u32_e64 s[2:3], 31, v15
	s_nop 0
	v_mov_b32_dpp v18, v18 row_bcast:31 row_mask:0xf bank_mask:0xf
	v_add_f16_e32 v18, v17, v18
	v_cndmask_b32_e64 v18, v17, v18, s[2:3]
	v_cmp_eq_u32_e64 s[2:3], v19, v0
	s_and_saveexec_b64 s[8:9], s[2:3]
	s_cbranch_execz .LBB279_2
; %bb.1:
	v_lshlrev_b32_e32 v17, 1, v16
	ds_write_b16 v17, v18
.LBB279_2:
	s_or_b64 exec, exec, s[8:9]
	s_load_dword s7, s[4:5], 0x10
	v_cmp_gt_u32_e64 s[2:3], 2, v0
	s_waitcnt lgkmcnt(0)
	s_barrier
	s_and_saveexec_b64 s[4:5], s[2:3]
	s_cbranch_execz .LBB279_4
; %bb.3:
	v_lshlrev_b32_e32 v17, 1, v0
	ds_read_u16 v19, v17
	v_and_b32_e32 v20, 1, v15
	v_cmp_eq_u32_e64 s[2:3], 0, v20
	s_waitcnt lgkmcnt(0)
	v_and_b32_e32 v21, 0xffff, v19
	s_nop 1
	v_mov_b32_dpp v21, v21 row_shr:1 row_mask:0xf bank_mask:0xf
	v_add_f16_e32 v21, v19, v21
	v_cndmask_b32_e64 v19, v21, v19, s[2:3]
	ds_write_b16 v17, v19
.LBB279_4:
	s_or_b64 exec, exec, s[4:5]
	s_waitcnt lgkmcnt(0)
	s_barrier
	s_waitcnt lgkmcnt(0)
                                        ; implicit-def: $vgpr17
	s_and_saveexec_b64 s[2:3], s[0:1]
	s_cbranch_execz .LBB279_6
; %bb.5:
	v_lshl_add_u32 v16, v16, 1, -2
	ds_read_u16 v17, v16
	s_waitcnt lgkmcnt(0)
	v_add_f16_e32 v18, v18, v17
.LBB279_6:
	s_or_b64 exec, exec, s[2:3]
	v_and_b32_e32 v16, 0xffff, v18
	v_add_u32_e32 v18, -1, v15
	v_and_b32_e32 v19, 64, v15
	v_cmp_lt_i32_e64 s[0:1], v18, v19
	v_cndmask_b32_e64 v18, v18, v15, s[0:1]
	v_lshlrev_b32_e32 v18, 2, v18
	ds_bpermute_b32 v18, v18, v16
	v_mov_b32_e32 v16, s7
	s_and_saveexec_b64 s[0:1], vcc
	s_cbranch_execz .LBB279_10
; %bb.7:
	v_mov_b32_e32 v19, 0
	ds_read_u16 v16, v19 offset:2
	v_cmp_eq_u32_e32 vcc, 0, v0
	s_and_saveexec_b64 s[2:3], vcc
	s_cbranch_execz .LBB279_9
; %bb.8:
	v_mov_b32_e32 v20, s7
	ds_write_b16 v19, v20 offset:2
.LBB279_9:
	s_or_b64 exec, exec, s[2:3]
	s_waitcnt lgkmcnt(0)
	v_add_f16_e32 v16, s7, v16
.LBB279_10:
	s_or_b64 exec, exec, s[0:1]
	v_mov_b32_e32 v19, 0
	s_waitcnt lgkmcnt(0)
	s_barrier
	ds_read_u16 v20, v19 offset:2
	v_cmp_eq_u32_e32 vcc, 0, v15
	v_cndmask_b32_e32 v15, v18, v17, vcc
	v_cmp_eq_u32_e32 vcc, 0, v0
	s_mov_b32 s7, 0
	s_waitcnt lgkmcnt(0)
	v_add_f16_e32 v15, v15, v20
	v_cndmask_b32_e32 v0, v15, v20, vcc
	v_add_f16_e32 v1, v1, v0
	v_add_f16_e32 v12, v12, v1
	;; [unrolled: 1-line block ×4, first 2 shown]
	global_store_short v[2:3], v0, off
	global_store_short v[4:5], v1, off
	;; [unrolled: 1-line block ×5, first 2 shown]
	s_and_saveexec_b64 s[0:1], vcc
	s_cbranch_execz .LBB279_12
; %bb.11:
	s_lshl_b64 s[0:1], s[6:7], 1
	s_add_u32 s0, s10, s0
	s_addc_u32 s1, s11, s1
	global_store_short v19, v16, s[0:1]
.LBB279_12:
	s_endpgm
	.section	.rodata,"a",@progbits
	.p2align	6, 0x0
	.amdhsa_kernel _Z43exclusive_scan_prefix_callback_array_kernelILj65ELj5ELN6hipcub18BlockScanAlgorithmE0E6__halfEvPT2_S4_S3_
		.amdhsa_group_segment_fixed_size 4
		.amdhsa_private_segment_fixed_size 0
		.amdhsa_kernarg_size 20
		.amdhsa_user_sgpr_count 6
		.amdhsa_user_sgpr_private_segment_buffer 1
		.amdhsa_user_sgpr_dispatch_ptr 0
		.amdhsa_user_sgpr_queue_ptr 0
		.amdhsa_user_sgpr_kernarg_segment_ptr 1
		.amdhsa_user_sgpr_dispatch_id 0
		.amdhsa_user_sgpr_flat_scratch_init 0
		.amdhsa_user_sgpr_kernarg_preload_length 0
		.amdhsa_user_sgpr_kernarg_preload_offset 0
		.amdhsa_user_sgpr_private_segment_size 0
		.amdhsa_uses_dynamic_stack 0
		.amdhsa_system_sgpr_private_segment_wavefront_offset 0
		.amdhsa_system_sgpr_workgroup_id_x 1
		.amdhsa_system_sgpr_workgroup_id_y 0
		.amdhsa_system_sgpr_workgroup_id_z 0
		.amdhsa_system_sgpr_workgroup_info 0
		.amdhsa_system_vgpr_workitem_id 0
		.amdhsa_next_free_vgpr 22
		.amdhsa_next_free_sgpr 12
		.amdhsa_accum_offset 24
		.amdhsa_reserve_vcc 1
		.amdhsa_reserve_flat_scratch 0
		.amdhsa_float_round_mode_32 0
		.amdhsa_float_round_mode_16_64 0
		.amdhsa_float_denorm_mode_32 3
		.amdhsa_float_denorm_mode_16_64 3
		.amdhsa_dx10_clamp 1
		.amdhsa_ieee_mode 1
		.amdhsa_fp16_overflow 0
		.amdhsa_tg_split 0
		.amdhsa_exception_fp_ieee_invalid_op 0
		.amdhsa_exception_fp_denorm_src 0
		.amdhsa_exception_fp_ieee_div_zero 0
		.amdhsa_exception_fp_ieee_overflow 0
		.amdhsa_exception_fp_ieee_underflow 0
		.amdhsa_exception_fp_ieee_inexact 0
		.amdhsa_exception_int_div_zero 0
	.end_amdhsa_kernel
	.section	.text._Z43exclusive_scan_prefix_callback_array_kernelILj65ELj5ELN6hipcub18BlockScanAlgorithmE0E6__halfEvPT2_S4_S3_,"axG",@progbits,_Z43exclusive_scan_prefix_callback_array_kernelILj65ELj5ELN6hipcub18BlockScanAlgorithmE0E6__halfEvPT2_S4_S3_,comdat
.Lfunc_end279:
	.size	_Z43exclusive_scan_prefix_callback_array_kernelILj65ELj5ELN6hipcub18BlockScanAlgorithmE0E6__halfEvPT2_S4_S3_, .Lfunc_end279-_Z43exclusive_scan_prefix_callback_array_kernelILj65ELj5ELN6hipcub18BlockScanAlgorithmE0E6__halfEvPT2_S4_S3_
                                        ; -- End function
	.section	.AMDGPU.csdata,"",@progbits
; Kernel info:
; codeLenInByte = 928
; NumSgprs: 16
; NumVgprs: 22
; NumAgprs: 0
; TotalNumVgprs: 22
; ScratchSize: 0
; MemoryBound: 0
; FloatMode: 240
; IeeeMode: 1
; LDSByteSize: 4 bytes/workgroup (compile time only)
; SGPRBlocks: 1
; VGPRBlocks: 2
; NumSGPRsForWavesPerEU: 16
; NumVGPRsForWavesPerEU: 22
; AccumOffset: 24
; Occupancy: 8
; WaveLimiterHint : 0
; COMPUTE_PGM_RSRC2:SCRATCH_EN: 0
; COMPUTE_PGM_RSRC2:USER_SGPR: 6
; COMPUTE_PGM_RSRC2:TRAP_HANDLER: 0
; COMPUTE_PGM_RSRC2:TGID_X_EN: 1
; COMPUTE_PGM_RSRC2:TGID_Y_EN: 0
; COMPUTE_PGM_RSRC2:TGID_Z_EN: 0
; COMPUTE_PGM_RSRC2:TIDIG_COMP_CNT: 0
; COMPUTE_PGM_RSRC3_GFX90A:ACCUM_OFFSET: 5
; COMPUTE_PGM_RSRC3_GFX90A:TG_SPLIT: 0
	.section	.text._Z43exclusive_scan_prefix_callback_array_kernelILj255ELj15ELN6hipcub18BlockScanAlgorithmE0EfEvPT2_S3_S2_,"axG",@progbits,_Z43exclusive_scan_prefix_callback_array_kernelILj255ELj15ELN6hipcub18BlockScanAlgorithmE0EfEvPT2_S3_S2_,comdat
	.protected	_Z43exclusive_scan_prefix_callback_array_kernelILj255ELj15ELN6hipcub18BlockScanAlgorithmE0EfEvPT2_S3_S2_ ; -- Begin function _Z43exclusive_scan_prefix_callback_array_kernelILj255ELj15ELN6hipcub18BlockScanAlgorithmE0EfEvPT2_S3_S2_
	.globl	_Z43exclusive_scan_prefix_callback_array_kernelILj255ELj15ELN6hipcub18BlockScanAlgorithmE0EfEvPT2_S3_S2_
	.p2align	8
	.type	_Z43exclusive_scan_prefix_callback_array_kernelILj255ELj15ELN6hipcub18BlockScanAlgorithmE0EfEvPT2_S3_S2_,@function
_Z43exclusive_scan_prefix_callback_array_kernelILj255ELj15ELN6hipcub18BlockScanAlgorithmE0EfEvPT2_S3_S2_: ; @_Z43exclusive_scan_prefix_callback_array_kernelILj255ELj15ELN6hipcub18BlockScanAlgorithmE0EfEvPT2_S3_S2_
; %bb.0:
	s_load_dwordx4 s[0:3], s[4:5], 0x0
	s_mul_i32 s7, s6, 0xff
	v_add_u32_e32 v1, s7, v0
	v_mul_lo_u32 v30, v1, 15
	v_mov_b32_e32 v31, 0
	v_lshlrev_b64 v[2:3], 2, v[30:31]
	s_waitcnt lgkmcnt(0)
	v_mov_b32_e32 v1, s1
	v_add_co_u32_e32 v2, vcc, s0, v2
	v_add_u32_e32 v4, 1, v30
	v_mov_b32_e32 v5, v31
	v_addc_co_u32_e32 v3, vcc, v1, v3, vcc
	v_lshlrev_b64 v[4:5], 2, v[4:5]
	v_add_co_u32_e32 v4, vcc, s0, v4
	v_add_u32_e32 v6, 2, v30
	v_mov_b32_e32 v7, v31
	v_addc_co_u32_e32 v5, vcc, v1, v5, vcc
	v_lshlrev_b64 v[6:7], 2, v[6:7]
	;; [unrolled: 5-line block ×8, first 2 shown]
	v_mov_b32_e32 v20, s1
	v_add_co_u32_e32 v18, vcc, s0, v18
	v_addc_co_u32_e32 v19, vcc, v20, v19, vcc
	v_add_u32_e32 v20, 9, v30
	v_mov_b32_e32 v21, v31
	v_lshlrev_b64 v[20:21], 2, v[20:21]
	v_mov_b32_e32 v22, s1
	v_add_co_u32_e32 v20, vcc, s0, v20
	v_addc_co_u32_e32 v21, vcc, v22, v21, vcc
	v_add_u32_e32 v22, 10, v30
	v_mov_b32_e32 v23, v31
	v_lshlrev_b64 v[22:23], 2, v[22:23]
	;; [unrolled: 6-line block ×3, first 2 shown]
	v_mov_b32_e32 v26, s1
	v_add_co_u32_e32 v24, vcc, s0, v24
	v_addc_co_u32_e32 v25, vcc, v26, v25, vcc
	v_add_u32_e32 v26, 12, v30
	v_mov_b32_e32 v27, v31
	global_load_dword v1, v[2:3], off
	global_load_dword v32, v[4:5], off
	;; [unrolled: 1-line block ×8, first 2 shown]
	v_lshlrev_b64 v[26:27], 2, v[26:27]
	v_mov_b32_e32 v28, s1
	v_add_co_u32_e32 v26, vcc, s0, v26
	v_addc_co_u32_e32 v27, vcc, v28, v27, vcc
	v_add_u32_e32 v28, 13, v30
	v_mov_b32_e32 v29, v31
	v_lshlrev_b64 v[28:29], 2, v[28:29]
	v_mov_b32_e32 v39, s1
	v_add_co_u32_e32 v28, vcc, s0, v28
	v_add_u32_e32 v30, 14, v30
	v_addc_co_u32_e32 v29, vcc, v39, v29, vcc
	v_lshlrev_b64 v[30:31], 2, v[30:31]
	v_add_co_u32_e32 v30, vcc, s0, v30
	v_addc_co_u32_e32 v31, vcc, v39, v31, vcc
	global_load_dword v39, v[18:19], off
	global_load_dword v40, v[20:21], off
	;; [unrolled: 1-line block ×7, first 2 shown]
	s_waitcnt vmcnt(13)
	v_add_f32_e32 v46, v1, v32
	s_waitcnt vmcnt(12)
	v_add_f32_e32 v46, v33, v46
	;; [unrolled: 2-line block ×14, first 2 shown]
	v_mbcnt_lo_u32_b32 v45, -1, 0
	v_mbcnt_hi_u32_b32 v45, -1, v45
	v_and_b32_e32 v47, 15, v45
	v_mov_b32_dpp v48, v46 row_shr:1 row_mask:0xf bank_mask:0xf
	v_add_f32_e32 v48, v46, v48
	v_cmp_eq_u32_e32 vcc, 0, v47
	v_cndmask_b32_e32 v46, v48, v46, vcc
	v_cmp_lt_u32_e32 vcc, 1, v47
	s_nop 0
	v_mov_b32_dpp v48, v46 row_shr:2 row_mask:0xf bank_mask:0xf
	v_add_f32_e32 v48, v46, v48
	v_cndmask_b32_e32 v46, v46, v48, vcc
	v_cmp_lt_u32_e32 vcc, 3, v47
	s_nop 0
	v_mov_b32_dpp v48, v46 row_shr:4 row_mask:0xf bank_mask:0xf
	v_add_f32_e32 v48, v46, v48
	;; [unrolled: 5-line block ×3, first 2 shown]
	v_cndmask_b32_e32 v46, v46, v48, vcc
	v_and_b32_e32 v48, 16, v45
	v_cmp_eq_u32_e32 vcc, 0, v48
	v_mov_b32_dpp v47, v46 row_bcast:15 row_mask:0xf bank_mask:0xf
	v_add_f32_e32 v47, v46, v47
	v_cndmask_b32_e32 v46, v47, v46, vcc
	v_cmp_lt_u32_e32 vcc, 31, v45
	v_lshrrev_b32_e32 v48, 6, v0
	v_mov_b32_dpp v47, v46 row_bcast:31 row_mask:0xf bank_mask:0xf
	v_add_f32_e32 v47, v46, v47
	v_cndmask_b32_e32 v46, v46, v47, vcc
	v_and_b32_e32 v47, 0xc0, v0
	v_min_u32_e32 v47, 0xbf, v47
	v_add_u32_e32 v47, 63, v47
	v_cmp_eq_u32_e32 vcc, v47, v0
	s_and_saveexec_b64 s[0:1], vcc
	s_cbranch_execz .LBB280_2
; %bb.1:
	v_lshlrev_b32_e32 v47, 2, v48
	ds_write_b32 v47, v46
.LBB280_2:
	s_or_b64 exec, exec, s[0:1]
	v_cmp_gt_u32_e32 vcc, 4, v0
	s_waitcnt lgkmcnt(0)
	s_barrier
	s_and_saveexec_b64 s[0:1], vcc
	s_cbranch_execz .LBB280_4
; %bb.3:
	v_lshlrev_b32_e32 v47, 2, v0
	ds_read_b32 v49, v47
	v_and_b32_e32 v50, 3, v45
	v_cmp_eq_u32_e32 vcc, 0, v50
	s_waitcnt lgkmcnt(0)
	v_mov_b32_dpp v51, v49 row_shr:1 row_mask:0xf bank_mask:0xf
	v_add_f32_e32 v51, v49, v51
	v_cndmask_b32_e32 v49, v51, v49, vcc
	v_cmp_lt_u32_e32 vcc, 1, v50
	s_nop 0
	v_mov_b32_dpp v51, v49 row_shr:2 row_mask:0xf bank_mask:0xf
	v_add_f32_e32 v51, v49, v51
	v_cndmask_b32_e32 v49, v49, v51, vcc
	ds_write_b32 v47, v49
.LBB280_4:
	s_or_b64 exec, exec, s[0:1]
	v_cmp_gt_u32_e32 vcc, 64, v0
	v_cmp_lt_u32_e64 s[0:1], 63, v0
	s_waitcnt lgkmcnt(0)
	s_barrier
	s_waitcnt lgkmcnt(0)
                                        ; implicit-def: $vgpr47
	s_and_saveexec_b64 s[8:9], s[0:1]
	s_cbranch_execz .LBB280_6
; %bb.5:
	v_lshl_add_u32 v47, v48, 2, -4
	ds_read_b32 v47, v47
	s_waitcnt lgkmcnt(0)
	v_add_f32_e32 v46, v46, v47
.LBB280_6:
	s_or_b64 exec, exec, s[8:9]
	v_add_u32_e32 v48, -1, v45
	v_and_b32_e32 v49, 64, v45
	v_cmp_lt_i32_e64 s[0:1], v48, v49
	v_cndmask_b32_e64 v48, v48, v45, s[0:1]
	s_load_dword s7, s[4:5], 0x10
	v_lshlrev_b32_e32 v48, 2, v48
	ds_bpermute_b32 v49, v48, v46
	s_waitcnt lgkmcnt(0)
	v_mov_b32_e32 v46, s7
	s_and_saveexec_b64 s[0:1], vcc
	s_cbranch_execz .LBB280_10
; %bb.7:
	v_mov_b32_e32 v48, 0
	ds_read_b32 v46, v48 offset:12
	v_cmp_eq_u32_e32 vcc, 0, v0
	s_and_saveexec_b64 s[4:5], vcc
	s_cbranch_execz .LBB280_9
; %bb.8:
	v_mov_b32_e32 v50, s7
	ds_write_b32 v48, v50 offset:12
.LBB280_9:
	s_or_b64 exec, exec, s[4:5]
	s_waitcnt lgkmcnt(0)
	v_add_f32_e32 v46, s7, v46
.LBB280_10:
	s_or_b64 exec, exec, s[0:1]
	v_mov_b32_e32 v48, 0
	s_barrier
	ds_read_b32 v50, v48 offset:12
	v_cmp_eq_u32_e32 vcc, 0, v45
	v_cndmask_b32_e32 v45, v49, v47, vcc
	v_cmp_eq_u32_e32 vcc, 0, v0
	s_mov_b32 s7, 0
	s_waitcnt lgkmcnt(0)
	v_add_f32_e32 v45, v45, v50
	v_cndmask_b32_e32 v0, v45, v50, vcc
	v_add_f32_e32 v1, v1, v0
	v_add_f32_e32 v32, v32, v1
	;; [unrolled: 1-line block ×14, first 2 shown]
	global_store_dword v[2:3], v0, off
	global_store_dword v[4:5], v1, off
	;; [unrolled: 1-line block ×15, first 2 shown]
	s_and_saveexec_b64 s[0:1], vcc
	s_cbranch_execz .LBB280_12
; %bb.11:
	s_lshl_b64 s[0:1], s[6:7], 2
	s_add_u32 s0, s2, s0
	s_addc_u32 s1, s3, s1
	global_store_dword v48, v46, s[0:1]
.LBB280_12:
	s_endpgm
	.section	.rodata,"a",@progbits
	.p2align	6, 0x0
	.amdhsa_kernel _Z43exclusive_scan_prefix_callback_array_kernelILj255ELj15ELN6hipcub18BlockScanAlgorithmE0EfEvPT2_S3_S2_
		.amdhsa_group_segment_fixed_size 16
		.amdhsa_private_segment_fixed_size 0
		.amdhsa_kernarg_size 20
		.amdhsa_user_sgpr_count 6
		.amdhsa_user_sgpr_private_segment_buffer 1
		.amdhsa_user_sgpr_dispatch_ptr 0
		.amdhsa_user_sgpr_queue_ptr 0
		.amdhsa_user_sgpr_kernarg_segment_ptr 1
		.amdhsa_user_sgpr_dispatch_id 0
		.amdhsa_user_sgpr_flat_scratch_init 0
		.amdhsa_user_sgpr_kernarg_preload_length 0
		.amdhsa_user_sgpr_kernarg_preload_offset 0
		.amdhsa_user_sgpr_private_segment_size 0
		.amdhsa_uses_dynamic_stack 0
		.amdhsa_system_sgpr_private_segment_wavefront_offset 0
		.amdhsa_system_sgpr_workgroup_id_x 1
		.amdhsa_system_sgpr_workgroup_id_y 0
		.amdhsa_system_sgpr_workgroup_id_z 0
		.amdhsa_system_sgpr_workgroup_info 0
		.amdhsa_system_vgpr_workitem_id 0
		.amdhsa_next_free_vgpr 52
		.amdhsa_next_free_sgpr 10
		.amdhsa_accum_offset 52
		.amdhsa_reserve_vcc 1
		.amdhsa_reserve_flat_scratch 0
		.amdhsa_float_round_mode_32 0
		.amdhsa_float_round_mode_16_64 0
		.amdhsa_float_denorm_mode_32 3
		.amdhsa_float_denorm_mode_16_64 3
		.amdhsa_dx10_clamp 1
		.amdhsa_ieee_mode 1
		.amdhsa_fp16_overflow 0
		.amdhsa_tg_split 0
		.amdhsa_exception_fp_ieee_invalid_op 0
		.amdhsa_exception_fp_denorm_src 0
		.amdhsa_exception_fp_ieee_div_zero 0
		.amdhsa_exception_fp_ieee_overflow 0
		.amdhsa_exception_fp_ieee_underflow 0
		.amdhsa_exception_fp_ieee_inexact 0
		.amdhsa_exception_int_div_zero 0
	.end_amdhsa_kernel
	.section	.text._Z43exclusive_scan_prefix_callback_array_kernelILj255ELj15ELN6hipcub18BlockScanAlgorithmE0EfEvPT2_S3_S2_,"axG",@progbits,_Z43exclusive_scan_prefix_callback_array_kernelILj255ELj15ELN6hipcub18BlockScanAlgorithmE0EfEvPT2_S3_S2_,comdat
.Lfunc_end280:
	.size	_Z43exclusive_scan_prefix_callback_array_kernelILj255ELj15ELN6hipcub18BlockScanAlgorithmE0EfEvPT2_S3_S2_, .Lfunc_end280-_Z43exclusive_scan_prefix_callback_array_kernelILj255ELj15ELN6hipcub18BlockScanAlgorithmE0EfEvPT2_S3_S2_
                                        ; -- End function
	.section	.AMDGPU.csdata,"",@progbits
; Kernel info:
; codeLenInByte = 1372
; NumSgprs: 14
; NumVgprs: 52
; NumAgprs: 0
; TotalNumVgprs: 52
; ScratchSize: 0
; MemoryBound: 0
; FloatMode: 240
; IeeeMode: 1
; LDSByteSize: 16 bytes/workgroup (compile time only)
; SGPRBlocks: 1
; VGPRBlocks: 6
; NumSGPRsForWavesPerEU: 14
; NumVGPRsForWavesPerEU: 52
; AccumOffset: 52
; Occupancy: 8
; WaveLimiterHint : 0
; COMPUTE_PGM_RSRC2:SCRATCH_EN: 0
; COMPUTE_PGM_RSRC2:USER_SGPR: 6
; COMPUTE_PGM_RSRC2:TRAP_HANDLER: 0
; COMPUTE_PGM_RSRC2:TGID_X_EN: 1
; COMPUTE_PGM_RSRC2:TGID_Y_EN: 0
; COMPUTE_PGM_RSRC2:TGID_Z_EN: 0
; COMPUTE_PGM_RSRC2:TIDIG_COMP_CNT: 0
; COMPUTE_PGM_RSRC3_GFX90A:ACCUM_OFFSET: 12
; COMPUTE_PGM_RSRC3_GFX90A:TG_SPLIT: 0
	.section	.text._Z43exclusive_scan_prefix_callback_array_kernelILj162ELj7ELN6hipcub18BlockScanAlgorithmE0EfEvPT2_S3_S2_,"axG",@progbits,_Z43exclusive_scan_prefix_callback_array_kernelILj162ELj7ELN6hipcub18BlockScanAlgorithmE0EfEvPT2_S3_S2_,comdat
	.protected	_Z43exclusive_scan_prefix_callback_array_kernelILj162ELj7ELN6hipcub18BlockScanAlgorithmE0EfEvPT2_S3_S2_ ; -- Begin function _Z43exclusive_scan_prefix_callback_array_kernelILj162ELj7ELN6hipcub18BlockScanAlgorithmE0EfEvPT2_S3_S2_
	.globl	_Z43exclusive_scan_prefix_callback_array_kernelILj162ELj7ELN6hipcub18BlockScanAlgorithmE0EfEvPT2_S3_S2_
	.p2align	8
	.type	_Z43exclusive_scan_prefix_callback_array_kernelILj162ELj7ELN6hipcub18BlockScanAlgorithmE0EfEvPT2_S3_S2_,@function
_Z43exclusive_scan_prefix_callback_array_kernelILj162ELj7ELN6hipcub18BlockScanAlgorithmE0EfEvPT2_S3_S2_: ; @_Z43exclusive_scan_prefix_callback_array_kernelILj162ELj7ELN6hipcub18BlockScanAlgorithmE0EfEvPT2_S3_S2_
; %bb.0:
	s_load_dwordx4 s[0:3], s[4:5], 0x0
	s_mul_i32 s7, s6, 0xa2
	v_add_u32_e32 v1, s7, v0
	v_mul_lo_u32 v14, v1, 7
	v_mov_b32_e32 v15, 0
	v_lshlrev_b64 v[2:3], 2, v[14:15]
	s_waitcnt lgkmcnt(0)
	v_mov_b32_e32 v1, s1
	v_add_co_u32_e32 v2, vcc, s0, v2
	v_add_u32_e32 v4, 1, v14
	v_mov_b32_e32 v5, v15
	v_addc_co_u32_e32 v3, vcc, v1, v3, vcc
	v_lshlrev_b64 v[4:5], 2, v[4:5]
	v_add_co_u32_e32 v4, vcc, s0, v4
	v_add_u32_e32 v6, 2, v14
	v_mov_b32_e32 v7, v15
	v_addc_co_u32_e32 v5, vcc, v1, v5, vcc
	v_lshlrev_b64 v[6:7], 2, v[6:7]
	;; [unrolled: 5-line block ×5, first 2 shown]
	v_add_co_u32_e32 v12, vcc, s0, v12
	v_add_u32_e32 v14, 6, v14
	v_addc_co_u32_e32 v13, vcc, v1, v13, vcc
	v_lshlrev_b64 v[14:15], 2, v[14:15]
	v_add_co_u32_e32 v14, vcc, s0, v14
	v_addc_co_u32_e32 v15, vcc, v1, v15, vcc
	global_load_dword v1, v[2:3], off
	global_load_dword v16, v[4:5], off
	;; [unrolled: 1-line block ×7, first 2 shown]
	v_mbcnt_lo_u32_b32 v21, -1, 0
	v_mbcnt_hi_u32_b32 v21, -1, v21
	v_and_b32_e32 v25, 15, v21
	v_cmp_eq_u32_e32 vcc, 0, v25
	v_and_b32_e32 v26, 16, v21
	v_and_b32_e32 v24, 0xc0, v0
	v_min_u32_e32 v24, 0x62, v24
	v_add_u32_e32 v24, 63, v24
	v_lshrrev_b32_e32 v22, 6, v0
	s_waitcnt vmcnt(5)
	v_add_f32_e32 v27, v1, v16
	s_waitcnt vmcnt(4)
	v_add_f32_e32 v27, v17, v27
	;; [unrolled: 2-line block ×6, first 2 shown]
	s_nop 1
	v_mov_b32_dpp v27, v23 row_shr:1 row_mask:0xf bank_mask:0xf
	v_add_f32_e32 v27, v23, v27
	v_cndmask_b32_e32 v23, v27, v23, vcc
	v_cmp_lt_u32_e32 vcc, 1, v25
	s_nop 0
	v_mov_b32_dpp v27, v23 row_shr:2 row_mask:0xf bank_mask:0xf
	v_add_f32_e32 v27, v23, v27
	v_cndmask_b32_e32 v23, v23, v27, vcc
	v_cmp_lt_u32_e32 vcc, 3, v25
	;; [unrolled: 5-line block ×3, first 2 shown]
	s_nop 0
	v_mov_b32_dpp v27, v23 row_shr:8 row_mask:0xf bank_mask:0xf
	v_add_f32_e32 v27, v23, v27
	v_cndmask_b32_e32 v23, v23, v27, vcc
	v_cmp_eq_u32_e32 vcc, 0, v26
	s_nop 0
	v_mov_b32_dpp v25, v23 row_bcast:15 row_mask:0xf bank_mask:0xf
	v_add_f32_e32 v25, v23, v25
	v_cndmask_b32_e32 v23, v25, v23, vcc
	v_cmp_lt_u32_e32 vcc, 31, v21
	s_nop 0
	v_mov_b32_dpp v25, v23 row_bcast:31 row_mask:0xf bank_mask:0xf
	v_add_f32_e32 v25, v23, v25
	v_cndmask_b32_e32 v23, v23, v25, vcc
	v_cmp_eq_u32_e32 vcc, v24, v0
	s_and_saveexec_b64 s[0:1], vcc
	s_cbranch_execz .LBB281_2
; %bb.1:
	v_lshlrev_b32_e32 v24, 2, v22
	ds_write_b32 v24, v23
.LBB281_2:
	s_or_b64 exec, exec, s[0:1]
	v_cmp_gt_u32_e32 vcc, 3, v0
	s_waitcnt lgkmcnt(0)
	s_barrier
	s_and_saveexec_b64 s[0:1], vcc
	s_cbranch_execz .LBB281_4
; %bb.3:
	v_lshlrev_b32_e32 v24, 2, v0
	ds_read_b32 v25, v24
	v_and_b32_e32 v26, 3, v21
	v_cmp_eq_u32_e32 vcc, 0, v26
	s_waitcnt lgkmcnt(0)
	v_mov_b32_dpp v27, v25 row_shr:1 row_mask:0xf bank_mask:0xf
	v_add_f32_e32 v27, v25, v27
	v_cndmask_b32_e32 v25, v27, v25, vcc
	v_cmp_lt_u32_e32 vcc, 1, v26
	s_nop 0
	v_mov_b32_dpp v27, v25 row_shr:2 row_mask:0xf bank_mask:0xf
	v_add_f32_e32 v27, v25, v27
	v_cndmask_b32_e32 v25, v25, v27, vcc
	ds_write_b32 v24, v25
.LBB281_4:
	s_or_b64 exec, exec, s[0:1]
	v_cmp_gt_u32_e32 vcc, 64, v0
	v_cmp_lt_u32_e64 s[0:1], 63, v0
	s_waitcnt lgkmcnt(0)
	s_barrier
	s_waitcnt lgkmcnt(0)
                                        ; implicit-def: $vgpr24
	s_and_saveexec_b64 s[8:9], s[0:1]
	s_cbranch_execz .LBB281_6
; %bb.5:
	v_lshl_add_u32 v22, v22, 2, -4
	ds_read_b32 v24, v22
	s_waitcnt lgkmcnt(0)
	v_add_f32_e32 v23, v23, v24
.LBB281_6:
	s_or_b64 exec, exec, s[8:9]
	v_add_u32_e32 v22, -1, v21
	v_and_b32_e32 v25, 64, v21
	v_cmp_lt_i32_e64 s[0:1], v22, v25
	v_cndmask_b32_e64 v22, v22, v21, s[0:1]
	s_load_dword s7, s[4:5], 0x10
	v_lshlrev_b32_e32 v22, 2, v22
	ds_bpermute_b32 v23, v22, v23
	s_waitcnt lgkmcnt(0)
	v_mov_b32_e32 v22, s7
	s_and_saveexec_b64 s[0:1], vcc
	s_cbranch_execz .LBB281_10
; %bb.7:
	v_mov_b32_e32 v25, 0
	ds_read_b32 v22, v25 offset:8
	v_cmp_eq_u32_e32 vcc, 0, v0
	s_and_saveexec_b64 s[4:5], vcc
	s_cbranch_execz .LBB281_9
; %bb.8:
	v_mov_b32_e32 v26, s7
	ds_write_b32 v25, v26 offset:8
.LBB281_9:
	s_or_b64 exec, exec, s[4:5]
	s_waitcnt lgkmcnt(0)
	v_add_f32_e32 v22, s7, v22
.LBB281_10:
	s_or_b64 exec, exec, s[0:1]
	v_mov_b32_e32 v25, 0
	s_barrier
	ds_read_b32 v26, v25 offset:8
	v_cmp_eq_u32_e32 vcc, 0, v21
	v_cndmask_b32_e32 v21, v23, v24, vcc
	v_cmp_eq_u32_e32 vcc, 0, v0
	s_mov_b32 s7, 0
	s_waitcnt lgkmcnt(0)
	v_add_f32_e32 v21, v21, v26
	v_cndmask_b32_e32 v0, v21, v26, vcc
	v_add_f32_e32 v1, v1, v0
	v_add_f32_e32 v16, v16, v1
	;; [unrolled: 1-line block ×6, first 2 shown]
	global_store_dword v[2:3], v0, off
	global_store_dword v[4:5], v1, off
	;; [unrolled: 1-line block ×7, first 2 shown]
	s_and_saveexec_b64 s[0:1], vcc
	s_cbranch_execz .LBB281_12
; %bb.11:
	s_lshl_b64 s[0:1], s[6:7], 2
	s_add_u32 s0, s2, s0
	s_addc_u32 s1, s3, s1
	global_store_dword v25, v22, s[0:1]
.LBB281_12:
	s_endpgm
	.section	.rodata,"a",@progbits
	.p2align	6, 0x0
	.amdhsa_kernel _Z43exclusive_scan_prefix_callback_array_kernelILj162ELj7ELN6hipcub18BlockScanAlgorithmE0EfEvPT2_S3_S2_
		.amdhsa_group_segment_fixed_size 12
		.amdhsa_private_segment_fixed_size 0
		.amdhsa_kernarg_size 20
		.amdhsa_user_sgpr_count 6
		.amdhsa_user_sgpr_private_segment_buffer 1
		.amdhsa_user_sgpr_dispatch_ptr 0
		.amdhsa_user_sgpr_queue_ptr 0
		.amdhsa_user_sgpr_kernarg_segment_ptr 1
		.amdhsa_user_sgpr_dispatch_id 0
		.amdhsa_user_sgpr_flat_scratch_init 0
		.amdhsa_user_sgpr_kernarg_preload_length 0
		.amdhsa_user_sgpr_kernarg_preload_offset 0
		.amdhsa_user_sgpr_private_segment_size 0
		.amdhsa_uses_dynamic_stack 0
		.amdhsa_system_sgpr_private_segment_wavefront_offset 0
		.amdhsa_system_sgpr_workgroup_id_x 1
		.amdhsa_system_sgpr_workgroup_id_y 0
		.amdhsa_system_sgpr_workgroup_id_z 0
		.amdhsa_system_sgpr_workgroup_info 0
		.amdhsa_system_vgpr_workitem_id 0
		.amdhsa_next_free_vgpr 28
		.amdhsa_next_free_sgpr 10
		.amdhsa_accum_offset 28
		.amdhsa_reserve_vcc 1
		.amdhsa_reserve_flat_scratch 0
		.amdhsa_float_round_mode_32 0
		.amdhsa_float_round_mode_16_64 0
		.amdhsa_float_denorm_mode_32 3
		.amdhsa_float_denorm_mode_16_64 3
		.amdhsa_dx10_clamp 1
		.amdhsa_ieee_mode 1
		.amdhsa_fp16_overflow 0
		.amdhsa_tg_split 0
		.amdhsa_exception_fp_ieee_invalid_op 0
		.amdhsa_exception_fp_denorm_src 0
		.amdhsa_exception_fp_ieee_div_zero 0
		.amdhsa_exception_fp_ieee_overflow 0
		.amdhsa_exception_fp_ieee_underflow 0
		.amdhsa_exception_fp_ieee_inexact 0
		.amdhsa_exception_int_div_zero 0
	.end_amdhsa_kernel
	.section	.text._Z43exclusive_scan_prefix_callback_array_kernelILj162ELj7ELN6hipcub18BlockScanAlgorithmE0EfEvPT2_S3_S2_,"axG",@progbits,_Z43exclusive_scan_prefix_callback_array_kernelILj162ELj7ELN6hipcub18BlockScanAlgorithmE0EfEvPT2_S3_S2_,comdat
.Lfunc_end281:
	.size	_Z43exclusive_scan_prefix_callback_array_kernelILj162ELj7ELN6hipcub18BlockScanAlgorithmE0EfEvPT2_S3_S2_, .Lfunc_end281-_Z43exclusive_scan_prefix_callback_array_kernelILj162ELj7ELN6hipcub18BlockScanAlgorithmE0EfEvPT2_S3_S2_
                                        ; -- End function
	.section	.AMDGPU.csdata,"",@progbits
; Kernel info:
; codeLenInByte = 944
; NumSgprs: 14
; NumVgprs: 28
; NumAgprs: 0
; TotalNumVgprs: 28
; ScratchSize: 0
; MemoryBound: 0
; FloatMode: 240
; IeeeMode: 1
; LDSByteSize: 12 bytes/workgroup (compile time only)
; SGPRBlocks: 1
; VGPRBlocks: 3
; NumSGPRsForWavesPerEU: 14
; NumVGPRsForWavesPerEU: 28
; AccumOffset: 28
; Occupancy: 8
; WaveLimiterHint : 0
; COMPUTE_PGM_RSRC2:SCRATCH_EN: 0
; COMPUTE_PGM_RSRC2:USER_SGPR: 6
; COMPUTE_PGM_RSRC2:TRAP_HANDLER: 0
; COMPUTE_PGM_RSRC2:TGID_X_EN: 1
; COMPUTE_PGM_RSRC2:TGID_Y_EN: 0
; COMPUTE_PGM_RSRC2:TGID_Z_EN: 0
; COMPUTE_PGM_RSRC2:TIDIG_COMP_CNT: 0
; COMPUTE_PGM_RSRC3_GFX90A:ACCUM_OFFSET: 6
; COMPUTE_PGM_RSRC3_GFX90A:TG_SPLIT: 0
	.section	.text._Z43exclusive_scan_prefix_callback_array_kernelILj65ELj5ELN6hipcub18BlockScanAlgorithmE0EfEvPT2_S3_S2_,"axG",@progbits,_Z43exclusive_scan_prefix_callback_array_kernelILj65ELj5ELN6hipcub18BlockScanAlgorithmE0EfEvPT2_S3_S2_,comdat
	.protected	_Z43exclusive_scan_prefix_callback_array_kernelILj65ELj5ELN6hipcub18BlockScanAlgorithmE0EfEvPT2_S3_S2_ ; -- Begin function _Z43exclusive_scan_prefix_callback_array_kernelILj65ELj5ELN6hipcub18BlockScanAlgorithmE0EfEvPT2_S3_S2_
	.globl	_Z43exclusive_scan_prefix_callback_array_kernelILj65ELj5ELN6hipcub18BlockScanAlgorithmE0EfEvPT2_S3_S2_
	.p2align	8
	.type	_Z43exclusive_scan_prefix_callback_array_kernelILj65ELj5ELN6hipcub18BlockScanAlgorithmE0EfEvPT2_S3_S2_,@function
_Z43exclusive_scan_prefix_callback_array_kernelILj65ELj5ELN6hipcub18BlockScanAlgorithmE0EfEvPT2_S3_S2_: ; @_Z43exclusive_scan_prefix_callback_array_kernelILj65ELj5ELN6hipcub18BlockScanAlgorithmE0EfEvPT2_S3_S2_
; %bb.0:
	s_load_dwordx4 s[8:11], s[4:5], 0x0
	s_mul_i32 s0, s6, 0x41
	v_add_u32_e32 v1, s0, v0
	v_lshl_add_u32 v10, v1, 2, v1
	v_mov_b32_e32 v11, 0
	v_lshlrev_b64 v[2:3], 2, v[10:11]
	s_waitcnt lgkmcnt(0)
	v_mov_b32_e32 v1, s9
	v_add_co_u32_e32 v2, vcc, s8, v2
	v_add_u32_e32 v4, 1, v10
	v_mov_b32_e32 v5, v11
	v_addc_co_u32_e32 v3, vcc, v1, v3, vcc
	v_lshlrev_b64 v[4:5], 2, v[4:5]
	v_add_co_u32_e32 v4, vcc, s8, v4
	v_add_u32_e32 v6, 2, v10
	v_mov_b32_e32 v7, v11
	v_addc_co_u32_e32 v5, vcc, v1, v5, vcc
	v_lshlrev_b64 v[6:7], 2, v[6:7]
	;; [unrolled: 5-line block ×3, first 2 shown]
	v_add_co_u32_e32 v8, vcc, s8, v8
	v_add_u32_e32 v10, 4, v10
	v_addc_co_u32_e32 v9, vcc, v1, v9, vcc
	v_lshlrev_b64 v[10:11], 2, v[10:11]
	v_add_co_u32_e32 v10, vcc, s8, v10
	v_addc_co_u32_e32 v11, vcc, v1, v11, vcc
	global_load_dword v1, v[2:3], off
	global_load_dword v12, v[4:5], off
	global_load_dword v13, v[6:7], off
	global_load_dword v14, v[8:9], off
	global_load_dword v17, v[10:11], off
	v_mbcnt_lo_u32_b32 v15, -1, 0
	v_mbcnt_hi_u32_b32 v15, -1, v15
	v_and_b32_e32 v19, 15, v15
	v_cmp_eq_u32_e64 s[2:3], 0, v19
	v_and_b32_e32 v20, 16, v15
	v_cmp_gt_u32_e32 vcc, 64, v0
	v_cndmask_b32_e64 v18, 64, 63, vcc
	v_lshrrev_b32_e32 v16, 6, v0
	v_cmp_lt_u32_e64 s[0:1], 63, v0
	s_waitcnt vmcnt(3)
	v_add_f32_e32 v21, v1, v12
	s_waitcnt vmcnt(2)
	v_add_f32_e32 v21, v13, v21
	;; [unrolled: 2-line block ×4, first 2 shown]
	s_nop 1
	v_mov_b32_dpp v21, v17 row_shr:1 row_mask:0xf bank_mask:0xf
	v_add_f32_e32 v21, v17, v21
	v_cndmask_b32_e64 v17, v21, v17, s[2:3]
	v_cmp_lt_u32_e64 s[2:3], 1, v19
	s_nop 0
	v_mov_b32_dpp v21, v17 row_shr:2 row_mask:0xf bank_mask:0xf
	v_add_f32_e32 v21, v17, v21
	v_cndmask_b32_e64 v17, v17, v21, s[2:3]
	v_cmp_lt_u32_e64 s[2:3], 3, v19
	;; [unrolled: 5-line block ×3, first 2 shown]
	s_nop 0
	v_mov_b32_dpp v21, v17 row_shr:8 row_mask:0xf bank_mask:0xf
	v_add_f32_e32 v21, v17, v21
	v_cndmask_b32_e64 v17, v17, v21, s[2:3]
	v_cmp_eq_u32_e64 s[2:3], 0, v20
	s_nop 0
	v_mov_b32_dpp v19, v17 row_bcast:15 row_mask:0xf bank_mask:0xf
	v_add_f32_e32 v19, v17, v19
	v_cndmask_b32_e64 v17, v19, v17, s[2:3]
	v_cmp_lt_u32_e64 s[2:3], 31, v15
	s_nop 0
	v_mov_b32_dpp v19, v17 row_bcast:31 row_mask:0xf bank_mask:0xf
	v_add_f32_e32 v19, v17, v19
	v_cndmask_b32_e64 v17, v17, v19, s[2:3]
	v_cmp_eq_u32_e64 s[2:3], v18, v0
	s_and_saveexec_b64 s[8:9], s[2:3]
	s_cbranch_execz .LBB282_2
; %bb.1:
	v_lshlrev_b32_e32 v18, 2, v16
	ds_write_b32 v18, v17
.LBB282_2:
	s_or_b64 exec, exec, s[8:9]
	v_cmp_gt_u32_e64 s[2:3], 2, v0
	s_waitcnt lgkmcnt(0)
	s_barrier
	s_and_saveexec_b64 s[8:9], s[2:3]
	s_cbranch_execz .LBB282_4
; %bb.3:
	v_lshlrev_b32_e32 v18, 2, v0
	ds_read_b32 v19, v18
	v_and_b32_e32 v20, 1, v15
	v_cmp_eq_u32_e64 s[2:3], 0, v20
	s_waitcnt lgkmcnt(0)
	v_mov_b32_dpp v21, v19 row_shr:1 row_mask:0xf bank_mask:0xf
	v_add_f32_e32 v21, v19, v21
	v_cndmask_b32_e64 v19, v21, v19, s[2:3]
	ds_write_b32 v18, v19
.LBB282_4:
	s_or_b64 exec, exec, s[8:9]
	s_waitcnt lgkmcnt(0)
	s_barrier
	s_waitcnt lgkmcnt(0)
                                        ; implicit-def: $vgpr18
	s_and_saveexec_b64 s[2:3], s[0:1]
	s_cbranch_execz .LBB282_6
; %bb.5:
	v_lshl_add_u32 v16, v16, 2, -4
	ds_read_b32 v18, v16
	s_waitcnt lgkmcnt(0)
	v_add_f32_e32 v17, v17, v18
.LBB282_6:
	s_or_b64 exec, exec, s[2:3]
	v_add_u32_e32 v16, -1, v15
	v_and_b32_e32 v19, 64, v15
	v_cmp_lt_i32_e64 s[0:1], v16, v19
	v_cndmask_b32_e64 v16, v16, v15, s[0:1]
	s_load_dword s4, s[4:5], 0x10
	v_lshlrev_b32_e32 v16, 2, v16
	ds_bpermute_b32 v17, v16, v17
	s_waitcnt lgkmcnt(0)
	v_mov_b32_e32 v16, s4
	s_and_saveexec_b64 s[0:1], vcc
	s_cbranch_execz .LBB282_10
; %bb.7:
	v_mov_b32_e32 v19, 0
	ds_read_b32 v16, v19 offset:4
	v_cmp_eq_u32_e32 vcc, 0, v0
	s_and_saveexec_b64 s[2:3], vcc
	s_cbranch_execz .LBB282_9
; %bb.8:
	v_mov_b32_e32 v20, s4
	ds_write_b32 v19, v20 offset:4
.LBB282_9:
	s_or_b64 exec, exec, s[2:3]
	s_waitcnt lgkmcnt(0)
	v_add_f32_e32 v16, s4, v16
.LBB282_10:
	s_or_b64 exec, exec, s[0:1]
	v_mov_b32_e32 v19, 0
	s_barrier
	ds_read_b32 v20, v19 offset:4
	v_cmp_eq_u32_e32 vcc, 0, v15
	v_cndmask_b32_e32 v15, v17, v18, vcc
	v_cmp_eq_u32_e32 vcc, 0, v0
	s_mov_b32 s7, 0
	s_waitcnt lgkmcnt(0)
	v_add_f32_e32 v15, v15, v20
	v_cndmask_b32_e32 v0, v15, v20, vcc
	v_add_f32_e32 v1, v1, v0
	v_add_f32_e32 v12, v12, v1
	;; [unrolled: 1-line block ×4, first 2 shown]
	global_store_dword v[2:3], v0, off
	global_store_dword v[4:5], v1, off
	;; [unrolled: 1-line block ×5, first 2 shown]
	s_and_saveexec_b64 s[0:1], vcc
	s_cbranch_execz .LBB282_12
; %bb.11:
	s_lshl_b64 s[0:1], s[6:7], 2
	s_add_u32 s0, s10, s0
	s_addc_u32 s1, s11, s1
	global_store_dword v19, v16, s[0:1]
.LBB282_12:
	s_endpgm
	.section	.rodata,"a",@progbits
	.p2align	6, 0x0
	.amdhsa_kernel _Z43exclusive_scan_prefix_callback_array_kernelILj65ELj5ELN6hipcub18BlockScanAlgorithmE0EfEvPT2_S3_S2_
		.amdhsa_group_segment_fixed_size 8
		.amdhsa_private_segment_fixed_size 0
		.amdhsa_kernarg_size 20
		.amdhsa_user_sgpr_count 6
		.amdhsa_user_sgpr_private_segment_buffer 1
		.amdhsa_user_sgpr_dispatch_ptr 0
		.amdhsa_user_sgpr_queue_ptr 0
		.amdhsa_user_sgpr_kernarg_segment_ptr 1
		.amdhsa_user_sgpr_dispatch_id 0
		.amdhsa_user_sgpr_flat_scratch_init 0
		.amdhsa_user_sgpr_kernarg_preload_length 0
		.amdhsa_user_sgpr_kernarg_preload_offset 0
		.amdhsa_user_sgpr_private_segment_size 0
		.amdhsa_uses_dynamic_stack 0
		.amdhsa_system_sgpr_private_segment_wavefront_offset 0
		.amdhsa_system_sgpr_workgroup_id_x 1
		.amdhsa_system_sgpr_workgroup_id_y 0
		.amdhsa_system_sgpr_workgroup_id_z 0
		.amdhsa_system_sgpr_workgroup_info 0
		.amdhsa_system_vgpr_workitem_id 0
		.amdhsa_next_free_vgpr 22
		.amdhsa_next_free_sgpr 12
		.amdhsa_accum_offset 24
		.amdhsa_reserve_vcc 1
		.amdhsa_reserve_flat_scratch 0
		.amdhsa_float_round_mode_32 0
		.amdhsa_float_round_mode_16_64 0
		.amdhsa_float_denorm_mode_32 3
		.amdhsa_float_denorm_mode_16_64 3
		.amdhsa_dx10_clamp 1
		.amdhsa_ieee_mode 1
		.amdhsa_fp16_overflow 0
		.amdhsa_tg_split 0
		.amdhsa_exception_fp_ieee_invalid_op 0
		.amdhsa_exception_fp_denorm_src 0
		.amdhsa_exception_fp_ieee_div_zero 0
		.amdhsa_exception_fp_ieee_overflow 0
		.amdhsa_exception_fp_ieee_underflow 0
		.amdhsa_exception_fp_ieee_inexact 0
		.amdhsa_exception_int_div_zero 0
	.end_amdhsa_kernel
	.section	.text._Z43exclusive_scan_prefix_callback_array_kernelILj65ELj5ELN6hipcub18BlockScanAlgorithmE0EfEvPT2_S3_S2_,"axG",@progbits,_Z43exclusive_scan_prefix_callback_array_kernelILj65ELj5ELN6hipcub18BlockScanAlgorithmE0EfEvPT2_S3_S2_,comdat
.Lfunc_end282:
	.size	_Z43exclusive_scan_prefix_callback_array_kernelILj65ELj5ELN6hipcub18BlockScanAlgorithmE0EfEvPT2_S3_S2_, .Lfunc_end282-_Z43exclusive_scan_prefix_callback_array_kernelILj65ELj5ELN6hipcub18BlockScanAlgorithmE0EfEvPT2_S3_S2_
                                        ; -- End function
	.section	.AMDGPU.csdata,"",@progbits
; Kernel info:
; codeLenInByte = 868
; NumSgprs: 16
; NumVgprs: 22
; NumAgprs: 0
; TotalNumVgprs: 22
; ScratchSize: 0
; MemoryBound: 0
; FloatMode: 240
; IeeeMode: 1
; LDSByteSize: 8 bytes/workgroup (compile time only)
; SGPRBlocks: 1
; VGPRBlocks: 2
; NumSGPRsForWavesPerEU: 16
; NumVGPRsForWavesPerEU: 22
; AccumOffset: 24
; Occupancy: 8
; WaveLimiterHint : 0
; COMPUTE_PGM_RSRC2:SCRATCH_EN: 0
; COMPUTE_PGM_RSRC2:USER_SGPR: 6
; COMPUTE_PGM_RSRC2:TRAP_HANDLER: 0
; COMPUTE_PGM_RSRC2:TGID_X_EN: 1
; COMPUTE_PGM_RSRC2:TGID_Y_EN: 0
; COMPUTE_PGM_RSRC2:TGID_Z_EN: 0
; COMPUTE_PGM_RSRC2:TIDIG_COMP_CNT: 0
; COMPUTE_PGM_RSRC3_GFX90A:ACCUM_OFFSET: 5
; COMPUTE_PGM_RSRC3_GFX90A:TG_SPLIT: 0
	.section	.text._Z43exclusive_scan_prefix_callback_array_kernelILj37ELj2ELN6hipcub18BlockScanAlgorithmE0EfEvPT2_S3_S2_,"axG",@progbits,_Z43exclusive_scan_prefix_callback_array_kernelILj37ELj2ELN6hipcub18BlockScanAlgorithmE0EfEvPT2_S3_S2_,comdat
	.protected	_Z43exclusive_scan_prefix_callback_array_kernelILj37ELj2ELN6hipcub18BlockScanAlgorithmE0EfEvPT2_S3_S2_ ; -- Begin function _Z43exclusive_scan_prefix_callback_array_kernelILj37ELj2ELN6hipcub18BlockScanAlgorithmE0EfEvPT2_S3_S2_
	.globl	_Z43exclusive_scan_prefix_callback_array_kernelILj37ELj2ELN6hipcub18BlockScanAlgorithmE0EfEvPT2_S3_S2_
	.p2align	8
	.type	_Z43exclusive_scan_prefix_callback_array_kernelILj37ELj2ELN6hipcub18BlockScanAlgorithmE0EfEvPT2_S3_S2_,@function
_Z43exclusive_scan_prefix_callback_array_kernelILj37ELj2ELN6hipcub18BlockScanAlgorithmE0EfEvPT2_S3_S2_: ; @_Z43exclusive_scan_prefix_callback_array_kernelILj37ELj2ELN6hipcub18BlockScanAlgorithmE0EfEvPT2_S3_S2_
; %bb.0:
	s_load_dwordx4 s[0:3], s[4:5], 0x0
	s_mul_i32 s7, s6, 37
	v_add_lshl_u32 v6, s7, v0, 1
	v_mov_b32_e32 v7, 0
	v_lshlrev_b64 v[2:3], 2, v[6:7]
	s_waitcnt lgkmcnt(0)
	v_mov_b32_e32 v1, s1
	v_add_co_u32_e32 v2, vcc, s0, v2
	v_addc_co_u32_e32 v3, vcc, v1, v3, vcc
	global_load_dwordx2 v[4:5], v[2:3], off
	v_mbcnt_lo_u32_b32 v1, -1, 0
	v_mbcnt_hi_u32_b32 v1, -1, v1
	v_and_b32_e32 v6, 15, v1
	v_cmp_eq_u32_e32 vcc, 0, v6
	v_and_b32_e32 v8, 16, v1
	s_waitcnt vmcnt(0)
	v_add_f32_e32 v5, v4, v5
	s_nop 1
	v_mov_b32_dpp v9, v5 row_shr:1 row_mask:0xf bank_mask:0xf
	v_add_f32_e32 v9, v5, v9
	v_cndmask_b32_e32 v5, v9, v5, vcc
	v_cmp_lt_u32_e32 vcc, 1, v6
	s_nop 0
	v_mov_b32_dpp v9, v5 row_shr:2 row_mask:0xf bank_mask:0xf
	v_add_f32_e32 v9, v5, v9
	v_cndmask_b32_e32 v5, v5, v9, vcc
	v_cmp_lt_u32_e32 vcc, 3, v6
	s_nop 0
	v_mov_b32_dpp v9, v5 row_shr:4 row_mask:0xf bank_mask:0xf
	v_add_f32_e32 v9, v5, v9
	v_cndmask_b32_e32 v5, v5, v9, vcc
	v_cmp_lt_u32_e32 vcc, 7, v6
	s_nop 0
	v_mov_b32_dpp v9, v5 row_shr:8 row_mask:0xf bank_mask:0xf
	v_add_f32_e32 v9, v5, v9
	v_cndmask_b32_e32 v5, v5, v9, vcc
	v_cmp_eq_u32_e32 vcc, 0, v8
	s_nop 0
	v_mov_b32_dpp v6, v5 row_bcast:15 row_mask:0xf bank_mask:0xf
	v_add_f32_e32 v6, v5, v6
	v_cndmask_b32_e32 v5, v6, v5, vcc
	v_cmp_lt_u32_e32 vcc, 31, v1
	s_nop 0
	v_mov_b32_dpp v6, v5 row_bcast:31 row_mask:0xf bank_mask:0xf
	v_add_f32_e32 v6, v5, v6
	v_cndmask_b32_e32 v5, v5, v6, vcc
	v_cmp_eq_u32_e32 vcc, 36, v0
	s_and_saveexec_b64 s[0:1], vcc
	s_cbranch_execz .LBB283_2
; %bb.1:
	ds_write_b32 v7, v5
.LBB283_2:
	s_or_b64 exec, exec, s[0:1]
	v_add_u32_e32 v6, -1, v1
	v_and_b32_e32 v7, 64, v1
	v_cmp_lt_i32_e32 vcc, v6, v7
	v_cndmask_b32_e32 v1, v6, v1, vcc
	s_load_dword s7, s[4:5], 0x10
	v_lshlrev_b32_e32 v1, 2, v1
	ds_bpermute_b32 v5, v1, v5
	v_cmp_gt_u32_e32 vcc, 64, v0
	s_waitcnt lgkmcnt(0)
	v_mov_b32_e32 v1, s7
	; wave barrier
	s_and_saveexec_b64 s[0:1], vcc
	s_cbranch_execz .LBB283_6
; %bb.3:
	v_mov_b32_e32 v6, 0
	ds_read_b32 v1, v6
	v_cmp_eq_u32_e32 vcc, 0, v0
	s_and_saveexec_b64 s[4:5], vcc
	s_cbranch_execz .LBB283_5
; %bb.4:
	v_mov_b32_e32 v7, s7
	ds_write_b32 v6, v7
.LBB283_5:
	s_or_b64 exec, exec, s[4:5]
	s_waitcnt lgkmcnt(0)
	v_add_f32_e32 v1, s7, v1
.LBB283_6:
	s_or_b64 exec, exec, s[0:1]
	v_mov_b32_e32 v6, 0
	s_waitcnt lgkmcnt(0)
	; wave barrier
	ds_read_b32 v7, v6
	v_cmp_eq_u32_e32 vcc, 0, v0
	s_mov_b32 s7, 0
	s_waitcnt lgkmcnt(0)
	v_add_f32_e32 v5, v7, v5
	v_cndmask_b32_e32 v8, v5, v7, vcc
	v_add_f32_e32 v9, v4, v8
	global_store_dwordx2 v[2:3], v[8:9], off
	s_and_saveexec_b64 s[0:1], vcc
	s_cbranch_execz .LBB283_8
; %bb.7:
	s_lshl_b64 s[0:1], s[6:7], 2
	s_add_u32 s0, s2, s0
	s_addc_u32 s1, s3, s1
	global_store_dword v6, v1, s[0:1]
.LBB283_8:
	s_endpgm
	.section	.rodata,"a",@progbits
	.p2align	6, 0x0
	.amdhsa_kernel _Z43exclusive_scan_prefix_callback_array_kernelILj37ELj2ELN6hipcub18BlockScanAlgorithmE0EfEvPT2_S3_S2_
		.amdhsa_group_segment_fixed_size 4
		.amdhsa_private_segment_fixed_size 0
		.amdhsa_kernarg_size 20
		.amdhsa_user_sgpr_count 6
		.amdhsa_user_sgpr_private_segment_buffer 1
		.amdhsa_user_sgpr_dispatch_ptr 0
		.amdhsa_user_sgpr_queue_ptr 0
		.amdhsa_user_sgpr_kernarg_segment_ptr 1
		.amdhsa_user_sgpr_dispatch_id 0
		.amdhsa_user_sgpr_flat_scratch_init 0
		.amdhsa_user_sgpr_kernarg_preload_length 0
		.amdhsa_user_sgpr_kernarg_preload_offset 0
		.amdhsa_user_sgpr_private_segment_size 0
		.amdhsa_uses_dynamic_stack 0
		.amdhsa_system_sgpr_private_segment_wavefront_offset 0
		.amdhsa_system_sgpr_workgroup_id_x 1
		.amdhsa_system_sgpr_workgroup_id_y 0
		.amdhsa_system_sgpr_workgroup_id_z 0
		.amdhsa_system_sgpr_workgroup_info 0
		.amdhsa_system_vgpr_workitem_id 0
		.amdhsa_next_free_vgpr 10
		.amdhsa_next_free_sgpr 8
		.amdhsa_accum_offset 12
		.amdhsa_reserve_vcc 1
		.amdhsa_reserve_flat_scratch 0
		.amdhsa_float_round_mode_32 0
		.amdhsa_float_round_mode_16_64 0
		.amdhsa_float_denorm_mode_32 3
		.amdhsa_float_denorm_mode_16_64 3
		.amdhsa_dx10_clamp 1
		.amdhsa_ieee_mode 1
		.amdhsa_fp16_overflow 0
		.amdhsa_tg_split 0
		.amdhsa_exception_fp_ieee_invalid_op 0
		.amdhsa_exception_fp_denorm_src 0
		.amdhsa_exception_fp_ieee_div_zero 0
		.amdhsa_exception_fp_ieee_overflow 0
		.amdhsa_exception_fp_ieee_underflow 0
		.amdhsa_exception_fp_ieee_inexact 0
		.amdhsa_exception_int_div_zero 0
	.end_amdhsa_kernel
	.section	.text._Z43exclusive_scan_prefix_callback_array_kernelILj37ELj2ELN6hipcub18BlockScanAlgorithmE0EfEvPT2_S3_S2_,"axG",@progbits,_Z43exclusive_scan_prefix_callback_array_kernelILj37ELj2ELN6hipcub18BlockScanAlgorithmE0EfEvPT2_S3_S2_,comdat
.Lfunc_end283:
	.size	_Z43exclusive_scan_prefix_callback_array_kernelILj37ELj2ELN6hipcub18BlockScanAlgorithmE0EfEvPT2_S3_S2_, .Lfunc_end283-_Z43exclusive_scan_prefix_callback_array_kernelILj37ELj2ELN6hipcub18BlockScanAlgorithmE0EfEvPT2_S3_S2_
                                        ; -- End function
	.section	.AMDGPU.csdata,"",@progbits
; Kernel info:
; codeLenInByte = 444
; NumSgprs: 12
; NumVgprs: 10
; NumAgprs: 0
; TotalNumVgprs: 10
; ScratchSize: 0
; MemoryBound: 0
; FloatMode: 240
; IeeeMode: 1
; LDSByteSize: 4 bytes/workgroup (compile time only)
; SGPRBlocks: 1
; VGPRBlocks: 1
; NumSGPRsForWavesPerEU: 12
; NumVGPRsForWavesPerEU: 10
; AccumOffset: 12
; Occupancy: 8
; WaveLimiterHint : 0
; COMPUTE_PGM_RSRC2:SCRATCH_EN: 0
; COMPUTE_PGM_RSRC2:USER_SGPR: 6
; COMPUTE_PGM_RSRC2:TRAP_HANDLER: 0
; COMPUTE_PGM_RSRC2:TGID_X_EN: 1
; COMPUTE_PGM_RSRC2:TGID_Y_EN: 0
; COMPUTE_PGM_RSRC2:TGID_Z_EN: 0
; COMPUTE_PGM_RSRC2:TIDIG_COMP_CNT: 0
; COMPUTE_PGM_RSRC3_GFX90A:ACCUM_OFFSET: 2
; COMPUTE_PGM_RSRC3_GFX90A:TG_SPLIT: 0
	.section	.text._Z43exclusive_scan_prefix_callback_array_kernelILj512ELj4ELN6hipcub18BlockScanAlgorithmE0EiEvPT2_S3_S2_,"axG",@progbits,_Z43exclusive_scan_prefix_callback_array_kernelILj512ELj4ELN6hipcub18BlockScanAlgorithmE0EiEvPT2_S3_S2_,comdat
	.protected	_Z43exclusive_scan_prefix_callback_array_kernelILj512ELj4ELN6hipcub18BlockScanAlgorithmE0EiEvPT2_S3_S2_ ; -- Begin function _Z43exclusive_scan_prefix_callback_array_kernelILj512ELj4ELN6hipcub18BlockScanAlgorithmE0EiEvPT2_S3_S2_
	.globl	_Z43exclusive_scan_prefix_callback_array_kernelILj512ELj4ELN6hipcub18BlockScanAlgorithmE0EiEvPT2_S3_S2_
	.p2align	8
	.type	_Z43exclusive_scan_prefix_callback_array_kernelILj512ELj4ELN6hipcub18BlockScanAlgorithmE0EiEvPT2_S3_S2_,@function
_Z43exclusive_scan_prefix_callback_array_kernelILj512ELj4ELN6hipcub18BlockScanAlgorithmE0EiEvPT2_S3_S2_: ; @_Z43exclusive_scan_prefix_callback_array_kernelILj512ELj4ELN6hipcub18BlockScanAlgorithmE0EiEvPT2_S3_S2_
; %bb.0:
	s_load_dwordx4 s[0:3], s[4:5], 0x0
	v_lshlrev_b32_e32 v8, 2, v0
	v_lshl_or_b32 v2, s6, 11, v8
	v_mov_b32_e32 v3, 0
	v_lshlrev_b64 v[2:3], 2, v[2:3]
	s_waitcnt lgkmcnt(0)
	v_mov_b32_e32 v1, s1
	v_add_co_u32_e32 v6, vcc, s0, v2
	v_addc_co_u32_e32 v7, vcc, v1, v3, vcc
	global_load_dwordx4 v[2:5], v[6:7], off
	v_mbcnt_lo_u32_b32 v1, -1, 0
	v_mbcnt_hi_u32_b32 v1, -1, v1
	v_and_b32_e32 v11, 15, v1
	v_cmp_ne_u32_e32 vcc, 0, v11
	v_bfe_i32 v12, v1, 4, 1
	v_or_b32_e32 v10, 63, v0
	v_lshrrev_b32_e32 v9, 6, v0
	s_waitcnt vmcnt(0)
	v_add_u32_e32 v13, v3, v2
	v_add3_u32 v5, v13, v4, v5
	s_nop 1
	v_mov_b32_dpp v13, v5 row_shr:1 row_mask:0xf bank_mask:0xf
	v_cndmask_b32_e32 v13, 0, v13, vcc
	v_add_u32_e32 v5, v13, v5
	v_cmp_lt_u32_e32 vcc, 1, v11
	s_nop 0
	v_mov_b32_dpp v13, v5 row_shr:2 row_mask:0xf bank_mask:0xf
	v_cndmask_b32_e32 v13, 0, v13, vcc
	v_add_u32_e32 v5, v5, v13
	v_cmp_lt_u32_e32 vcc, 3, v11
	;; [unrolled: 5-line block ×4, first 2 shown]
	s_nop 0
	v_mov_b32_dpp v11, v5 row_bcast:15 row_mask:0xf bank_mask:0xf
	v_and_b32_e32 v11, v12, v11
	v_add_u32_e32 v5, v5, v11
	s_nop 1
	v_mov_b32_dpp v11, v5 row_bcast:31 row_mask:0xf bank_mask:0xf
	v_cndmask_b32_e32 v11, 0, v11, vcc
	v_add_u32_e32 v5, v5, v11
	v_cmp_eq_u32_e32 vcc, v10, v0
	s_and_saveexec_b64 s[0:1], vcc
	s_cbranch_execz .LBB284_2
; %bb.1:
	v_lshlrev_b32_e32 v10, 2, v9
	ds_write_b32 v10, v5
.LBB284_2:
	s_or_b64 exec, exec, s[0:1]
	v_cmp_gt_u32_e32 vcc, 8, v0
	s_waitcnt lgkmcnt(0)
	s_barrier
	s_and_saveexec_b64 s[0:1], vcc
	s_cbranch_execz .LBB284_4
; %bb.3:
	ds_read_b32 v10, v8
	v_and_b32_e32 v11, 7, v1
	v_cmp_ne_u32_e32 vcc, 0, v11
	s_waitcnt lgkmcnt(0)
	v_mov_b32_dpp v12, v10 row_shr:1 row_mask:0xf bank_mask:0xf
	v_cndmask_b32_e32 v12, 0, v12, vcc
	v_add_u32_e32 v10, v12, v10
	v_cmp_lt_u32_e32 vcc, 1, v11
	s_nop 0
	v_mov_b32_dpp v12, v10 row_shr:2 row_mask:0xf bank_mask:0xf
	v_cndmask_b32_e32 v12, 0, v12, vcc
	v_add_u32_e32 v10, v10, v12
	v_cmp_lt_u32_e32 vcc, 3, v11
	s_nop 0
	v_mov_b32_dpp v12, v10 row_shr:4 row_mask:0xf bank_mask:0xf
	v_cndmask_b32_e32 v11, 0, v12, vcc
	v_add_u32_e32 v10, v10, v11
	ds_write_b32 v8, v10
.LBB284_4:
	s_or_b64 exec, exec, s[0:1]
	v_cmp_gt_u32_e32 vcc, 64, v0
	v_cmp_lt_u32_e64 s[0:1], 63, v0
	s_waitcnt lgkmcnt(0)
	s_barrier
	s_waitcnt lgkmcnt(0)
                                        ; implicit-def: $vgpr8
	s_and_saveexec_b64 s[8:9], s[0:1]
	s_cbranch_execz .LBB284_6
; %bb.5:
	v_lshl_add_u32 v8, v9, 2, -4
	ds_read_b32 v8, v8
	s_waitcnt lgkmcnt(0)
	v_add_u32_e32 v5, v8, v5
.LBB284_6:
	s_or_b64 exec, exec, s[8:9]
	v_add_u32_e32 v9, -1, v1
	v_and_b32_e32 v10, 64, v1
	v_cmp_lt_i32_e64 s[0:1], v9, v10
	v_cndmask_b32_e64 v9, v9, v1, s[0:1]
	s_load_dword s7, s[4:5], 0x10
	v_lshlrev_b32_e32 v9, 2, v9
	ds_bpermute_b32 v9, v9, v5
	s_waitcnt lgkmcnt(0)
	v_mov_b32_e32 v5, s7
	s_and_saveexec_b64 s[0:1], vcc
	s_cbranch_execz .LBB284_10
; %bb.7:
	v_mov_b32_e32 v10, 0
	ds_read_b32 v5, v10 offset:28
	v_cmp_eq_u32_e32 vcc, 0, v0
	s_and_saveexec_b64 s[4:5], vcc
	s_cbranch_execz .LBB284_9
; %bb.8:
	v_mov_b32_e32 v11, s7
	ds_write_b32 v10, v11 offset:28
.LBB284_9:
	s_or_b64 exec, exec, s[4:5]
	s_waitcnt lgkmcnt(0)
	v_add_u32_e32 v5, s7, v5
.LBB284_10:
	s_or_b64 exec, exec, s[0:1]
	v_mov_b32_e32 v10, 0
	s_barrier
	ds_read_b32 v11, v10 offset:28
	v_cmp_eq_u32_e32 vcc, 0, v1
	v_cndmask_b32_e32 v1, v9, v8, vcc
	v_cmp_eq_u32_e32 vcc, 0, v0
	v_cndmask_b32_e64 v0, v1, 0, vcc
	s_waitcnt lgkmcnt(0)
	v_add_u32_e32 v0, v11, v0
	v_add_u32_e32 v1, v0, v2
	;; [unrolled: 1-line block ×3, first 2 shown]
	s_mov_b32 s7, 0
	v_add_u32_e32 v3, v2, v4
	global_store_dwordx4 v[6:7], v[0:3], off
	s_and_saveexec_b64 s[0:1], vcc
	s_cbranch_execz .LBB284_12
; %bb.11:
	s_lshl_b64 s[0:1], s[6:7], 2
	s_add_u32 s0, s2, s0
	s_addc_u32 s1, s3, s1
	global_store_dword v10, v5, s[0:1]
.LBB284_12:
	s_endpgm
	.section	.rodata,"a",@progbits
	.p2align	6, 0x0
	.amdhsa_kernel _Z43exclusive_scan_prefix_callback_array_kernelILj512ELj4ELN6hipcub18BlockScanAlgorithmE0EiEvPT2_S3_S2_
		.amdhsa_group_segment_fixed_size 32
		.amdhsa_private_segment_fixed_size 0
		.amdhsa_kernarg_size 20
		.amdhsa_user_sgpr_count 6
		.amdhsa_user_sgpr_private_segment_buffer 1
		.amdhsa_user_sgpr_dispatch_ptr 0
		.amdhsa_user_sgpr_queue_ptr 0
		.amdhsa_user_sgpr_kernarg_segment_ptr 1
		.amdhsa_user_sgpr_dispatch_id 0
		.amdhsa_user_sgpr_flat_scratch_init 0
		.amdhsa_user_sgpr_kernarg_preload_length 0
		.amdhsa_user_sgpr_kernarg_preload_offset 0
		.amdhsa_user_sgpr_private_segment_size 0
		.amdhsa_uses_dynamic_stack 0
		.amdhsa_system_sgpr_private_segment_wavefront_offset 0
		.amdhsa_system_sgpr_workgroup_id_x 1
		.amdhsa_system_sgpr_workgroup_id_y 0
		.amdhsa_system_sgpr_workgroup_id_z 0
		.amdhsa_system_sgpr_workgroup_info 0
		.amdhsa_system_vgpr_workitem_id 0
		.amdhsa_next_free_vgpr 14
		.amdhsa_next_free_sgpr 10
		.amdhsa_accum_offset 16
		.amdhsa_reserve_vcc 1
		.amdhsa_reserve_flat_scratch 0
		.amdhsa_float_round_mode_32 0
		.amdhsa_float_round_mode_16_64 0
		.amdhsa_float_denorm_mode_32 3
		.amdhsa_float_denorm_mode_16_64 3
		.amdhsa_dx10_clamp 1
		.amdhsa_ieee_mode 1
		.amdhsa_fp16_overflow 0
		.amdhsa_tg_split 0
		.amdhsa_exception_fp_ieee_invalid_op 0
		.amdhsa_exception_fp_denorm_src 0
		.amdhsa_exception_fp_ieee_div_zero 0
		.amdhsa_exception_fp_ieee_overflow 0
		.amdhsa_exception_fp_ieee_underflow 0
		.amdhsa_exception_fp_ieee_inexact 0
		.amdhsa_exception_int_div_zero 0
	.end_amdhsa_kernel
	.section	.text._Z43exclusive_scan_prefix_callback_array_kernelILj512ELj4ELN6hipcub18BlockScanAlgorithmE0EiEvPT2_S3_S2_,"axG",@progbits,_Z43exclusive_scan_prefix_callback_array_kernelILj512ELj4ELN6hipcub18BlockScanAlgorithmE0EiEvPT2_S3_S2_,comdat
.Lfunc_end284:
	.size	_Z43exclusive_scan_prefix_callback_array_kernelILj512ELj4ELN6hipcub18BlockScanAlgorithmE0EiEvPT2_S3_S2_, .Lfunc_end284-_Z43exclusive_scan_prefix_callback_array_kernelILj512ELj4ELN6hipcub18BlockScanAlgorithmE0EiEvPT2_S3_S2_
                                        ; -- End function
	.section	.AMDGPU.csdata,"",@progbits
; Kernel info:
; codeLenInByte = 664
; NumSgprs: 14
; NumVgprs: 14
; NumAgprs: 0
; TotalNumVgprs: 14
; ScratchSize: 0
; MemoryBound: 0
; FloatMode: 240
; IeeeMode: 1
; LDSByteSize: 32 bytes/workgroup (compile time only)
; SGPRBlocks: 1
; VGPRBlocks: 1
; NumSGPRsForWavesPerEU: 14
; NumVGPRsForWavesPerEU: 14
; AccumOffset: 16
; Occupancy: 8
; WaveLimiterHint : 0
; COMPUTE_PGM_RSRC2:SCRATCH_EN: 0
; COMPUTE_PGM_RSRC2:USER_SGPR: 6
; COMPUTE_PGM_RSRC2:TRAP_HANDLER: 0
; COMPUTE_PGM_RSRC2:TGID_X_EN: 1
; COMPUTE_PGM_RSRC2:TGID_Y_EN: 0
; COMPUTE_PGM_RSRC2:TGID_Z_EN: 0
; COMPUTE_PGM_RSRC2:TIDIG_COMP_CNT: 0
; COMPUTE_PGM_RSRC3_GFX90A:ACCUM_OFFSET: 3
; COMPUTE_PGM_RSRC3_GFX90A:TG_SPLIT: 0
	.section	.text._Z43exclusive_scan_prefix_callback_array_kernelILj256ELj3ELN6hipcub18BlockScanAlgorithmE0EjEvPT2_S3_S2_,"axG",@progbits,_Z43exclusive_scan_prefix_callback_array_kernelILj256ELj3ELN6hipcub18BlockScanAlgorithmE0EjEvPT2_S3_S2_,comdat
	.protected	_Z43exclusive_scan_prefix_callback_array_kernelILj256ELj3ELN6hipcub18BlockScanAlgorithmE0EjEvPT2_S3_S2_ ; -- Begin function _Z43exclusive_scan_prefix_callback_array_kernelILj256ELj3ELN6hipcub18BlockScanAlgorithmE0EjEvPT2_S3_S2_
	.globl	_Z43exclusive_scan_prefix_callback_array_kernelILj256ELj3ELN6hipcub18BlockScanAlgorithmE0EjEvPT2_S3_S2_
	.p2align	8
	.type	_Z43exclusive_scan_prefix_callback_array_kernelILj256ELj3ELN6hipcub18BlockScanAlgorithmE0EjEvPT2_S3_S2_,@function
_Z43exclusive_scan_prefix_callback_array_kernelILj256ELj3ELN6hipcub18BlockScanAlgorithmE0EjEvPT2_S3_S2_: ; @_Z43exclusive_scan_prefix_callback_array_kernelILj256ELj3ELN6hipcub18BlockScanAlgorithmE0EjEvPT2_S3_S2_
; %bb.0:
	s_load_dwordx4 s[0:3], s[4:5], 0x0
	v_lshl_or_b32 v1, s6, 8, v0
	v_lshl_add_u32 v6, v1, 1, v1
	v_mov_b32_e32 v7, 0
	v_lshlrev_b64 v[2:3], 2, v[6:7]
	s_waitcnt lgkmcnt(0)
	v_mov_b32_e32 v1, s1
	v_add_co_u32_e32 v2, vcc, s0, v2
	v_add_u32_e32 v4, 1, v6
	v_mov_b32_e32 v5, v7
	v_addc_co_u32_e32 v3, vcc, v1, v3, vcc
	v_lshlrev_b64 v[4:5], 2, v[4:5]
	v_add_co_u32_e32 v4, vcc, s0, v4
	v_add_u32_e32 v6, 2, v6
	v_addc_co_u32_e32 v5, vcc, v1, v5, vcc
	v_lshlrev_b64 v[6:7], 2, v[6:7]
	v_add_co_u32_e32 v6, vcc, s0, v6
	v_addc_co_u32_e32 v7, vcc, v1, v7, vcc
	global_load_dword v1, v[2:3], off
	global_load_dword v8, v[4:5], off
	;; [unrolled: 1-line block ×3, first 2 shown]
	v_mbcnt_lo_u32_b32 v9, -1, 0
	v_mbcnt_hi_u32_b32 v9, -1, v9
	v_and_b32_e32 v13, 15, v9
	v_cmp_ne_u32_e32 vcc, 0, v13
	v_bfe_i32 v14, v9, 4, 1
	v_or_b32_e32 v12, 63, v0
	v_lshrrev_b32_e32 v10, 6, v0
	s_waitcnt vmcnt(0)
	v_add3_u32 v11, v8, v1, v11
	s_nop 1
	v_mov_b32_dpp v15, v11 row_shr:1 row_mask:0xf bank_mask:0xf
	v_cndmask_b32_e32 v15, 0, v15, vcc
	v_add_u32_e32 v11, v15, v11
	v_cmp_lt_u32_e32 vcc, 1, v13
	s_nop 0
	v_mov_b32_dpp v15, v11 row_shr:2 row_mask:0xf bank_mask:0xf
	v_cndmask_b32_e32 v15, 0, v15, vcc
	v_add_u32_e32 v11, v11, v15
	v_cmp_lt_u32_e32 vcc, 3, v13
	;; [unrolled: 5-line block ×4, first 2 shown]
	s_nop 0
	v_mov_b32_dpp v13, v11 row_bcast:15 row_mask:0xf bank_mask:0xf
	v_and_b32_e32 v13, v14, v13
	v_add_u32_e32 v11, v11, v13
	s_nop 1
	v_mov_b32_dpp v13, v11 row_bcast:31 row_mask:0xf bank_mask:0xf
	v_cndmask_b32_e32 v13, 0, v13, vcc
	v_add_u32_e32 v11, v11, v13
	v_cmp_eq_u32_e32 vcc, v12, v0
	s_and_saveexec_b64 s[0:1], vcc
	s_cbranch_execz .LBB285_2
; %bb.1:
	v_lshlrev_b32_e32 v12, 2, v10
	ds_write_b32 v12, v11
.LBB285_2:
	s_or_b64 exec, exec, s[0:1]
	v_cmp_gt_u32_e32 vcc, 4, v0
	s_waitcnt lgkmcnt(0)
	s_barrier
	s_and_saveexec_b64 s[0:1], vcc
	s_cbranch_execz .LBB285_4
; %bb.3:
	v_lshlrev_b32_e32 v12, 2, v0
	ds_read_b32 v13, v12
	v_and_b32_e32 v14, 3, v9
	v_cmp_ne_u32_e32 vcc, 0, v14
	s_waitcnt lgkmcnt(0)
	v_mov_b32_dpp v15, v13 row_shr:1 row_mask:0xf bank_mask:0xf
	v_cndmask_b32_e32 v15, 0, v15, vcc
	v_add_u32_e32 v13, v15, v13
	v_cmp_lt_u32_e32 vcc, 1, v14
	s_nop 0
	v_mov_b32_dpp v15, v13 row_shr:2 row_mask:0xf bank_mask:0xf
	v_cndmask_b32_e32 v14, 0, v15, vcc
	v_add_u32_e32 v13, v13, v14
	ds_write_b32 v12, v13
.LBB285_4:
	s_or_b64 exec, exec, s[0:1]
	v_cmp_gt_u32_e32 vcc, 64, v0
	v_cmp_lt_u32_e64 s[0:1], 63, v0
	s_waitcnt lgkmcnt(0)
	s_barrier
	s_waitcnt lgkmcnt(0)
                                        ; implicit-def: $vgpr12
	s_and_saveexec_b64 s[8:9], s[0:1]
	s_cbranch_execz .LBB285_6
; %bb.5:
	v_lshl_add_u32 v10, v10, 2, -4
	ds_read_b32 v12, v10
	s_waitcnt lgkmcnt(0)
	v_add_u32_e32 v11, v12, v11
.LBB285_6:
	s_or_b64 exec, exec, s[8:9]
	v_add_u32_e32 v10, -1, v9
	v_and_b32_e32 v13, 64, v9
	v_cmp_lt_i32_e64 s[0:1], v10, v13
	v_cndmask_b32_e64 v10, v10, v9, s[0:1]
	s_load_dword s7, s[4:5], 0x10
	v_lshlrev_b32_e32 v10, 2, v10
	ds_bpermute_b32 v11, v10, v11
	s_waitcnt lgkmcnt(0)
	v_mov_b32_e32 v10, s7
	s_and_saveexec_b64 s[0:1], vcc
	s_cbranch_execz .LBB285_10
; %bb.7:
	v_mov_b32_e32 v13, 0
	ds_read_b32 v10, v13 offset:12
	v_cmp_eq_u32_e32 vcc, 0, v0
	s_and_saveexec_b64 s[4:5], vcc
	s_cbranch_execz .LBB285_9
; %bb.8:
	v_mov_b32_e32 v14, s7
	ds_write_b32 v13, v14 offset:12
.LBB285_9:
	s_or_b64 exec, exec, s[4:5]
	s_waitcnt lgkmcnt(0)
	v_add_u32_e32 v10, s7, v10
.LBB285_10:
	s_or_b64 exec, exec, s[0:1]
	v_mov_b32_e32 v13, 0
	s_barrier
	ds_read_b32 v14, v13 offset:12
	v_cmp_eq_u32_e32 vcc, 0, v9
	v_cndmask_b32_e32 v9, v11, v12, vcc
	v_cmp_eq_u32_e32 vcc, 0, v0
	v_cndmask_b32_e64 v0, v9, 0, vcc
	s_waitcnt lgkmcnt(0)
	v_add_u32_e32 v0, v14, v0
	s_mov_b32 s7, 0
	v_add_u32_e32 v1, v0, v1
	v_add_u32_e32 v8, v1, v8
	global_store_dword v[2:3], v0, off
	global_store_dword v[4:5], v1, off
	;; [unrolled: 1-line block ×3, first 2 shown]
	s_and_saveexec_b64 s[0:1], vcc
	s_cbranch_execz .LBB285_12
; %bb.11:
	s_lshl_b64 s[0:1], s[6:7], 2
	s_add_u32 s0, s2, s0
	s_addc_u32 s1, s3, s1
	global_store_dword v13, v10, s[0:1]
.LBB285_12:
	s_endpgm
	.section	.rodata,"a",@progbits
	.p2align	6, 0x0
	.amdhsa_kernel _Z43exclusive_scan_prefix_callback_array_kernelILj256ELj3ELN6hipcub18BlockScanAlgorithmE0EjEvPT2_S3_S2_
		.amdhsa_group_segment_fixed_size 16
		.amdhsa_private_segment_fixed_size 0
		.amdhsa_kernarg_size 20
		.amdhsa_user_sgpr_count 6
		.amdhsa_user_sgpr_private_segment_buffer 1
		.amdhsa_user_sgpr_dispatch_ptr 0
		.amdhsa_user_sgpr_queue_ptr 0
		.amdhsa_user_sgpr_kernarg_segment_ptr 1
		.amdhsa_user_sgpr_dispatch_id 0
		.amdhsa_user_sgpr_flat_scratch_init 0
		.amdhsa_user_sgpr_kernarg_preload_length 0
		.amdhsa_user_sgpr_kernarg_preload_offset 0
		.amdhsa_user_sgpr_private_segment_size 0
		.amdhsa_uses_dynamic_stack 0
		.amdhsa_system_sgpr_private_segment_wavefront_offset 0
		.amdhsa_system_sgpr_workgroup_id_x 1
		.amdhsa_system_sgpr_workgroup_id_y 0
		.amdhsa_system_sgpr_workgroup_id_z 0
		.amdhsa_system_sgpr_workgroup_info 0
		.amdhsa_system_vgpr_workitem_id 0
		.amdhsa_next_free_vgpr 16
		.amdhsa_next_free_sgpr 10
		.amdhsa_accum_offset 16
		.amdhsa_reserve_vcc 1
		.amdhsa_reserve_flat_scratch 0
		.amdhsa_float_round_mode_32 0
		.amdhsa_float_round_mode_16_64 0
		.amdhsa_float_denorm_mode_32 3
		.amdhsa_float_denorm_mode_16_64 3
		.amdhsa_dx10_clamp 1
		.amdhsa_ieee_mode 1
		.amdhsa_fp16_overflow 0
		.amdhsa_tg_split 0
		.amdhsa_exception_fp_ieee_invalid_op 0
		.amdhsa_exception_fp_denorm_src 0
		.amdhsa_exception_fp_ieee_div_zero 0
		.amdhsa_exception_fp_ieee_overflow 0
		.amdhsa_exception_fp_ieee_underflow 0
		.amdhsa_exception_fp_ieee_inexact 0
		.amdhsa_exception_int_div_zero 0
	.end_amdhsa_kernel
	.section	.text._Z43exclusive_scan_prefix_callback_array_kernelILj256ELj3ELN6hipcub18BlockScanAlgorithmE0EjEvPT2_S3_S2_,"axG",@progbits,_Z43exclusive_scan_prefix_callback_array_kernelILj256ELj3ELN6hipcub18BlockScanAlgorithmE0EjEvPT2_S3_S2_,comdat
.Lfunc_end285:
	.size	_Z43exclusive_scan_prefix_callback_array_kernelILj256ELj3ELN6hipcub18BlockScanAlgorithmE0EjEvPT2_S3_S2_, .Lfunc_end285-_Z43exclusive_scan_prefix_callback_array_kernelILj256ELj3ELN6hipcub18BlockScanAlgorithmE0EjEvPT2_S3_S2_
                                        ; -- End function
	.section	.AMDGPU.csdata,"",@progbits
; Kernel info:
; codeLenInByte = 716
; NumSgprs: 14
; NumVgprs: 16
; NumAgprs: 0
; TotalNumVgprs: 16
; ScratchSize: 0
; MemoryBound: 0
; FloatMode: 240
; IeeeMode: 1
; LDSByteSize: 16 bytes/workgroup (compile time only)
; SGPRBlocks: 1
; VGPRBlocks: 1
; NumSGPRsForWavesPerEU: 14
; NumVGPRsForWavesPerEU: 16
; AccumOffset: 16
; Occupancy: 8
; WaveLimiterHint : 0
; COMPUTE_PGM_RSRC2:SCRATCH_EN: 0
; COMPUTE_PGM_RSRC2:USER_SGPR: 6
; COMPUTE_PGM_RSRC2:TRAP_HANDLER: 0
; COMPUTE_PGM_RSRC2:TGID_X_EN: 1
; COMPUTE_PGM_RSRC2:TGID_Y_EN: 0
; COMPUTE_PGM_RSRC2:TGID_Z_EN: 0
; COMPUTE_PGM_RSRC2:TIDIG_COMP_CNT: 0
; COMPUTE_PGM_RSRC3_GFX90A:ACCUM_OFFSET: 3
; COMPUTE_PGM_RSRC3_GFX90A:TG_SPLIT: 0
	.section	.text._Z43exclusive_scan_prefix_callback_array_kernelILj32ELj2ELN6hipcub18BlockScanAlgorithmE0EfEvPT2_S3_S2_,"axG",@progbits,_Z43exclusive_scan_prefix_callback_array_kernelILj32ELj2ELN6hipcub18BlockScanAlgorithmE0EfEvPT2_S3_S2_,comdat
	.protected	_Z43exclusive_scan_prefix_callback_array_kernelILj32ELj2ELN6hipcub18BlockScanAlgorithmE0EfEvPT2_S3_S2_ ; -- Begin function _Z43exclusive_scan_prefix_callback_array_kernelILj32ELj2ELN6hipcub18BlockScanAlgorithmE0EfEvPT2_S3_S2_
	.globl	_Z43exclusive_scan_prefix_callback_array_kernelILj32ELj2ELN6hipcub18BlockScanAlgorithmE0EfEvPT2_S3_S2_
	.p2align	8
	.type	_Z43exclusive_scan_prefix_callback_array_kernelILj32ELj2ELN6hipcub18BlockScanAlgorithmE0EfEvPT2_S3_S2_,@function
_Z43exclusive_scan_prefix_callback_array_kernelILj32ELj2ELN6hipcub18BlockScanAlgorithmE0EfEvPT2_S3_S2_: ; @_Z43exclusive_scan_prefix_callback_array_kernelILj32ELj2ELN6hipcub18BlockScanAlgorithmE0EfEvPT2_S3_S2_
; %bb.0:
	s_load_dwordx4 s[0:3], s[4:5], 0x0
	v_lshlrev_b32_e32 v1, 1, v0
	v_lshl_or_b32 v6, s6, 6, v1
	v_mov_b32_e32 v7, 0
	v_lshlrev_b64 v[2:3], 2, v[6:7]
	s_waitcnt lgkmcnt(0)
	v_mov_b32_e32 v1, s1
	v_add_co_u32_e32 v2, vcc, s0, v2
	v_addc_co_u32_e32 v3, vcc, v1, v3, vcc
	global_load_dwordx2 v[4:5], v[2:3], off
	v_mbcnt_lo_u32_b32 v1, -1, 0
	v_mbcnt_hi_u32_b32 v1, -1, v1
	v_and_b32_e32 v6, 15, v1
	v_cmp_eq_u32_e32 vcc, 0, v6
	v_and_b32_e32 v8, 16, v1
	s_waitcnt vmcnt(0)
	v_add_f32_e32 v5, v4, v5
	s_nop 1
	v_mov_b32_dpp v9, v5 row_shr:1 row_mask:0xf bank_mask:0xf
	v_add_f32_e32 v9, v5, v9
	v_cndmask_b32_e32 v5, v9, v5, vcc
	v_cmp_lt_u32_e32 vcc, 1, v6
	s_nop 0
	v_mov_b32_dpp v9, v5 row_shr:2 row_mask:0xf bank_mask:0xf
	v_add_f32_e32 v9, v5, v9
	v_cndmask_b32_e32 v5, v5, v9, vcc
	v_cmp_lt_u32_e32 vcc, 3, v6
	s_nop 0
	v_mov_b32_dpp v9, v5 row_shr:4 row_mask:0xf bank_mask:0xf
	v_add_f32_e32 v9, v5, v9
	v_cndmask_b32_e32 v5, v5, v9, vcc
	v_cmp_lt_u32_e32 vcc, 7, v6
	s_nop 0
	v_mov_b32_dpp v9, v5 row_shr:8 row_mask:0xf bank_mask:0xf
	v_add_f32_e32 v9, v5, v9
	v_cndmask_b32_e32 v5, v5, v9, vcc
	v_cmp_eq_u32_e32 vcc, 0, v8
	s_nop 0
	v_mov_b32_dpp v6, v5 row_bcast:15 row_mask:0xf bank_mask:0xf
	v_add_f32_e32 v6, v5, v6
	v_cndmask_b32_e32 v5, v6, v5, vcc
	v_cmp_eq_u32_e32 vcc, 31, v0
	s_and_saveexec_b64 s[0:1], vcc
	s_cbranch_execz .LBB286_2
; %bb.1:
	ds_write_b32 v7, v5
.LBB286_2:
	s_or_b64 exec, exec, s[0:1]
	v_add_u32_e32 v6, -1, v1
	v_and_b32_e32 v7, 0x60, v1
	v_cmp_lt_i32_e32 vcc, v6, v7
	v_cndmask_b32_e32 v1, v6, v1, vcc
	s_load_dword s7, s[4:5], 0x10
	v_lshlrev_b32_e32 v1, 2, v1
	ds_bpermute_b32 v5, v1, v5
	v_cmp_gt_u32_e32 vcc, 64, v0
	s_waitcnt lgkmcnt(0)
	v_mov_b32_e32 v1, s7
	; wave barrier
	s_and_saveexec_b64 s[0:1], vcc
	s_cbranch_execz .LBB286_6
; %bb.3:
	v_mov_b32_e32 v6, 0
	ds_read_b32 v1, v6
	v_cmp_eq_u32_e32 vcc, 0, v0
	s_and_saveexec_b64 s[4:5], vcc
	s_cbranch_execz .LBB286_5
; %bb.4:
	v_mov_b32_e32 v7, s7
	ds_write_b32 v6, v7
.LBB286_5:
	s_or_b64 exec, exec, s[4:5]
	s_waitcnt lgkmcnt(0)
	v_add_f32_e32 v1, s7, v1
.LBB286_6:
	s_or_b64 exec, exec, s[0:1]
	v_mov_b32_e32 v6, 0
	s_waitcnt lgkmcnt(0)
	; wave barrier
	ds_read_b32 v7, v6
	v_cmp_eq_u32_e32 vcc, 0, v0
	s_mov_b32 s7, 0
	s_waitcnt lgkmcnt(0)
	v_add_f32_e32 v5, v7, v5
	v_cndmask_b32_e32 v8, v5, v7, vcc
	v_add_f32_e32 v9, v4, v8
	global_store_dwordx2 v[2:3], v[8:9], off
	s_and_saveexec_b64 s[0:1], vcc
	s_cbranch_execz .LBB286_8
; %bb.7:
	s_lshl_b64 s[0:1], s[6:7], 2
	s_add_u32 s0, s2, s0
	s_addc_u32 s1, s3, s1
	global_store_dword v6, v1, s[0:1]
.LBB286_8:
	s_endpgm
	.section	.rodata,"a",@progbits
	.p2align	6, 0x0
	.amdhsa_kernel _Z43exclusive_scan_prefix_callback_array_kernelILj32ELj2ELN6hipcub18BlockScanAlgorithmE0EfEvPT2_S3_S2_
		.amdhsa_group_segment_fixed_size 4
		.amdhsa_private_segment_fixed_size 0
		.amdhsa_kernarg_size 20
		.amdhsa_user_sgpr_count 6
		.amdhsa_user_sgpr_private_segment_buffer 1
		.amdhsa_user_sgpr_dispatch_ptr 0
		.amdhsa_user_sgpr_queue_ptr 0
		.amdhsa_user_sgpr_kernarg_segment_ptr 1
		.amdhsa_user_sgpr_dispatch_id 0
		.amdhsa_user_sgpr_flat_scratch_init 0
		.amdhsa_user_sgpr_kernarg_preload_length 0
		.amdhsa_user_sgpr_kernarg_preload_offset 0
		.amdhsa_user_sgpr_private_segment_size 0
		.amdhsa_uses_dynamic_stack 0
		.amdhsa_system_sgpr_private_segment_wavefront_offset 0
		.amdhsa_system_sgpr_workgroup_id_x 1
		.amdhsa_system_sgpr_workgroup_id_y 0
		.amdhsa_system_sgpr_workgroup_id_z 0
		.amdhsa_system_sgpr_workgroup_info 0
		.amdhsa_system_vgpr_workitem_id 0
		.amdhsa_next_free_vgpr 10
		.amdhsa_next_free_sgpr 8
		.amdhsa_accum_offset 12
		.amdhsa_reserve_vcc 1
		.amdhsa_reserve_flat_scratch 0
		.amdhsa_float_round_mode_32 0
		.amdhsa_float_round_mode_16_64 0
		.amdhsa_float_denorm_mode_32 3
		.amdhsa_float_denorm_mode_16_64 3
		.amdhsa_dx10_clamp 1
		.amdhsa_ieee_mode 1
		.amdhsa_fp16_overflow 0
		.amdhsa_tg_split 0
		.amdhsa_exception_fp_ieee_invalid_op 0
		.amdhsa_exception_fp_denorm_src 0
		.amdhsa_exception_fp_ieee_div_zero 0
		.amdhsa_exception_fp_ieee_overflow 0
		.amdhsa_exception_fp_ieee_underflow 0
		.amdhsa_exception_fp_ieee_inexact 0
		.amdhsa_exception_int_div_zero 0
	.end_amdhsa_kernel
	.section	.text._Z43exclusive_scan_prefix_callback_array_kernelILj32ELj2ELN6hipcub18BlockScanAlgorithmE0EfEvPT2_S3_S2_,"axG",@progbits,_Z43exclusive_scan_prefix_callback_array_kernelILj32ELj2ELN6hipcub18BlockScanAlgorithmE0EfEvPT2_S3_S2_,comdat
.Lfunc_end286:
	.size	_Z43exclusive_scan_prefix_callback_array_kernelILj32ELj2ELN6hipcub18BlockScanAlgorithmE0EfEvPT2_S3_S2_, .Lfunc_end286-_Z43exclusive_scan_prefix_callback_array_kernelILj32ELj2ELN6hipcub18BlockScanAlgorithmE0EfEvPT2_S3_S2_
                                        ; -- End function
	.section	.AMDGPU.csdata,"",@progbits
; Kernel info:
; codeLenInByte = 424
; NumSgprs: 12
; NumVgprs: 10
; NumAgprs: 0
; TotalNumVgprs: 10
; ScratchSize: 0
; MemoryBound: 0
; FloatMode: 240
; IeeeMode: 1
; LDSByteSize: 4 bytes/workgroup (compile time only)
; SGPRBlocks: 1
; VGPRBlocks: 1
; NumSGPRsForWavesPerEU: 12
; NumVGPRsForWavesPerEU: 10
; AccumOffset: 12
; Occupancy: 8
; WaveLimiterHint : 0
; COMPUTE_PGM_RSRC2:SCRATCH_EN: 0
; COMPUTE_PGM_RSRC2:USER_SGPR: 6
; COMPUTE_PGM_RSRC2:TRAP_HANDLER: 0
; COMPUTE_PGM_RSRC2:TGID_X_EN: 1
; COMPUTE_PGM_RSRC2:TGID_Y_EN: 0
; COMPUTE_PGM_RSRC2:TGID_Z_EN: 0
; COMPUTE_PGM_RSRC2:TIDIG_COMP_CNT: 0
; COMPUTE_PGM_RSRC3_GFX90A:ACCUM_OFFSET: 2
; COMPUTE_PGM_RSRC3_GFX90A:TG_SPLIT: 0
	.section	.text._Z43exclusive_scan_prefix_callback_array_kernelILj6ELj32ELN6hipcub18BlockScanAlgorithmE0EfEvPT2_S3_S2_,"axG",@progbits,_Z43exclusive_scan_prefix_callback_array_kernelILj6ELj32ELN6hipcub18BlockScanAlgorithmE0EfEvPT2_S3_S2_,comdat
	.protected	_Z43exclusive_scan_prefix_callback_array_kernelILj6ELj32ELN6hipcub18BlockScanAlgorithmE0EfEvPT2_S3_S2_ ; -- Begin function _Z43exclusive_scan_prefix_callback_array_kernelILj6ELj32ELN6hipcub18BlockScanAlgorithmE0EfEvPT2_S3_S2_
	.globl	_Z43exclusive_scan_prefix_callback_array_kernelILj6ELj32ELN6hipcub18BlockScanAlgorithmE0EfEvPT2_S3_S2_
	.p2align	8
	.type	_Z43exclusive_scan_prefix_callback_array_kernelILj6ELj32ELN6hipcub18BlockScanAlgorithmE0EfEvPT2_S3_S2_,@function
_Z43exclusive_scan_prefix_callback_array_kernelILj6ELj32ELN6hipcub18BlockScanAlgorithmE0EfEvPT2_S3_S2_: ; @_Z43exclusive_scan_prefix_callback_array_kernelILj6ELj32ELN6hipcub18BlockScanAlgorithmE0EfEvPT2_S3_S2_
; %bb.0:
	s_load_dwordx4 s[0:3], s[4:5], 0x0
	s_mul_i32 s7, s6, 6
	v_add_lshl_u32 v36, s7, v0, 5
	v_mov_b32_e32 v37, 0
	v_lshlrev_b64 v[2:3], 2, v[36:37]
	s_waitcnt lgkmcnt(0)
	v_mov_b32_e32 v1, s1
	v_add_co_u32_e32 v34, vcc, s0, v2
	v_addc_co_u32_e32 v35, vcc, v1, v3, vcc
	global_load_dwordx4 v[30:33], v[34:35], off
	global_load_dwordx4 v[26:29], v[34:35], off offset:16
	global_load_dwordx4 v[22:25], v[34:35], off offset:32
	;; [unrolled: 1-line block ×7, first 2 shown]
	v_mbcnt_lo_u32_b32 v1, -1, 0
	v_mbcnt_hi_u32_b32 v1, -1, v1
	v_and_b32_e32 v36, 7, v1
	v_cmp_eq_u32_e32 vcc, 0, v36
	s_waitcnt vmcnt(7)
	v_add_f32_e32 v38, v30, v31
	v_add_f32_e32 v38, v38, v32
	v_add_f32_e32 v38, v38, v33
	s_waitcnt vmcnt(6)
	v_add_f32_e32 v38, v38, v26
	v_add_f32_e32 v38, v38, v27
	v_add_f32_e32 v38, v38, v28
	v_add_f32_e32 v38, v38, v29
	s_waitcnt vmcnt(5)
	v_add_f32_e32 v38, v38, v22
	;; [unrolled: 5-line block ×7, first 2 shown]
	v_add_f32_e32 v38, v38, v3
	v_add_f32_e32 v38, v38, v4
	;; [unrolled: 1-line block ×3, first 2 shown]
	s_nop 1
	v_mov_b32_dpp v38, v5 row_shr:1 row_mask:0xf bank_mask:0xf
	v_add_f32_e32 v38, v5, v38
	v_cndmask_b32_e32 v5, v38, v5, vcc
	v_cmp_lt_u32_e32 vcc, 1, v36
	s_nop 0
	v_mov_b32_dpp v38, v5 row_shr:2 row_mask:0xf bank_mask:0xf
	v_add_f32_e32 v38, v5, v38
	v_cndmask_b32_e32 v5, v5, v38, vcc
	v_cmp_lt_u32_e32 vcc, 3, v36
	s_nop 0
	v_mov_b32_dpp v38, v5 row_shr:4 row_mask:0xf bank_mask:0xf
	v_add_f32_e32 v38, v5, v38
	v_cndmask_b32_e32 v5, v5, v38, vcc
	v_cmp_eq_u32_e32 vcc, 5, v0
	s_and_saveexec_b64 s[0:1], vcc
	s_cbranch_execz .LBB287_2
; %bb.1:
	ds_write_b32 v37, v5
.LBB287_2:
	s_or_b64 exec, exec, s[0:1]
	v_add_u32_e32 v36, -1, v1
	v_and_b32_e32 v37, 0x78, v1
	v_cmp_lt_i32_e32 vcc, v36, v37
	v_cndmask_b32_e32 v1, v36, v1, vcc
	s_load_dword s7, s[4:5], 0x10
	v_lshlrev_b32_e32 v1, 2, v1
	ds_bpermute_b32 v36, v1, v5
	v_cmp_gt_u32_e32 vcc, 64, v0
	s_waitcnt lgkmcnt(0)
	v_mov_b32_e32 v1, s7
	; wave barrier
	s_and_saveexec_b64 s[0:1], vcc
	s_cbranch_execz .LBB287_6
; %bb.3:
	v_mov_b32_e32 v5, 0
	ds_read_b32 v1, v5
	v_cmp_eq_u32_e32 vcc, 0, v0
	s_and_saveexec_b64 s[4:5], vcc
	s_cbranch_execz .LBB287_5
; %bb.4:
	v_mov_b32_e32 v37, s7
	ds_write_b32 v5, v37
.LBB287_5:
	s_or_b64 exec, exec, s[4:5]
	s_waitcnt lgkmcnt(0)
	v_add_f32_e32 v1, s7, v1
.LBB287_6:
	s_or_b64 exec, exec, s[0:1]
	v_mov_b32_e32 v5, 0
	s_waitcnt lgkmcnt(0)
	; wave barrier
	ds_read_b32 v37, v5
	v_cmp_eq_u32_e32 vcc, 0, v0
	s_mov_b32 s7, 0
	s_waitcnt lgkmcnt(0)
	v_add_f32_e32 v36, v37, v36
	v_cndmask_b32_e32 v36, v36, v37, vcc
	v_add_f32_e32 v37, v30, v36
	v_add_f32_e32 v38, v31, v37
	;; [unrolled: 1-line block ×31, first 2 shown]
	global_store_dwordx4 v[34:35], v[36:39], off
	global_store_dwordx4 v[34:35], v[30:33], off offset:16
	global_store_dwordx4 v[34:35], v[26:29], off offset:32
	;; [unrolled: 1-line block ×7, first 2 shown]
	s_and_saveexec_b64 s[0:1], vcc
	s_cbranch_execz .LBB287_8
; %bb.7:
	s_lshl_b64 s[0:1], s[6:7], 2
	s_add_u32 s0, s2, s0
	s_addc_u32 s1, s3, s1
	global_store_dword v5, v1, s[0:1]
.LBB287_8:
	s_endpgm
	.section	.rodata,"a",@progbits
	.p2align	6, 0x0
	.amdhsa_kernel _Z43exclusive_scan_prefix_callback_array_kernelILj6ELj32ELN6hipcub18BlockScanAlgorithmE0EfEvPT2_S3_S2_
		.amdhsa_group_segment_fixed_size 4
		.amdhsa_private_segment_fixed_size 0
		.amdhsa_kernarg_size 20
		.amdhsa_user_sgpr_count 6
		.amdhsa_user_sgpr_private_segment_buffer 1
		.amdhsa_user_sgpr_dispatch_ptr 0
		.amdhsa_user_sgpr_queue_ptr 0
		.amdhsa_user_sgpr_kernarg_segment_ptr 1
		.amdhsa_user_sgpr_dispatch_id 0
		.amdhsa_user_sgpr_flat_scratch_init 0
		.amdhsa_user_sgpr_kernarg_preload_length 0
		.amdhsa_user_sgpr_kernarg_preload_offset 0
		.amdhsa_user_sgpr_private_segment_size 0
		.amdhsa_uses_dynamic_stack 0
		.amdhsa_system_sgpr_private_segment_wavefront_offset 0
		.amdhsa_system_sgpr_workgroup_id_x 1
		.amdhsa_system_sgpr_workgroup_id_y 0
		.amdhsa_system_sgpr_workgroup_id_z 0
		.amdhsa_system_sgpr_workgroup_info 0
		.amdhsa_system_vgpr_workitem_id 0
		.amdhsa_next_free_vgpr 40
		.amdhsa_next_free_sgpr 8
		.amdhsa_accum_offset 40
		.amdhsa_reserve_vcc 1
		.amdhsa_reserve_flat_scratch 0
		.amdhsa_float_round_mode_32 0
		.amdhsa_float_round_mode_16_64 0
		.amdhsa_float_denorm_mode_32 3
		.amdhsa_float_denorm_mode_16_64 3
		.amdhsa_dx10_clamp 1
		.amdhsa_ieee_mode 1
		.amdhsa_fp16_overflow 0
		.amdhsa_tg_split 0
		.amdhsa_exception_fp_ieee_invalid_op 0
		.amdhsa_exception_fp_denorm_src 0
		.amdhsa_exception_fp_ieee_div_zero 0
		.amdhsa_exception_fp_ieee_overflow 0
		.amdhsa_exception_fp_ieee_underflow 0
		.amdhsa_exception_fp_ieee_inexact 0
		.amdhsa_exception_int_div_zero 0
	.end_amdhsa_kernel
	.section	.text._Z43exclusive_scan_prefix_callback_array_kernelILj6ELj32ELN6hipcub18BlockScanAlgorithmE0EfEvPT2_S3_S2_,"axG",@progbits,_Z43exclusive_scan_prefix_callback_array_kernelILj6ELj32ELN6hipcub18BlockScanAlgorithmE0EfEvPT2_S3_S2_,comdat
.Lfunc_end287:
	.size	_Z43exclusive_scan_prefix_callback_array_kernelILj6ELj32ELN6hipcub18BlockScanAlgorithmE0EfEvPT2_S3_S2_, .Lfunc_end287-_Z43exclusive_scan_prefix_callback_array_kernelILj6ELj32ELN6hipcub18BlockScanAlgorithmE0EfEvPT2_S3_S2_
                                        ; -- End function
	.section	.AMDGPU.csdata,"",@progbits
; Kernel info:
; codeLenInByte = 752
; NumSgprs: 12
; NumVgprs: 40
; NumAgprs: 0
; TotalNumVgprs: 40
; ScratchSize: 0
; MemoryBound: 0
; FloatMode: 240
; IeeeMode: 1
; LDSByteSize: 4 bytes/workgroup (compile time only)
; SGPRBlocks: 1
; VGPRBlocks: 4
; NumSGPRsForWavesPerEU: 12
; NumVGPRsForWavesPerEU: 40
; AccumOffset: 40
; Occupancy: 8
; WaveLimiterHint : 0
; COMPUTE_PGM_RSRC2:SCRATCH_EN: 0
; COMPUTE_PGM_RSRC2:USER_SGPR: 6
; COMPUTE_PGM_RSRC2:TRAP_HANDLER: 0
; COMPUTE_PGM_RSRC2:TGID_X_EN: 1
; COMPUTE_PGM_RSRC2:TGID_Y_EN: 0
; COMPUTE_PGM_RSRC2:TGID_Z_EN: 0
; COMPUTE_PGM_RSRC2:TIDIG_COMP_CNT: 0
; COMPUTE_PGM_RSRC3_GFX90A:ACCUM_OFFSET: 9
; COMPUTE_PGM_RSRC3_GFX90A:TG_SPLIT: 0
	.text
	.p2alignl 6, 3212836864
	.fill 256, 4, 3212836864
	.type	__hip_cuid_dd52c4de4a62366c,@object ; @__hip_cuid_dd52c4de4a62366c
	.section	.bss,"aw",@nobits
	.globl	__hip_cuid_dd52c4de4a62366c
__hip_cuid_dd52c4de4a62366c:
	.byte	0                               ; 0x0
	.size	__hip_cuid_dd52c4de4a62366c, 1

	.ident	"AMD clang version 19.0.0git (https://github.com/RadeonOpenCompute/llvm-project roc-6.4.0 25133 c7fe45cf4b819c5991fe208aaa96edf142730f1d)"
	.section	".note.GNU-stack","",@progbits
	.addrsig
	.addrsig_sym __hip_cuid_dd52c4de4a62366c
	.amdgpu_metadata
---
amdhsa.kernels:
  - .agpr_count:     0
    .args:
      - .address_space:  global
        .offset:         0
        .size:           8
        .value_kind:     global_buffer
    .group_segment_fixed_size: 384
    .kernarg_segment_align: 8
    .kernarg_segment_size: 8
    .language:       OpenCL C
    .language_version:
      - 2
      - 0
    .max_flat_workgroup_size: 377
    .name:           _Z21inclusive_scan_kernelILj377ELN6hipcub18BlockScanAlgorithmE1EhEvPT1_
    .private_segment_fixed_size: 0
    .sgpr_count:     11
    .sgpr_spill_count: 0
    .symbol:         _Z21inclusive_scan_kernelILj377ELN6hipcub18BlockScanAlgorithmE1EhEvPT1_.kd
    .uniform_work_group_size: 1
    .uses_dynamic_stack: false
    .vgpr_count:     15
    .vgpr_spill_count: 0
    .wavefront_size: 64
  - .agpr_count:     0
    .args:
      - .address_space:  global
        .offset:         0
        .size:           8
        .value_kind:     global_buffer
    .group_segment_fixed_size: 1536
    .kernarg_segment_align: 8
    .kernarg_segment_size: 8
    .language:       OpenCL C
    .language_version:
      - 2
      - 0
    .max_flat_workgroup_size: 377
    .name:           _Z21inclusive_scan_kernelILj377ELN6hipcub18BlockScanAlgorithmE1EiEvPT1_
    .private_segment_fixed_size: 0
    .sgpr_count:     11
    .sgpr_spill_count: 0
    .symbol:         _Z21inclusive_scan_kernelILj377ELN6hipcub18BlockScanAlgorithmE1EiEvPT1_.kd
    .uniform_work_group_size: 1
    .uses_dynamic_stack: false
    .vgpr_count:     16
    .vgpr_spill_count: 0
    .wavefront_size: 64
  - .agpr_count:     0
    .args:
      - .address_space:  global
        .offset:         0
        .size:           8
        .value_kind:     global_buffer
    .group_segment_fixed_size: 1056
    .kernarg_segment_align: 8
    .kernarg_segment_size: 8
    .language:       OpenCL C
    .language_version:
      - 2
      - 0
    .max_flat_workgroup_size: 255
    .name:           _Z21inclusive_scan_kernelILj255ELN6hipcub18BlockScanAlgorithmE1EjEvPT1_
    .private_segment_fixed_size: 0
    .sgpr_count:     11
    .sgpr_spill_count: 0
    .symbol:         _Z21inclusive_scan_kernelILj255ELN6hipcub18BlockScanAlgorithmE1EjEvPT1_.kd
    .uniform_work_group_size: 1
    .uses_dynamic_stack: false
    .vgpr_count:     14
    .vgpr_spill_count: 0
    .wavefront_size: 64
  - .agpr_count:     0
    .args:
      - .address_space:  global
        .offset:         0
        .size:           8
        .value_kind:     global_buffer
    .group_segment_fixed_size: 384
    .kernarg_segment_align: 8
    .kernarg_segment_size: 8
    .language:       OpenCL C
    .language_version:
      - 2
      - 0
    .max_flat_workgroup_size: 162
    .name:           _Z21inclusive_scan_kernelILj162ELN6hipcub18BlockScanAlgorithmE1EsEvPT1_
    .private_segment_fixed_size: 0
    .sgpr_count:     11
    .sgpr_spill_count: 0
    .symbol:         _Z21inclusive_scan_kernelILj162ELN6hipcub18BlockScanAlgorithmE1EsEvPT1_.kd
    .uniform_work_group_size: 1
    .uses_dynamic_stack: false
    .vgpr_count:     13
    .vgpr_spill_count: 0
    .wavefront_size: 64
  - .agpr_count:     0
    .args:
      - .address_space:  global
        .offset:         0
        .size:           8
        .value_kind:     global_buffer
    .group_segment_fixed_size: 8
    .kernarg_segment_align: 8
    .kernarg_segment_size: 8
    .language:       OpenCL C
    .language_version:
      - 2
      - 0
    .max_flat_workgroup_size: 37
    .name:           _Z21inclusive_scan_kernelILj37ELN6hipcub18BlockScanAlgorithmE1ElEvPT1_
    .private_segment_fixed_size: 0
    .sgpr_count:     11
    .sgpr_spill_count: 0
    .symbol:         _Z21inclusive_scan_kernelILj37ELN6hipcub18BlockScanAlgorithmE1ElEvPT1_.kd
    .uniform_work_group_size: 1
    .uses_dynamic_stack: false
    .vgpr_count:     14
    .vgpr_spill_count: 0
    .wavefront_size: 64
  - .agpr_count:     0
    .args:
      - .address_space:  global
        .offset:         0
        .size:           8
        .value_kind:     global_buffer
    .group_segment_fixed_size: 1056
    .kernarg_segment_align: 8
    .kernarg_segment_size: 8
    .language:       OpenCL C
    .language_version:
      - 2
      - 0
    .max_flat_workgroup_size: 65
    .name:           _Z21inclusive_scan_kernelILj65ELN6hipcub18BlockScanAlgorithmE1EmEvPT1_
    .private_segment_fixed_size: 0
    .sgpr_count:     11
    .sgpr_spill_count: 0
    .symbol:         _Z21inclusive_scan_kernelILj65ELN6hipcub18BlockScanAlgorithmE1EmEvPT1_.kd
    .uniform_work_group_size: 1
    .uses_dynamic_stack: false
    .vgpr_count:     20
    .vgpr_spill_count: 0
    .wavefront_size: 64
  - .agpr_count:     0
    .args:
      - .address_space:  global
        .offset:         0
        .size:           8
        .value_kind:     global_buffer
    .group_segment_fixed_size: 2112
    .kernarg_segment_align: 8
    .kernarg_segment_size: 8
    .language:       OpenCL C
    .language_version:
      - 2
      - 0
    .max_flat_workgroup_size: 512
    .name:           _Z21inclusive_scan_kernelILj512ELN6hipcub18BlockScanAlgorithmE1EiEvPT1_
    .private_segment_fixed_size: 0
    .sgpr_count:     11
    .sgpr_spill_count: 0
    .symbol:         _Z21inclusive_scan_kernelILj512ELN6hipcub18BlockScanAlgorithmE1EiEvPT1_.kd
    .uniform_work_group_size: 1
    .uses_dynamic_stack: false
    .vgpr_count:     18
    .vgpr_spill_count: 0
    .wavefront_size: 64
  - .agpr_count:     0
    .args:
      - .address_space:  global
        .offset:         0
        .size:           8
        .value_kind:     global_buffer
    .group_segment_fixed_size: 1056
    .kernarg_segment_align: 8
    .kernarg_segment_size: 8
    .language:       OpenCL C
    .language_version:
      - 2
      - 0
    .max_flat_workgroup_size: 256
    .name:           _Z21inclusive_scan_kernelILj256ELN6hipcub18BlockScanAlgorithmE1EiEvPT1_
    .private_segment_fixed_size: 0
    .sgpr_count:     11
    .sgpr_spill_count: 0
    .symbol:         _Z21inclusive_scan_kernelILj256ELN6hipcub18BlockScanAlgorithmE1EiEvPT1_.kd
    .uniform_work_group_size: 1
    .uses_dynamic_stack: false
    .vgpr_count:     14
    .vgpr_spill_count: 0
    .wavefront_size: 64
  - .agpr_count:     0
    .args:
      - .address_space:  global
        .offset:         0
        .size:           8
        .value_kind:     global_buffer
    .group_segment_fixed_size: 528
    .kernarg_segment_align: 8
    .kernarg_segment_size: 8
    .language:       OpenCL C
    .language_version:
      - 2
      - 0
    .max_flat_workgroup_size: 128
    .name:           _Z21inclusive_scan_kernelILj128ELN6hipcub18BlockScanAlgorithmE1EiEvPT1_
    .private_segment_fixed_size: 0
    .sgpr_count:     11
    .sgpr_spill_count: 0
    .symbol:         _Z21inclusive_scan_kernelILj128ELN6hipcub18BlockScanAlgorithmE1EiEvPT1_.kd
    .uniform_work_group_size: 1
    .uses_dynamic_stack: false
    .vgpr_count:     12
    .vgpr_spill_count: 0
    .wavefront_size: 64
  - .agpr_count:     0
    .args:
      - .address_space:  global
        .offset:         0
        .size:           8
        .value_kind:     global_buffer
    .group_segment_fixed_size: 4
    .kernarg_segment_align: 8
    .kernarg_segment_size: 8
    .language:       OpenCL C
    .language_version:
      - 2
      - 0
    .max_flat_workgroup_size: 64
    .name:           _Z21inclusive_scan_kernelILj64ELN6hipcub18BlockScanAlgorithmE1EiEvPT1_
    .private_segment_fixed_size: 0
    .sgpr_count:     11
    .sgpr_spill_count: 0
    .symbol:         _Z21inclusive_scan_kernelILj64ELN6hipcub18BlockScanAlgorithmE1EiEvPT1_.kd
    .uniform_work_group_size: 1
    .uses_dynamic_stack: false
    .vgpr_count:     9
    .vgpr_spill_count: 0
    .wavefront_size: 64
  - .agpr_count:     0
    .args:
      - .address_space:  global
        .offset:         0
        .size:           8
        .value_kind:     global_buffer
    .group_segment_fixed_size: 48
    .kernarg_segment_align: 8
    .kernarg_segment_size: 8
    .language:       OpenCL C
    .language_version:
      - 2
      - 0
    .max_flat_workgroup_size: 377
    .name:           _Z21inclusive_scan_kernelILj377ELN6hipcub18BlockScanAlgorithmE0ElEvPT1_
    .private_segment_fixed_size: 0
    .sgpr_count:     11
    .sgpr_spill_count: 0
    .symbol:         _Z21inclusive_scan_kernelILj377ELN6hipcub18BlockScanAlgorithmE0ElEvPT1_.kd
    .uniform_work_group_size: 1
    .uses_dynamic_stack: false
    .vgpr_count:     15
    .vgpr_spill_count: 0
    .wavefront_size: 64
  - .agpr_count:     0
    .args:
      - .address_space:  global
        .offset:         0
        .size:           8
        .value_kind:     global_buffer
    .group_segment_fixed_size: 32
    .kernarg_segment_align: 8
    .kernarg_segment_size: 8
    .language:       OpenCL C
    .language_version:
      - 2
      - 0
    .max_flat_workgroup_size: 256
    .name:           _Z21inclusive_scan_kernelILj256ELN6hipcub18BlockScanAlgorithmE0ElEvPT1_
    .private_segment_fixed_size: 0
    .sgpr_count:     11
    .sgpr_spill_count: 0
    .symbol:         _Z21inclusive_scan_kernelILj256ELN6hipcub18BlockScanAlgorithmE0ElEvPT1_.kd
    .uniform_work_group_size: 1
    .uses_dynamic_stack: false
    .vgpr_count:     14
    .vgpr_spill_count: 0
    .wavefront_size: 64
  - .agpr_count:     0
    .args:
      - .address_space:  global
        .offset:         0
        .size:           8
        .value_kind:     global_buffer
    .group_segment_fixed_size: 8
    .kernarg_segment_align: 8
    .kernarg_segment_size: 8
    .language:       OpenCL C
    .language_version:
      - 2
      - 0
    .max_flat_workgroup_size: 64
    .name:           _Z21inclusive_scan_kernelILj64ELN6hipcub18BlockScanAlgorithmE0ElEvPT1_
    .private_segment_fixed_size: 0
    .sgpr_count:     11
    .sgpr_spill_count: 0
    .symbol:         _Z21inclusive_scan_kernelILj64ELN6hipcub18BlockScanAlgorithmE0ElEvPT1_.kd
    .uniform_work_group_size: 1
    .uses_dynamic_stack: false
    .vgpr_count:     14
    .vgpr_spill_count: 0
    .wavefront_size: 64
  - .agpr_count:     0
    .args:
      - .address_space:  global
        .offset:         0
        .size:           8
        .value_kind:     global_buffer
    .group_segment_fixed_size: 24
    .kernarg_segment_align: 8
    .kernarg_segment_size: 8
    .language:       OpenCL C
    .language_version:
      - 2
      - 0
    .max_flat_workgroup_size: 377
    .name:           _Z21inclusive_scan_kernelILj377ELN6hipcub18BlockScanAlgorithmE0EjEvPT1_
    .private_segment_fixed_size: 0
    .sgpr_count:     11
    .sgpr_spill_count: 0
    .symbol:         _Z21inclusive_scan_kernelILj377ELN6hipcub18BlockScanAlgorithmE0EjEvPT1_.kd
    .uniform_work_group_size: 1
    .uses_dynamic_stack: false
    .vgpr_count:     10
    .vgpr_spill_count: 0
    .wavefront_size: 64
  - .agpr_count:     0
    .args:
      - .address_space:  global
        .offset:         0
        .size:           8
        .value_kind:     global_buffer
    .group_segment_fixed_size: 16
    .kernarg_segment_align: 8
    .kernarg_segment_size: 8
    .language:       OpenCL C
    .language_version:
      - 2
      - 0
    .max_flat_workgroup_size: 256
    .name:           _Z21inclusive_scan_kernelILj256ELN6hipcub18BlockScanAlgorithmE0EjEvPT1_
    .private_segment_fixed_size: 0
    .sgpr_count:     11
    .sgpr_spill_count: 0
    .symbol:         _Z21inclusive_scan_kernelILj256ELN6hipcub18BlockScanAlgorithmE0EjEvPT1_.kd
    .uniform_work_group_size: 1
    .uses_dynamic_stack: false
    .vgpr_count:     10
    .vgpr_spill_count: 0
    .wavefront_size: 64
  - .agpr_count:     0
    .args:
      - .address_space:  global
        .offset:         0
        .size:           8
        .value_kind:     global_buffer
    .group_segment_fixed_size: 4
    .kernarg_segment_align: 8
    .kernarg_segment_size: 8
    .language:       OpenCL C
    .language_version:
      - 2
      - 0
    .max_flat_workgroup_size: 64
    .name:           _Z21inclusive_scan_kernelILj64ELN6hipcub18BlockScanAlgorithmE0EjEvPT1_
    .private_segment_fixed_size: 0
    .sgpr_count:     11
    .sgpr_spill_count: 0
    .symbol:         _Z21inclusive_scan_kernelILj64ELN6hipcub18BlockScanAlgorithmE0EjEvPT1_.kd
    .uniform_work_group_size: 1
    .uses_dynamic_stack: false
    .vgpr_count:     9
    .vgpr_spill_count: 0
    .wavefront_size: 64
  - .agpr_count:     0
    .args:
      - .address_space:  global
        .offset:         0
        .size:           8
        .value_kind:     global_buffer
    .group_segment_fixed_size: 16
    .kernarg_segment_align: 8
    .kernarg_segment_size: 8
    .language:       OpenCL C
    .language_version:
      - 2
      - 0
    .max_flat_workgroup_size: 255
    .name:           _Z21inclusive_scan_kernelILj255ELN6hipcub18BlockScanAlgorithmE0EiEvPT1_
    .private_segment_fixed_size: 0
    .sgpr_count:     11
    .sgpr_spill_count: 0
    .symbol:         _Z21inclusive_scan_kernelILj255ELN6hipcub18BlockScanAlgorithmE0EiEvPT1_.kd
    .uniform_work_group_size: 1
    .uses_dynamic_stack: false
    .vgpr_count:     10
    .vgpr_spill_count: 0
    .wavefront_size: 64
  - .agpr_count:     0
    .args:
      - .address_space:  global
        .offset:         0
        .size:           8
        .value_kind:     global_buffer
    .group_segment_fixed_size: 12
    .kernarg_segment_align: 8
    .kernarg_segment_size: 8
    .language:       OpenCL C
    .language_version:
      - 2
      - 0
    .max_flat_workgroup_size: 162
    .name:           _Z21inclusive_scan_kernelILj162ELN6hipcub18BlockScanAlgorithmE0EiEvPT1_
    .private_segment_fixed_size: 0
    .sgpr_count:     11
    .sgpr_spill_count: 0
    .symbol:         _Z21inclusive_scan_kernelILj162ELN6hipcub18BlockScanAlgorithmE0EiEvPT1_.kd
    .uniform_work_group_size: 1
    .uses_dynamic_stack: false
    .vgpr_count:     10
    .vgpr_spill_count: 0
    .wavefront_size: 64
  - .agpr_count:     0
    .args:
      - .address_space:  global
        .offset:         0
        .size:           8
        .value_kind:     global_buffer
    .group_segment_fixed_size: 4
    .kernarg_segment_align: 8
    .kernarg_segment_size: 8
    .language:       OpenCL C
    .language_version:
      - 2
      - 0
    .max_flat_workgroup_size: 37
    .name:           _Z21inclusive_scan_kernelILj37ELN6hipcub18BlockScanAlgorithmE0EiEvPT1_
    .private_segment_fixed_size: 0
    .sgpr_count:     11
    .sgpr_spill_count: 0
    .symbol:         _Z21inclusive_scan_kernelILj37ELN6hipcub18BlockScanAlgorithmE0EiEvPT1_.kd
    .uniform_work_group_size: 1
    .uses_dynamic_stack: false
    .vgpr_count:     9
    .vgpr_spill_count: 0
    .wavefront_size: 64
  - .agpr_count:     0
    .args:
      - .address_space:  global
        .offset:         0
        .size:           8
        .value_kind:     global_buffer
    .group_segment_fixed_size: 8
    .kernarg_segment_align: 8
    .kernarg_segment_size: 8
    .language:       OpenCL C
    .language_version:
      - 2
      - 0
    .max_flat_workgroup_size: 65
    .name:           _Z21inclusive_scan_kernelILj65ELN6hipcub18BlockScanAlgorithmE0EiEvPT1_
    .private_segment_fixed_size: 0
    .sgpr_count:     11
    .sgpr_spill_count: 0
    .symbol:         _Z21inclusive_scan_kernelILj65ELN6hipcub18BlockScanAlgorithmE0EiEvPT1_.kd
    .uniform_work_group_size: 1
    .uses_dynamic_stack: false
    .vgpr_count:     10
    .vgpr_spill_count: 0
    .wavefront_size: 64
  - .agpr_count:     0
    .args:
      - .address_space:  global
        .offset:         0
        .size:           8
        .value_kind:     global_buffer
    .group_segment_fixed_size: 32
    .kernarg_segment_align: 8
    .kernarg_segment_size: 8
    .language:       OpenCL C
    .language_version:
      - 2
      - 0
    .max_flat_workgroup_size: 512
    .name:           _Z21inclusive_scan_kernelILj512ELN6hipcub18BlockScanAlgorithmE0EiEvPT1_
    .private_segment_fixed_size: 0
    .sgpr_count:     11
    .sgpr_spill_count: 0
    .symbol:         _Z21inclusive_scan_kernelILj512ELN6hipcub18BlockScanAlgorithmE0EiEvPT1_.kd
    .uniform_work_group_size: 1
    .uses_dynamic_stack: false
    .vgpr_count:     10
    .vgpr_spill_count: 0
    .wavefront_size: 64
  - .agpr_count:     0
    .args:
      - .address_space:  global
        .offset:         0
        .size:           8
        .value_kind:     global_buffer
    .group_segment_fixed_size: 16
    .kernarg_segment_align: 8
    .kernarg_segment_size: 8
    .language:       OpenCL C
    .language_version:
      - 2
      - 0
    .max_flat_workgroup_size: 256
    .name:           _Z21inclusive_scan_kernelILj256ELN6hipcub18BlockScanAlgorithmE0EiEvPT1_
    .private_segment_fixed_size: 0
    .sgpr_count:     11
    .sgpr_spill_count: 0
    .symbol:         _Z21inclusive_scan_kernelILj256ELN6hipcub18BlockScanAlgorithmE0EiEvPT1_.kd
    .uniform_work_group_size: 1
    .uses_dynamic_stack: false
    .vgpr_count:     10
    .vgpr_spill_count: 0
    .wavefront_size: 64
  - .agpr_count:     0
    .args:
      - .address_space:  global
        .offset:         0
        .size:           8
        .value_kind:     global_buffer
    .group_segment_fixed_size: 8
    .kernarg_segment_align: 8
    .kernarg_segment_size: 8
    .language:       OpenCL C
    .language_version:
      - 2
      - 0
    .max_flat_workgroup_size: 128
    .name:           _Z21inclusive_scan_kernelILj128ELN6hipcub18BlockScanAlgorithmE0EiEvPT1_
    .private_segment_fixed_size: 0
    .sgpr_count:     11
    .sgpr_spill_count: 0
    .symbol:         _Z21inclusive_scan_kernelILj128ELN6hipcub18BlockScanAlgorithmE0EiEvPT1_.kd
    .uniform_work_group_size: 1
    .uses_dynamic_stack: false
    .vgpr_count:     10
    .vgpr_spill_count: 0
    .wavefront_size: 64
  - .agpr_count:     0
    .args:
      - .address_space:  global
        .offset:         0
        .size:           8
        .value_kind:     global_buffer
    .group_segment_fixed_size: 4
    .kernarg_segment_align: 8
    .kernarg_segment_size: 8
    .language:       OpenCL C
    .language_version:
      - 2
      - 0
    .max_flat_workgroup_size: 64
    .name:           _Z21inclusive_scan_kernelILj64ELN6hipcub18BlockScanAlgorithmE0EiEvPT1_
    .private_segment_fixed_size: 0
    .sgpr_count:     11
    .sgpr_spill_count: 0
    .symbol:         _Z21inclusive_scan_kernelILj64ELN6hipcub18BlockScanAlgorithmE0EiEvPT1_.kd
    .uniform_work_group_size: 1
    .uses_dynamic_stack: false
    .vgpr_count:     9
    .vgpr_spill_count: 0
    .wavefront_size: 64
  - .agpr_count:     0
    .args:
      - .address_space:  global
        .offset:         0
        .size:           8
        .value_kind:     global_buffer
      - .address_space:  global
        .offset:         8
        .size:           8
        .value_kind:     global_buffer
    .group_segment_fixed_size: 384
    .kernarg_segment_align: 8
    .kernarg_segment_size: 16
    .language:       OpenCL C
    .language_version:
      - 2
      - 0
    .max_flat_workgroup_size: 377
    .name:           _Z28inclusive_scan_reduce_kernelILj377ELN6hipcub18BlockScanAlgorithmE1EhEvPT1_S3_
    .private_segment_fixed_size: 0
    .sgpr_count:     11
    .sgpr_spill_count: 0
    .symbol:         _Z28inclusive_scan_reduce_kernelILj377ELN6hipcub18BlockScanAlgorithmE1EhEvPT1_S3_.kd
    .uniform_work_group_size: 1
    .uses_dynamic_stack: false
    .vgpr_count:     15
    .vgpr_spill_count: 0
    .wavefront_size: 64
  - .agpr_count:     0
    .args:
      - .address_space:  global
        .offset:         0
        .size:           8
        .value_kind:     global_buffer
      - .address_space:  global
        .offset:         8
        .size:           8
        .value_kind:     global_buffer
    .group_segment_fixed_size: 1536
    .kernarg_segment_align: 8
    .kernarg_segment_size: 16
    .language:       OpenCL C
    .language_version:
      - 2
      - 0
    .max_flat_workgroup_size: 377
    .name:           _Z28inclusive_scan_reduce_kernelILj377ELN6hipcub18BlockScanAlgorithmE1EiEvPT1_S3_
    .private_segment_fixed_size: 0
    .sgpr_count:     12
    .sgpr_spill_count: 0
    .symbol:         _Z28inclusive_scan_reduce_kernelILj377ELN6hipcub18BlockScanAlgorithmE1EiEvPT1_S3_.kd
    .uniform_work_group_size: 1
    .uses_dynamic_stack: false
    .vgpr_count:     16
    .vgpr_spill_count: 0
    .wavefront_size: 64
  - .agpr_count:     0
    .args:
      - .address_space:  global
        .offset:         0
        .size:           8
        .value_kind:     global_buffer
      - .address_space:  global
        .offset:         8
        .size:           8
        .value_kind:     global_buffer
    .group_segment_fixed_size: 1056
    .kernarg_segment_align: 8
    .kernarg_segment_size: 16
    .language:       OpenCL C
    .language_version:
      - 2
      - 0
    .max_flat_workgroup_size: 255
    .name:           _Z28inclusive_scan_reduce_kernelILj255ELN6hipcub18BlockScanAlgorithmE1EjEvPT1_S3_
    .private_segment_fixed_size: 0
    .sgpr_count:     12
    .sgpr_spill_count: 0
    .symbol:         _Z28inclusive_scan_reduce_kernelILj255ELN6hipcub18BlockScanAlgorithmE1EjEvPT1_S3_.kd
    .uniform_work_group_size: 1
    .uses_dynamic_stack: false
    .vgpr_count:     14
    .vgpr_spill_count: 0
    .wavefront_size: 64
  - .agpr_count:     0
    .args:
      - .address_space:  global
        .offset:         0
        .size:           8
        .value_kind:     global_buffer
      - .address_space:  global
        .offset:         8
        .size:           8
        .value_kind:     global_buffer
    .group_segment_fixed_size: 384
    .kernarg_segment_align: 8
    .kernarg_segment_size: 16
    .language:       OpenCL C
    .language_version:
      - 2
      - 0
    .max_flat_workgroup_size: 162
    .name:           _Z28inclusive_scan_reduce_kernelILj162ELN6hipcub18BlockScanAlgorithmE1EsEvPT1_S3_
    .private_segment_fixed_size: 0
    .sgpr_count:     12
    .sgpr_spill_count: 0
    .symbol:         _Z28inclusive_scan_reduce_kernelILj162ELN6hipcub18BlockScanAlgorithmE1EsEvPT1_S3_.kd
    .uniform_work_group_size: 1
    .uses_dynamic_stack: false
    .vgpr_count:     13
    .vgpr_spill_count: 0
    .wavefront_size: 64
  - .agpr_count:     0
    .args:
      - .address_space:  global
        .offset:         0
        .size:           8
        .value_kind:     global_buffer
      - .address_space:  global
        .offset:         8
        .size:           8
        .value_kind:     global_buffer
    .group_segment_fixed_size: 8
    .kernarg_segment_align: 8
    .kernarg_segment_size: 16
    .language:       OpenCL C
    .language_version:
      - 2
      - 0
    .max_flat_workgroup_size: 37
    .name:           _Z28inclusive_scan_reduce_kernelILj37ELN6hipcub18BlockScanAlgorithmE1ElEvPT1_S3_
    .private_segment_fixed_size: 0
    .sgpr_count:     12
    .sgpr_spill_count: 0
    .symbol:         _Z28inclusive_scan_reduce_kernelILj37ELN6hipcub18BlockScanAlgorithmE1ElEvPT1_S3_.kd
    .uniform_work_group_size: 1
    .uses_dynamic_stack: false
    .vgpr_count:     14
    .vgpr_spill_count: 0
    .wavefront_size: 64
  - .agpr_count:     0
    .args:
      - .address_space:  global
        .offset:         0
        .size:           8
        .value_kind:     global_buffer
      - .address_space:  global
        .offset:         8
        .size:           8
        .value_kind:     global_buffer
    .group_segment_fixed_size: 1056
    .kernarg_segment_align: 8
    .kernarg_segment_size: 16
    .language:       OpenCL C
    .language_version:
      - 2
      - 0
    .max_flat_workgroup_size: 65
    .name:           _Z28inclusive_scan_reduce_kernelILj65ELN6hipcub18BlockScanAlgorithmE1EmEvPT1_S3_
    .private_segment_fixed_size: 0
    .sgpr_count:     12
    .sgpr_spill_count: 0
    .symbol:         _Z28inclusive_scan_reduce_kernelILj65ELN6hipcub18BlockScanAlgorithmE1EmEvPT1_S3_.kd
    .uniform_work_group_size: 1
    .uses_dynamic_stack: false
    .vgpr_count:     20
    .vgpr_spill_count: 0
    .wavefront_size: 64
  - .agpr_count:     0
    .args:
      - .address_space:  global
        .offset:         0
        .size:           8
        .value_kind:     global_buffer
      - .address_space:  global
        .offset:         8
        .size:           8
        .value_kind:     global_buffer
    .group_segment_fixed_size: 2112
    .kernarg_segment_align: 8
    .kernarg_segment_size: 16
    .language:       OpenCL C
    .language_version:
      - 2
      - 0
    .max_flat_workgroup_size: 512
    .name:           _Z28inclusive_scan_reduce_kernelILj512ELN6hipcub18BlockScanAlgorithmE1EiEvPT1_S3_
    .private_segment_fixed_size: 0
    .sgpr_count:     12
    .sgpr_spill_count: 0
    .symbol:         _Z28inclusive_scan_reduce_kernelILj512ELN6hipcub18BlockScanAlgorithmE1EiEvPT1_S3_.kd
    .uniform_work_group_size: 1
    .uses_dynamic_stack: false
    .vgpr_count:     18
    .vgpr_spill_count: 0
    .wavefront_size: 64
  - .agpr_count:     0
    .args:
      - .address_space:  global
        .offset:         0
        .size:           8
        .value_kind:     global_buffer
      - .address_space:  global
        .offset:         8
        .size:           8
        .value_kind:     global_buffer
    .group_segment_fixed_size: 1056
    .kernarg_segment_align: 8
    .kernarg_segment_size: 16
    .language:       OpenCL C
    .language_version:
      - 2
      - 0
    .max_flat_workgroup_size: 256
    .name:           _Z28inclusive_scan_reduce_kernelILj256ELN6hipcub18BlockScanAlgorithmE1EiEvPT1_S3_
    .private_segment_fixed_size: 0
    .sgpr_count:     12
    .sgpr_spill_count: 0
    .symbol:         _Z28inclusive_scan_reduce_kernelILj256ELN6hipcub18BlockScanAlgorithmE1EiEvPT1_S3_.kd
    .uniform_work_group_size: 1
    .uses_dynamic_stack: false
    .vgpr_count:     14
    .vgpr_spill_count: 0
    .wavefront_size: 64
  - .agpr_count:     0
    .args:
      - .address_space:  global
        .offset:         0
        .size:           8
        .value_kind:     global_buffer
      - .address_space:  global
        .offset:         8
        .size:           8
        .value_kind:     global_buffer
    .group_segment_fixed_size: 528
    .kernarg_segment_align: 8
    .kernarg_segment_size: 16
    .language:       OpenCL C
    .language_version:
      - 2
      - 0
    .max_flat_workgroup_size: 128
    .name:           _Z28inclusive_scan_reduce_kernelILj128ELN6hipcub18BlockScanAlgorithmE1EiEvPT1_S3_
    .private_segment_fixed_size: 0
    .sgpr_count:     12
    .sgpr_spill_count: 0
    .symbol:         _Z28inclusive_scan_reduce_kernelILj128ELN6hipcub18BlockScanAlgorithmE1EiEvPT1_S3_.kd
    .uniform_work_group_size: 1
    .uses_dynamic_stack: false
    .vgpr_count:     12
    .vgpr_spill_count: 0
    .wavefront_size: 64
  - .agpr_count:     0
    .args:
      - .address_space:  global
        .offset:         0
        .size:           8
        .value_kind:     global_buffer
      - .address_space:  global
        .offset:         8
        .size:           8
        .value_kind:     global_buffer
    .group_segment_fixed_size: 4
    .kernarg_segment_align: 8
    .kernarg_segment_size: 16
    .language:       OpenCL C
    .language_version:
      - 2
      - 0
    .max_flat_workgroup_size: 64
    .name:           _Z28inclusive_scan_reduce_kernelILj64ELN6hipcub18BlockScanAlgorithmE1EiEvPT1_S3_
    .private_segment_fixed_size: 0
    .sgpr_count:     12
    .sgpr_spill_count: 0
    .symbol:         _Z28inclusive_scan_reduce_kernelILj64ELN6hipcub18BlockScanAlgorithmE1EiEvPT1_S3_.kd
    .uniform_work_group_size: 1
    .uses_dynamic_stack: false
    .vgpr_count:     9
    .vgpr_spill_count: 0
    .wavefront_size: 64
  - .agpr_count:     0
    .args:
      - .address_space:  global
        .offset:         0
        .size:           8
        .value_kind:     global_buffer
      - .address_space:  global
        .offset:         8
        .size:           8
        .value_kind:     global_buffer
    .group_segment_fixed_size: 48
    .kernarg_segment_align: 8
    .kernarg_segment_size: 16
    .language:       OpenCL C
    .language_version:
      - 2
      - 0
    .max_flat_workgroup_size: 377
    .name:           _Z28inclusive_scan_reduce_kernelILj377ELN6hipcub18BlockScanAlgorithmE0ElEvPT1_S3_
    .private_segment_fixed_size: 0
    .sgpr_count:     12
    .sgpr_spill_count: 0
    .symbol:         _Z28inclusive_scan_reduce_kernelILj377ELN6hipcub18BlockScanAlgorithmE0ElEvPT1_S3_.kd
    .uniform_work_group_size: 1
    .uses_dynamic_stack: false
    .vgpr_count:     15
    .vgpr_spill_count: 0
    .wavefront_size: 64
  - .agpr_count:     0
    .args:
      - .address_space:  global
        .offset:         0
        .size:           8
        .value_kind:     global_buffer
      - .address_space:  global
        .offset:         8
        .size:           8
        .value_kind:     global_buffer
    .group_segment_fixed_size: 32
    .kernarg_segment_align: 8
    .kernarg_segment_size: 16
    .language:       OpenCL C
    .language_version:
      - 2
      - 0
    .max_flat_workgroup_size: 256
    .name:           _Z28inclusive_scan_reduce_kernelILj256ELN6hipcub18BlockScanAlgorithmE0ElEvPT1_S3_
    .private_segment_fixed_size: 0
    .sgpr_count:     12
    .sgpr_spill_count: 0
    .symbol:         _Z28inclusive_scan_reduce_kernelILj256ELN6hipcub18BlockScanAlgorithmE0ElEvPT1_S3_.kd
    .uniform_work_group_size: 1
    .uses_dynamic_stack: false
    .vgpr_count:     14
    .vgpr_spill_count: 0
    .wavefront_size: 64
  - .agpr_count:     0
    .args:
      - .address_space:  global
        .offset:         0
        .size:           8
        .value_kind:     global_buffer
      - .address_space:  global
        .offset:         8
        .size:           8
        .value_kind:     global_buffer
    .group_segment_fixed_size: 8
    .kernarg_segment_align: 8
    .kernarg_segment_size: 16
    .language:       OpenCL C
    .language_version:
      - 2
      - 0
    .max_flat_workgroup_size: 64
    .name:           _Z28inclusive_scan_reduce_kernelILj64ELN6hipcub18BlockScanAlgorithmE0ElEvPT1_S3_
    .private_segment_fixed_size: 0
    .sgpr_count:     12
    .sgpr_spill_count: 0
    .symbol:         _Z28inclusive_scan_reduce_kernelILj64ELN6hipcub18BlockScanAlgorithmE0ElEvPT1_S3_.kd
    .uniform_work_group_size: 1
    .uses_dynamic_stack: false
    .vgpr_count:     14
    .vgpr_spill_count: 0
    .wavefront_size: 64
  - .agpr_count:     0
    .args:
      - .address_space:  global
        .offset:         0
        .size:           8
        .value_kind:     global_buffer
      - .address_space:  global
        .offset:         8
        .size:           8
        .value_kind:     global_buffer
    .group_segment_fixed_size: 24
    .kernarg_segment_align: 8
    .kernarg_segment_size: 16
    .language:       OpenCL C
    .language_version:
      - 2
      - 0
    .max_flat_workgroup_size: 377
    .name:           _Z28inclusive_scan_reduce_kernelILj377ELN6hipcub18BlockScanAlgorithmE0EjEvPT1_S3_
    .private_segment_fixed_size: 0
    .sgpr_count:     12
    .sgpr_spill_count: 0
    .symbol:         _Z28inclusive_scan_reduce_kernelILj377ELN6hipcub18BlockScanAlgorithmE0EjEvPT1_S3_.kd
    .uniform_work_group_size: 1
    .uses_dynamic_stack: false
    .vgpr_count:     10
    .vgpr_spill_count: 0
    .wavefront_size: 64
  - .agpr_count:     0
    .args:
      - .address_space:  global
        .offset:         0
        .size:           8
        .value_kind:     global_buffer
      - .address_space:  global
        .offset:         8
        .size:           8
        .value_kind:     global_buffer
    .group_segment_fixed_size: 16
    .kernarg_segment_align: 8
    .kernarg_segment_size: 16
    .language:       OpenCL C
    .language_version:
      - 2
      - 0
    .max_flat_workgroup_size: 256
    .name:           _Z28inclusive_scan_reduce_kernelILj256ELN6hipcub18BlockScanAlgorithmE0EjEvPT1_S3_
    .private_segment_fixed_size: 0
    .sgpr_count:     12
    .sgpr_spill_count: 0
    .symbol:         _Z28inclusive_scan_reduce_kernelILj256ELN6hipcub18BlockScanAlgorithmE0EjEvPT1_S3_.kd
    .uniform_work_group_size: 1
    .uses_dynamic_stack: false
    .vgpr_count:     10
    .vgpr_spill_count: 0
    .wavefront_size: 64
  - .agpr_count:     0
    .args:
      - .address_space:  global
        .offset:         0
        .size:           8
        .value_kind:     global_buffer
      - .address_space:  global
        .offset:         8
        .size:           8
        .value_kind:     global_buffer
    .group_segment_fixed_size: 4
    .kernarg_segment_align: 8
    .kernarg_segment_size: 16
    .language:       OpenCL C
    .language_version:
      - 2
      - 0
    .max_flat_workgroup_size: 64
    .name:           _Z28inclusive_scan_reduce_kernelILj64ELN6hipcub18BlockScanAlgorithmE0EjEvPT1_S3_
    .private_segment_fixed_size: 0
    .sgpr_count:     12
    .sgpr_spill_count: 0
    .symbol:         _Z28inclusive_scan_reduce_kernelILj64ELN6hipcub18BlockScanAlgorithmE0EjEvPT1_S3_.kd
    .uniform_work_group_size: 1
    .uses_dynamic_stack: false
    .vgpr_count:     9
    .vgpr_spill_count: 0
    .wavefront_size: 64
  - .agpr_count:     0
    .args:
      - .address_space:  global
        .offset:         0
        .size:           8
        .value_kind:     global_buffer
      - .address_space:  global
        .offset:         8
        .size:           8
        .value_kind:     global_buffer
    .group_segment_fixed_size: 16
    .kernarg_segment_align: 8
    .kernarg_segment_size: 16
    .language:       OpenCL C
    .language_version:
      - 2
      - 0
    .max_flat_workgroup_size: 255
    .name:           _Z28inclusive_scan_reduce_kernelILj255ELN6hipcub18BlockScanAlgorithmE0EiEvPT1_S3_
    .private_segment_fixed_size: 0
    .sgpr_count:     12
    .sgpr_spill_count: 0
    .symbol:         _Z28inclusive_scan_reduce_kernelILj255ELN6hipcub18BlockScanAlgorithmE0EiEvPT1_S3_.kd
    .uniform_work_group_size: 1
    .uses_dynamic_stack: false
    .vgpr_count:     10
    .vgpr_spill_count: 0
    .wavefront_size: 64
  - .agpr_count:     0
    .args:
      - .address_space:  global
        .offset:         0
        .size:           8
        .value_kind:     global_buffer
      - .address_space:  global
        .offset:         8
        .size:           8
        .value_kind:     global_buffer
    .group_segment_fixed_size: 12
    .kernarg_segment_align: 8
    .kernarg_segment_size: 16
    .language:       OpenCL C
    .language_version:
      - 2
      - 0
    .max_flat_workgroup_size: 162
    .name:           _Z28inclusive_scan_reduce_kernelILj162ELN6hipcub18BlockScanAlgorithmE0EiEvPT1_S3_
    .private_segment_fixed_size: 0
    .sgpr_count:     12
    .sgpr_spill_count: 0
    .symbol:         _Z28inclusive_scan_reduce_kernelILj162ELN6hipcub18BlockScanAlgorithmE0EiEvPT1_S3_.kd
    .uniform_work_group_size: 1
    .uses_dynamic_stack: false
    .vgpr_count:     10
    .vgpr_spill_count: 0
    .wavefront_size: 64
  - .agpr_count:     0
    .args:
      - .address_space:  global
        .offset:         0
        .size:           8
        .value_kind:     global_buffer
      - .address_space:  global
        .offset:         8
        .size:           8
        .value_kind:     global_buffer
    .group_segment_fixed_size: 4
    .kernarg_segment_align: 8
    .kernarg_segment_size: 16
    .language:       OpenCL C
    .language_version:
      - 2
      - 0
    .max_flat_workgroup_size: 37
    .name:           _Z28inclusive_scan_reduce_kernelILj37ELN6hipcub18BlockScanAlgorithmE0EiEvPT1_S3_
    .private_segment_fixed_size: 0
    .sgpr_count:     12
    .sgpr_spill_count: 0
    .symbol:         _Z28inclusive_scan_reduce_kernelILj37ELN6hipcub18BlockScanAlgorithmE0EiEvPT1_S3_.kd
    .uniform_work_group_size: 1
    .uses_dynamic_stack: false
    .vgpr_count:     9
    .vgpr_spill_count: 0
    .wavefront_size: 64
  - .agpr_count:     0
    .args:
      - .address_space:  global
        .offset:         0
        .size:           8
        .value_kind:     global_buffer
      - .address_space:  global
        .offset:         8
        .size:           8
        .value_kind:     global_buffer
    .group_segment_fixed_size: 8
    .kernarg_segment_align: 8
    .kernarg_segment_size: 16
    .language:       OpenCL C
    .language_version:
      - 2
      - 0
    .max_flat_workgroup_size: 65
    .name:           _Z28inclusive_scan_reduce_kernelILj65ELN6hipcub18BlockScanAlgorithmE0EiEvPT1_S3_
    .private_segment_fixed_size: 0
    .sgpr_count:     12
    .sgpr_spill_count: 0
    .symbol:         _Z28inclusive_scan_reduce_kernelILj65ELN6hipcub18BlockScanAlgorithmE0EiEvPT1_S3_.kd
    .uniform_work_group_size: 1
    .uses_dynamic_stack: false
    .vgpr_count:     10
    .vgpr_spill_count: 0
    .wavefront_size: 64
  - .agpr_count:     0
    .args:
      - .address_space:  global
        .offset:         0
        .size:           8
        .value_kind:     global_buffer
      - .address_space:  global
        .offset:         8
        .size:           8
        .value_kind:     global_buffer
    .group_segment_fixed_size: 32
    .kernarg_segment_align: 8
    .kernarg_segment_size: 16
    .language:       OpenCL C
    .language_version:
      - 2
      - 0
    .max_flat_workgroup_size: 512
    .name:           _Z28inclusive_scan_reduce_kernelILj512ELN6hipcub18BlockScanAlgorithmE0EiEvPT1_S3_
    .private_segment_fixed_size: 0
    .sgpr_count:     12
    .sgpr_spill_count: 0
    .symbol:         _Z28inclusive_scan_reduce_kernelILj512ELN6hipcub18BlockScanAlgorithmE0EiEvPT1_S3_.kd
    .uniform_work_group_size: 1
    .uses_dynamic_stack: false
    .vgpr_count:     10
    .vgpr_spill_count: 0
    .wavefront_size: 64
  - .agpr_count:     0
    .args:
      - .address_space:  global
        .offset:         0
        .size:           8
        .value_kind:     global_buffer
      - .address_space:  global
        .offset:         8
        .size:           8
        .value_kind:     global_buffer
    .group_segment_fixed_size: 16
    .kernarg_segment_align: 8
    .kernarg_segment_size: 16
    .language:       OpenCL C
    .language_version:
      - 2
      - 0
    .max_flat_workgroup_size: 256
    .name:           _Z28inclusive_scan_reduce_kernelILj256ELN6hipcub18BlockScanAlgorithmE0EiEvPT1_S3_
    .private_segment_fixed_size: 0
    .sgpr_count:     12
    .sgpr_spill_count: 0
    .symbol:         _Z28inclusive_scan_reduce_kernelILj256ELN6hipcub18BlockScanAlgorithmE0EiEvPT1_S3_.kd
    .uniform_work_group_size: 1
    .uses_dynamic_stack: false
    .vgpr_count:     10
    .vgpr_spill_count: 0
    .wavefront_size: 64
  - .agpr_count:     0
    .args:
      - .address_space:  global
        .offset:         0
        .size:           8
        .value_kind:     global_buffer
      - .address_space:  global
        .offset:         8
        .size:           8
        .value_kind:     global_buffer
    .group_segment_fixed_size: 8
    .kernarg_segment_align: 8
    .kernarg_segment_size: 16
    .language:       OpenCL C
    .language_version:
      - 2
      - 0
    .max_flat_workgroup_size: 128
    .name:           _Z28inclusive_scan_reduce_kernelILj128ELN6hipcub18BlockScanAlgorithmE0EiEvPT1_S3_
    .private_segment_fixed_size: 0
    .sgpr_count:     12
    .sgpr_spill_count: 0
    .symbol:         _Z28inclusive_scan_reduce_kernelILj128ELN6hipcub18BlockScanAlgorithmE0EiEvPT1_S3_.kd
    .uniform_work_group_size: 1
    .uses_dynamic_stack: false
    .vgpr_count:     10
    .vgpr_spill_count: 0
    .wavefront_size: 64
  - .agpr_count:     0
    .args:
      - .address_space:  global
        .offset:         0
        .size:           8
        .value_kind:     global_buffer
      - .address_space:  global
        .offset:         8
        .size:           8
        .value_kind:     global_buffer
    .group_segment_fixed_size: 4
    .kernarg_segment_align: 8
    .kernarg_segment_size: 16
    .language:       OpenCL C
    .language_version:
      - 2
      - 0
    .max_flat_workgroup_size: 64
    .name:           _Z28inclusive_scan_reduce_kernelILj64ELN6hipcub18BlockScanAlgorithmE0EiEvPT1_S3_
    .private_segment_fixed_size: 0
    .sgpr_count:     12
    .sgpr_spill_count: 0
    .symbol:         _Z28inclusive_scan_reduce_kernelILj64ELN6hipcub18BlockScanAlgorithmE0EiEvPT1_S3_.kd
    .uniform_work_group_size: 1
    .uses_dynamic_stack: false
    .vgpr_count:     9
    .vgpr_spill_count: 0
    .wavefront_size: 64
  - .agpr_count:     0
    .args:
      - .address_space:  global
        .offset:         0
        .size:           8
        .value_kind:     global_buffer
      - .address_space:  global
        .offset:         8
        .size:           8
        .value_kind:     global_buffer
      - .offset:         16
        .size:           1
        .value_kind:     by_value
    .group_segment_fixed_size: 384
    .kernarg_segment_align: 8
    .kernarg_segment_size: 20
    .language:       OpenCL C
    .language_version:
      - 2
      - 0
    .max_flat_workgroup_size: 377
    .name:           _Z37inclusive_scan_prefix_callback_kernelILj377ELN6hipcub18BlockScanAlgorithmE1EhEvPT1_S3_S2_
    .private_segment_fixed_size: 0
    .sgpr_count:     14
    .sgpr_spill_count: 0
    .symbol:         _Z37inclusive_scan_prefix_callback_kernelILj377ELN6hipcub18BlockScanAlgorithmE1EhEvPT1_S3_S2_.kd
    .uniform_work_group_size: 1
    .uses_dynamic_stack: false
    .vgpr_count:     15
    .vgpr_spill_count: 0
    .wavefront_size: 64
  - .agpr_count:     0
    .args:
      - .address_space:  global
        .offset:         0
        .size:           8
        .value_kind:     global_buffer
      - .address_space:  global
        .offset:         8
        .size:           8
        .value_kind:     global_buffer
      - .offset:         16
        .size:           4
        .value_kind:     by_value
    .group_segment_fixed_size: 1536
    .kernarg_segment_align: 8
    .kernarg_segment_size: 20
    .language:       OpenCL C
    .language_version:
      - 2
      - 0
    .max_flat_workgroup_size: 377
    .name:           _Z37inclusive_scan_prefix_callback_kernelILj377ELN6hipcub18BlockScanAlgorithmE1EiEvPT1_S3_S2_
    .private_segment_fixed_size: 0
    .sgpr_count:     14
    .sgpr_spill_count: 0
    .symbol:         _Z37inclusive_scan_prefix_callback_kernelILj377ELN6hipcub18BlockScanAlgorithmE1EiEvPT1_S3_S2_.kd
    .uniform_work_group_size: 1
    .uses_dynamic_stack: false
    .vgpr_count:     16
    .vgpr_spill_count: 0
    .wavefront_size: 64
  - .agpr_count:     0
    .args:
      - .address_space:  global
        .offset:         0
        .size:           8
        .value_kind:     global_buffer
      - .address_space:  global
        .offset:         8
        .size:           8
        .value_kind:     global_buffer
      - .offset:         16
        .size:           4
        .value_kind:     by_value
    .group_segment_fixed_size: 1056
    .kernarg_segment_align: 8
    .kernarg_segment_size: 20
    .language:       OpenCL C
    .language_version:
      - 2
      - 0
    .max_flat_workgroup_size: 255
    .name:           _Z37inclusive_scan_prefix_callback_kernelILj255ELN6hipcub18BlockScanAlgorithmE1EjEvPT1_S3_S2_
    .private_segment_fixed_size: 0
    .sgpr_count:     14
    .sgpr_spill_count: 0
    .symbol:         _Z37inclusive_scan_prefix_callback_kernelILj255ELN6hipcub18BlockScanAlgorithmE1EjEvPT1_S3_S2_.kd
    .uniform_work_group_size: 1
    .uses_dynamic_stack: false
    .vgpr_count:     14
    .vgpr_spill_count: 0
    .wavefront_size: 64
  - .agpr_count:     0
    .args:
      - .address_space:  global
        .offset:         0
        .size:           8
        .value_kind:     global_buffer
      - .address_space:  global
        .offset:         8
        .size:           8
        .value_kind:     global_buffer
      - .offset:         16
        .size:           2
        .value_kind:     by_value
    .group_segment_fixed_size: 384
    .kernarg_segment_align: 8
    .kernarg_segment_size: 20
    .language:       OpenCL C
    .language_version:
      - 2
      - 0
    .max_flat_workgroup_size: 162
    .name:           _Z37inclusive_scan_prefix_callback_kernelILj162ELN6hipcub18BlockScanAlgorithmE1EsEvPT1_S3_S2_
    .private_segment_fixed_size: 0
    .sgpr_count:     14
    .sgpr_spill_count: 0
    .symbol:         _Z37inclusive_scan_prefix_callback_kernelILj162ELN6hipcub18BlockScanAlgorithmE1EsEvPT1_S3_S2_.kd
    .uniform_work_group_size: 1
    .uses_dynamic_stack: false
    .vgpr_count:     13
    .vgpr_spill_count: 0
    .wavefront_size: 64
  - .agpr_count:     0
    .args:
      - .address_space:  global
        .offset:         0
        .size:           8
        .value_kind:     global_buffer
      - .address_space:  global
        .offset:         8
        .size:           8
        .value_kind:     global_buffer
      - .offset:         16
        .size:           8
        .value_kind:     by_value
    .group_segment_fixed_size: 8
    .kernarg_segment_align: 8
    .kernarg_segment_size: 24
    .language:       OpenCL C
    .language_version:
      - 2
      - 0
    .max_flat_workgroup_size: 37
    .name:           _Z37inclusive_scan_prefix_callback_kernelILj37ELN6hipcub18BlockScanAlgorithmE1ElEvPT1_S3_S2_
    .private_segment_fixed_size: 0
    .sgpr_count:     14
    .sgpr_spill_count: 0
    .symbol:         _Z37inclusive_scan_prefix_callback_kernelILj37ELN6hipcub18BlockScanAlgorithmE1ElEvPT1_S3_S2_.kd
    .uniform_work_group_size: 1
    .uses_dynamic_stack: false
    .vgpr_count:     14
    .vgpr_spill_count: 0
    .wavefront_size: 64
  - .agpr_count:     0
    .args:
      - .address_space:  global
        .offset:         0
        .size:           8
        .value_kind:     global_buffer
      - .address_space:  global
        .offset:         8
        .size:           8
        .value_kind:     global_buffer
      - .offset:         16
        .size:           8
        .value_kind:     by_value
    .group_segment_fixed_size: 1056
    .kernarg_segment_align: 8
    .kernarg_segment_size: 24
    .language:       OpenCL C
    .language_version:
      - 2
      - 0
    .max_flat_workgroup_size: 65
    .name:           _Z37inclusive_scan_prefix_callback_kernelILj65ELN6hipcub18BlockScanAlgorithmE1EmEvPT1_S3_S2_
    .private_segment_fixed_size: 0
    .sgpr_count:     18
    .sgpr_spill_count: 0
    .symbol:         _Z37inclusive_scan_prefix_callback_kernelILj65ELN6hipcub18BlockScanAlgorithmE1EmEvPT1_S3_S2_.kd
    .uniform_work_group_size: 1
    .uses_dynamic_stack: false
    .vgpr_count:     20
    .vgpr_spill_count: 0
    .wavefront_size: 64
  - .agpr_count:     0
    .args:
      - .address_space:  global
        .offset:         0
        .size:           8
        .value_kind:     global_buffer
      - .address_space:  global
        .offset:         8
        .size:           8
        .value_kind:     global_buffer
      - .offset:         16
        .size:           4
        .value_kind:     by_value
    .group_segment_fixed_size: 2112
    .kernarg_segment_align: 8
    .kernarg_segment_size: 20
    .language:       OpenCL C
    .language_version:
      - 2
      - 0
    .max_flat_workgroup_size: 512
    .name:           _Z37inclusive_scan_prefix_callback_kernelILj512ELN6hipcub18BlockScanAlgorithmE1EiEvPT1_S3_S2_
    .private_segment_fixed_size: 0
    .sgpr_count:     14
    .sgpr_spill_count: 0
    .symbol:         _Z37inclusive_scan_prefix_callback_kernelILj512ELN6hipcub18BlockScanAlgorithmE1EiEvPT1_S3_S2_.kd
    .uniform_work_group_size: 1
    .uses_dynamic_stack: false
    .vgpr_count:     18
    .vgpr_spill_count: 0
    .wavefront_size: 64
  - .agpr_count:     0
    .args:
      - .address_space:  global
        .offset:         0
        .size:           8
        .value_kind:     global_buffer
      - .address_space:  global
        .offset:         8
        .size:           8
        .value_kind:     global_buffer
      - .offset:         16
        .size:           4
        .value_kind:     by_value
    .group_segment_fixed_size: 1056
    .kernarg_segment_align: 8
    .kernarg_segment_size: 20
    .language:       OpenCL C
    .language_version:
      - 2
      - 0
    .max_flat_workgroup_size: 256
    .name:           _Z37inclusive_scan_prefix_callback_kernelILj256ELN6hipcub18BlockScanAlgorithmE1EiEvPT1_S3_S2_
    .private_segment_fixed_size: 0
    .sgpr_count:     14
    .sgpr_spill_count: 0
    .symbol:         _Z37inclusive_scan_prefix_callback_kernelILj256ELN6hipcub18BlockScanAlgorithmE1EiEvPT1_S3_S2_.kd
    .uniform_work_group_size: 1
    .uses_dynamic_stack: false
    .vgpr_count:     14
    .vgpr_spill_count: 0
    .wavefront_size: 64
  - .agpr_count:     0
    .args:
      - .address_space:  global
        .offset:         0
        .size:           8
        .value_kind:     global_buffer
      - .address_space:  global
        .offset:         8
        .size:           8
        .value_kind:     global_buffer
      - .offset:         16
        .size:           4
        .value_kind:     by_value
    .group_segment_fixed_size: 528
    .kernarg_segment_align: 8
    .kernarg_segment_size: 20
    .language:       OpenCL C
    .language_version:
      - 2
      - 0
    .max_flat_workgroup_size: 128
    .name:           _Z37inclusive_scan_prefix_callback_kernelILj128ELN6hipcub18BlockScanAlgorithmE1EiEvPT1_S3_S2_
    .private_segment_fixed_size: 0
    .sgpr_count:     14
    .sgpr_spill_count: 0
    .symbol:         _Z37inclusive_scan_prefix_callback_kernelILj128ELN6hipcub18BlockScanAlgorithmE1EiEvPT1_S3_S2_.kd
    .uniform_work_group_size: 1
    .uses_dynamic_stack: false
    .vgpr_count:     12
    .vgpr_spill_count: 0
    .wavefront_size: 64
  - .agpr_count:     0
    .args:
      - .address_space:  global
        .offset:         0
        .size:           8
        .value_kind:     global_buffer
      - .address_space:  global
        .offset:         8
        .size:           8
        .value_kind:     global_buffer
      - .offset:         16
        .size:           4
        .value_kind:     by_value
    .group_segment_fixed_size: 4
    .kernarg_segment_align: 8
    .kernarg_segment_size: 20
    .language:       OpenCL C
    .language_version:
      - 2
      - 0
    .max_flat_workgroup_size: 64
    .name:           _Z37inclusive_scan_prefix_callback_kernelILj64ELN6hipcub18BlockScanAlgorithmE1EiEvPT1_S3_S2_
    .private_segment_fixed_size: 0
    .sgpr_count:     12
    .sgpr_spill_count: 0
    .symbol:         _Z37inclusive_scan_prefix_callback_kernelILj64ELN6hipcub18BlockScanAlgorithmE1EiEvPT1_S3_S2_.kd
    .uniform_work_group_size: 1
    .uses_dynamic_stack: false
    .vgpr_count:     9
    .vgpr_spill_count: 0
    .wavefront_size: 64
  - .agpr_count:     0
    .args:
      - .address_space:  global
        .offset:         0
        .size:           8
        .value_kind:     global_buffer
      - .address_space:  global
        .offset:         8
        .size:           8
        .value_kind:     global_buffer
      - .offset:         16
        .size:           8
        .value_kind:     by_value
    .group_segment_fixed_size: 48
    .kernarg_segment_align: 8
    .kernarg_segment_size: 24
    .language:       OpenCL C
    .language_version:
      - 2
      - 0
    .max_flat_workgroup_size: 377
    .name:           _Z37inclusive_scan_prefix_callback_kernelILj377ELN6hipcub18BlockScanAlgorithmE0ElEvPT1_S3_S2_
    .private_segment_fixed_size: 0
    .sgpr_count:     14
    .sgpr_spill_count: 0
    .symbol:         _Z37inclusive_scan_prefix_callback_kernelILj377ELN6hipcub18BlockScanAlgorithmE0ElEvPT1_S3_S2_.kd
    .uniform_work_group_size: 1
    .uses_dynamic_stack: false
    .vgpr_count:     15
    .vgpr_spill_count: 0
    .wavefront_size: 64
  - .agpr_count:     0
    .args:
      - .address_space:  global
        .offset:         0
        .size:           8
        .value_kind:     global_buffer
      - .address_space:  global
        .offset:         8
        .size:           8
        .value_kind:     global_buffer
      - .offset:         16
        .size:           8
        .value_kind:     by_value
    .group_segment_fixed_size: 32
    .kernarg_segment_align: 8
    .kernarg_segment_size: 24
    .language:       OpenCL C
    .language_version:
      - 2
      - 0
    .max_flat_workgroup_size: 256
    .name:           _Z37inclusive_scan_prefix_callback_kernelILj256ELN6hipcub18BlockScanAlgorithmE0ElEvPT1_S3_S2_
    .private_segment_fixed_size: 0
    .sgpr_count:     14
    .sgpr_spill_count: 0
    .symbol:         _Z37inclusive_scan_prefix_callback_kernelILj256ELN6hipcub18BlockScanAlgorithmE0ElEvPT1_S3_S2_.kd
    .uniform_work_group_size: 1
    .uses_dynamic_stack: false
    .vgpr_count:     14
    .vgpr_spill_count: 0
    .wavefront_size: 64
  - .agpr_count:     0
    .args:
      - .address_space:  global
        .offset:         0
        .size:           8
        .value_kind:     global_buffer
      - .address_space:  global
        .offset:         8
        .size:           8
        .value_kind:     global_buffer
      - .offset:         16
        .size:           8
        .value_kind:     by_value
    .group_segment_fixed_size: 8
    .kernarg_segment_align: 8
    .kernarg_segment_size: 24
    .language:       OpenCL C
    .language_version:
      - 2
      - 0
    .max_flat_workgroup_size: 64
    .name:           _Z37inclusive_scan_prefix_callback_kernelILj64ELN6hipcub18BlockScanAlgorithmE0ElEvPT1_S3_S2_
    .private_segment_fixed_size: 0
    .sgpr_count:     14
    .sgpr_spill_count: 0
    .symbol:         _Z37inclusive_scan_prefix_callback_kernelILj64ELN6hipcub18BlockScanAlgorithmE0ElEvPT1_S3_S2_.kd
    .uniform_work_group_size: 1
    .uses_dynamic_stack: false
    .vgpr_count:     14
    .vgpr_spill_count: 0
    .wavefront_size: 64
  - .agpr_count:     0
    .args:
      - .address_space:  global
        .offset:         0
        .size:           8
        .value_kind:     global_buffer
      - .address_space:  global
        .offset:         8
        .size:           8
        .value_kind:     global_buffer
      - .offset:         16
        .size:           4
        .value_kind:     by_value
    .group_segment_fixed_size: 24
    .kernarg_segment_align: 8
    .kernarg_segment_size: 20
    .language:       OpenCL C
    .language_version:
      - 2
      - 0
    .max_flat_workgroup_size: 377
    .name:           _Z37inclusive_scan_prefix_callback_kernelILj377ELN6hipcub18BlockScanAlgorithmE0EjEvPT1_S3_S2_
    .private_segment_fixed_size: 0
    .sgpr_count:     14
    .sgpr_spill_count: 0
    .symbol:         _Z37inclusive_scan_prefix_callback_kernelILj377ELN6hipcub18BlockScanAlgorithmE0EjEvPT1_S3_S2_.kd
    .uniform_work_group_size: 1
    .uses_dynamic_stack: false
    .vgpr_count:     10
    .vgpr_spill_count: 0
    .wavefront_size: 64
  - .agpr_count:     0
    .args:
      - .address_space:  global
        .offset:         0
        .size:           8
        .value_kind:     global_buffer
      - .address_space:  global
        .offset:         8
        .size:           8
        .value_kind:     global_buffer
      - .offset:         16
        .size:           4
        .value_kind:     by_value
    .group_segment_fixed_size: 16
    .kernarg_segment_align: 8
    .kernarg_segment_size: 20
    .language:       OpenCL C
    .language_version:
      - 2
      - 0
    .max_flat_workgroup_size: 256
    .name:           _Z37inclusive_scan_prefix_callback_kernelILj256ELN6hipcub18BlockScanAlgorithmE0EjEvPT1_S3_S2_
    .private_segment_fixed_size: 0
    .sgpr_count:     14
    .sgpr_spill_count: 0
    .symbol:         _Z37inclusive_scan_prefix_callback_kernelILj256ELN6hipcub18BlockScanAlgorithmE0EjEvPT1_S3_S2_.kd
    .uniform_work_group_size: 1
    .uses_dynamic_stack: false
    .vgpr_count:     10
    .vgpr_spill_count: 0
    .wavefront_size: 64
  - .agpr_count:     0
    .args:
      - .address_space:  global
        .offset:         0
        .size:           8
        .value_kind:     global_buffer
      - .address_space:  global
        .offset:         8
        .size:           8
        .value_kind:     global_buffer
      - .offset:         16
        .size:           4
        .value_kind:     by_value
    .group_segment_fixed_size: 4
    .kernarg_segment_align: 8
    .kernarg_segment_size: 20
    .language:       OpenCL C
    .language_version:
      - 2
      - 0
    .max_flat_workgroup_size: 64
    .name:           _Z37inclusive_scan_prefix_callback_kernelILj64ELN6hipcub18BlockScanAlgorithmE0EjEvPT1_S3_S2_
    .private_segment_fixed_size: 0
    .sgpr_count:     12
    .sgpr_spill_count: 0
    .symbol:         _Z37inclusive_scan_prefix_callback_kernelILj64ELN6hipcub18BlockScanAlgorithmE0EjEvPT1_S3_S2_.kd
    .uniform_work_group_size: 1
    .uses_dynamic_stack: false
    .vgpr_count:     9
    .vgpr_spill_count: 0
    .wavefront_size: 64
  - .agpr_count:     0
    .args:
      - .address_space:  global
        .offset:         0
        .size:           8
        .value_kind:     global_buffer
      - .address_space:  global
        .offset:         8
        .size:           8
        .value_kind:     global_buffer
      - .offset:         16
        .size:           4
        .value_kind:     by_value
    .group_segment_fixed_size: 16
    .kernarg_segment_align: 8
    .kernarg_segment_size: 20
    .language:       OpenCL C
    .language_version:
      - 2
      - 0
    .max_flat_workgroup_size: 255
    .name:           _Z37inclusive_scan_prefix_callback_kernelILj255ELN6hipcub18BlockScanAlgorithmE0EiEvPT1_S3_S2_
    .private_segment_fixed_size: 0
    .sgpr_count:     14
    .sgpr_spill_count: 0
    .symbol:         _Z37inclusive_scan_prefix_callback_kernelILj255ELN6hipcub18BlockScanAlgorithmE0EiEvPT1_S3_S2_.kd
    .uniform_work_group_size: 1
    .uses_dynamic_stack: false
    .vgpr_count:     10
    .vgpr_spill_count: 0
    .wavefront_size: 64
  - .agpr_count:     0
    .args:
      - .address_space:  global
        .offset:         0
        .size:           8
        .value_kind:     global_buffer
      - .address_space:  global
        .offset:         8
        .size:           8
        .value_kind:     global_buffer
      - .offset:         16
        .size:           4
        .value_kind:     by_value
    .group_segment_fixed_size: 12
    .kernarg_segment_align: 8
    .kernarg_segment_size: 20
    .language:       OpenCL C
    .language_version:
      - 2
      - 0
    .max_flat_workgroup_size: 162
    .name:           _Z37inclusive_scan_prefix_callback_kernelILj162ELN6hipcub18BlockScanAlgorithmE0EiEvPT1_S3_S2_
    .private_segment_fixed_size: 0
    .sgpr_count:     14
    .sgpr_spill_count: 0
    .symbol:         _Z37inclusive_scan_prefix_callback_kernelILj162ELN6hipcub18BlockScanAlgorithmE0EiEvPT1_S3_S2_.kd
    .uniform_work_group_size: 1
    .uses_dynamic_stack: false
    .vgpr_count:     10
    .vgpr_spill_count: 0
    .wavefront_size: 64
  - .agpr_count:     0
    .args:
      - .address_space:  global
        .offset:         0
        .size:           8
        .value_kind:     global_buffer
      - .address_space:  global
        .offset:         8
        .size:           8
        .value_kind:     global_buffer
      - .offset:         16
        .size:           4
        .value_kind:     by_value
    .group_segment_fixed_size: 4
    .kernarg_segment_align: 8
    .kernarg_segment_size: 20
    .language:       OpenCL C
    .language_version:
      - 2
      - 0
    .max_flat_workgroup_size: 37
    .name:           _Z37inclusive_scan_prefix_callback_kernelILj37ELN6hipcub18BlockScanAlgorithmE0EiEvPT1_S3_S2_
    .private_segment_fixed_size: 0
    .sgpr_count:     14
    .sgpr_spill_count: 0
    .symbol:         _Z37inclusive_scan_prefix_callback_kernelILj37ELN6hipcub18BlockScanAlgorithmE0EiEvPT1_S3_S2_.kd
    .uniform_work_group_size: 1
    .uses_dynamic_stack: false
    .vgpr_count:     9
    .vgpr_spill_count: 0
    .wavefront_size: 64
  - .agpr_count:     0
    .args:
      - .address_space:  global
        .offset:         0
        .size:           8
        .value_kind:     global_buffer
      - .address_space:  global
        .offset:         8
        .size:           8
        .value_kind:     global_buffer
      - .offset:         16
        .size:           4
        .value_kind:     by_value
    .group_segment_fixed_size: 8
    .kernarg_segment_align: 8
    .kernarg_segment_size: 20
    .language:       OpenCL C
    .language_version:
      - 2
      - 0
    .max_flat_workgroup_size: 65
    .name:           _Z37inclusive_scan_prefix_callback_kernelILj65ELN6hipcub18BlockScanAlgorithmE0EiEvPT1_S3_S2_
    .private_segment_fixed_size: 0
    .sgpr_count:     16
    .sgpr_spill_count: 0
    .symbol:         _Z37inclusive_scan_prefix_callback_kernelILj65ELN6hipcub18BlockScanAlgorithmE0EiEvPT1_S3_S2_.kd
    .uniform_work_group_size: 1
    .uses_dynamic_stack: false
    .vgpr_count:     10
    .vgpr_spill_count: 0
    .wavefront_size: 64
  - .agpr_count:     0
    .args:
      - .address_space:  global
        .offset:         0
        .size:           8
        .value_kind:     global_buffer
      - .address_space:  global
        .offset:         8
        .size:           8
        .value_kind:     global_buffer
      - .offset:         16
        .size:           4
        .value_kind:     by_value
    .group_segment_fixed_size: 32
    .kernarg_segment_align: 8
    .kernarg_segment_size: 20
    .language:       OpenCL C
    .language_version:
      - 2
      - 0
    .max_flat_workgroup_size: 512
    .name:           _Z37inclusive_scan_prefix_callback_kernelILj512ELN6hipcub18BlockScanAlgorithmE0EiEvPT1_S3_S2_
    .private_segment_fixed_size: 0
    .sgpr_count:     14
    .sgpr_spill_count: 0
    .symbol:         _Z37inclusive_scan_prefix_callback_kernelILj512ELN6hipcub18BlockScanAlgorithmE0EiEvPT1_S3_S2_.kd
    .uniform_work_group_size: 1
    .uses_dynamic_stack: false
    .vgpr_count:     10
    .vgpr_spill_count: 0
    .wavefront_size: 64
  - .agpr_count:     0
    .args:
      - .address_space:  global
        .offset:         0
        .size:           8
        .value_kind:     global_buffer
      - .address_space:  global
        .offset:         8
        .size:           8
        .value_kind:     global_buffer
      - .offset:         16
        .size:           4
        .value_kind:     by_value
    .group_segment_fixed_size: 16
    .kernarg_segment_align: 8
    .kernarg_segment_size: 20
    .language:       OpenCL C
    .language_version:
      - 2
      - 0
    .max_flat_workgroup_size: 256
    .name:           _Z37inclusive_scan_prefix_callback_kernelILj256ELN6hipcub18BlockScanAlgorithmE0EiEvPT1_S3_S2_
    .private_segment_fixed_size: 0
    .sgpr_count:     14
    .sgpr_spill_count: 0
    .symbol:         _Z37inclusive_scan_prefix_callback_kernelILj256ELN6hipcub18BlockScanAlgorithmE0EiEvPT1_S3_S2_.kd
    .uniform_work_group_size: 1
    .uses_dynamic_stack: false
    .vgpr_count:     10
    .vgpr_spill_count: 0
    .wavefront_size: 64
  - .agpr_count:     0
    .args:
      - .address_space:  global
        .offset:         0
        .size:           8
        .value_kind:     global_buffer
      - .address_space:  global
        .offset:         8
        .size:           8
        .value_kind:     global_buffer
      - .offset:         16
        .size:           4
        .value_kind:     by_value
    .group_segment_fixed_size: 8
    .kernarg_segment_align: 8
    .kernarg_segment_size: 20
    .language:       OpenCL C
    .language_version:
      - 2
      - 0
    .max_flat_workgroup_size: 128
    .name:           _Z37inclusive_scan_prefix_callback_kernelILj128ELN6hipcub18BlockScanAlgorithmE0EiEvPT1_S3_S2_
    .private_segment_fixed_size: 0
    .sgpr_count:     14
    .sgpr_spill_count: 0
    .symbol:         _Z37inclusive_scan_prefix_callback_kernelILj128ELN6hipcub18BlockScanAlgorithmE0EiEvPT1_S3_S2_.kd
    .uniform_work_group_size: 1
    .uses_dynamic_stack: false
    .vgpr_count:     10
    .vgpr_spill_count: 0
    .wavefront_size: 64
  - .agpr_count:     0
    .args:
      - .address_space:  global
        .offset:         0
        .size:           8
        .value_kind:     global_buffer
      - .address_space:  global
        .offset:         8
        .size:           8
        .value_kind:     global_buffer
      - .offset:         16
        .size:           4
        .value_kind:     by_value
    .group_segment_fixed_size: 4
    .kernarg_segment_align: 8
    .kernarg_segment_size: 20
    .language:       OpenCL C
    .language_version:
      - 2
      - 0
    .max_flat_workgroup_size: 64
    .name:           _Z37inclusive_scan_prefix_callback_kernelILj64ELN6hipcub18BlockScanAlgorithmE0EiEvPT1_S3_S2_
    .private_segment_fixed_size: 0
    .sgpr_count:     12
    .sgpr_spill_count: 0
    .symbol:         _Z37inclusive_scan_prefix_callback_kernelILj64ELN6hipcub18BlockScanAlgorithmE0EiEvPT1_S3_S2_.kd
    .uniform_work_group_size: 1
    .uses_dynamic_stack: false
    .vgpr_count:     9
    .vgpr_spill_count: 0
    .wavefront_size: 64
  - .agpr_count:     0
    .args:
      - .address_space:  global
        .offset:         0
        .size:           8
        .value_kind:     global_buffer
      - .offset:         8
        .size:           1
        .value_kind:     by_value
    .group_segment_fixed_size: 384
    .kernarg_segment_align: 8
    .kernarg_segment_size: 12
    .language:       OpenCL C
    .language_version:
      - 2
      - 0
    .max_flat_workgroup_size: 377
    .name:           _Z21exclusive_scan_kernelILj377ELN6hipcub18BlockScanAlgorithmE1EhEvPT1_S2_
    .private_segment_fixed_size: 0
    .sgpr_count:     11
    .sgpr_spill_count: 0
    .symbol:         _Z21exclusive_scan_kernelILj377ELN6hipcub18BlockScanAlgorithmE1EhEvPT1_S2_.kd
    .uniform_work_group_size: 1
    .uses_dynamic_stack: false
    .vgpr_count:     15
    .vgpr_spill_count: 0
    .wavefront_size: 64
  - .agpr_count:     0
    .args:
      - .address_space:  global
        .offset:         0
        .size:           8
        .value_kind:     global_buffer
      - .offset:         8
        .size:           4
        .value_kind:     by_value
    .group_segment_fixed_size: 1536
    .kernarg_segment_align: 8
    .kernarg_segment_size: 12
    .language:       OpenCL C
    .language_version:
      - 2
      - 0
    .max_flat_workgroup_size: 377
    .name:           _Z21exclusive_scan_kernelILj377ELN6hipcub18BlockScanAlgorithmE1EiEvPT1_S2_
    .private_segment_fixed_size: 0
    .sgpr_count:     11
    .sgpr_spill_count: 0
    .symbol:         _Z21exclusive_scan_kernelILj377ELN6hipcub18BlockScanAlgorithmE1EiEvPT1_S2_.kd
    .uniform_work_group_size: 1
    .uses_dynamic_stack: false
    .vgpr_count:     16
    .vgpr_spill_count: 0
    .wavefront_size: 64
  - .agpr_count:     0
    .args:
      - .address_space:  global
        .offset:         0
        .size:           8
        .value_kind:     global_buffer
      - .offset:         8
        .size:           4
        .value_kind:     by_value
    .group_segment_fixed_size: 1056
    .kernarg_segment_align: 8
    .kernarg_segment_size: 12
    .language:       OpenCL C
    .language_version:
      - 2
      - 0
    .max_flat_workgroup_size: 255
    .name:           _Z21exclusive_scan_kernelILj255ELN6hipcub18BlockScanAlgorithmE1EjEvPT1_S2_
    .private_segment_fixed_size: 0
    .sgpr_count:     11
    .sgpr_spill_count: 0
    .symbol:         _Z21exclusive_scan_kernelILj255ELN6hipcub18BlockScanAlgorithmE1EjEvPT1_S2_.kd
    .uniform_work_group_size: 1
    .uses_dynamic_stack: false
    .vgpr_count:     13
    .vgpr_spill_count: 0
    .wavefront_size: 64
  - .agpr_count:     0
    .args:
      - .address_space:  global
        .offset:         0
        .size:           8
        .value_kind:     global_buffer
      - .offset:         8
        .size:           2
        .value_kind:     by_value
    .group_segment_fixed_size: 384
    .kernarg_segment_align: 8
    .kernarg_segment_size: 12
    .language:       OpenCL C
    .language_version:
      - 2
      - 0
    .max_flat_workgroup_size: 162
    .name:           _Z21exclusive_scan_kernelILj162ELN6hipcub18BlockScanAlgorithmE1EsEvPT1_S2_
    .private_segment_fixed_size: 0
    .sgpr_count:     11
    .sgpr_spill_count: 0
    .symbol:         _Z21exclusive_scan_kernelILj162ELN6hipcub18BlockScanAlgorithmE1EsEvPT1_S2_.kd
    .uniform_work_group_size: 1
    .uses_dynamic_stack: false
    .vgpr_count:     13
    .vgpr_spill_count: 0
    .wavefront_size: 64
  - .agpr_count:     0
    .args:
      - .address_space:  global
        .offset:         0
        .size:           8
        .value_kind:     global_buffer
      - .offset:         8
        .size:           8
        .value_kind:     by_value
    .group_segment_fixed_size: 8
    .kernarg_segment_align: 8
    .kernarg_segment_size: 16
    .language:       OpenCL C
    .language_version:
      - 2
      - 0
    .max_flat_workgroup_size: 37
    .name:           _Z21exclusive_scan_kernelILj37ELN6hipcub18BlockScanAlgorithmE1ElEvPT1_S2_
    .private_segment_fixed_size: 0
    .sgpr_count:     16
    .sgpr_spill_count: 0
    .symbol:         _Z21exclusive_scan_kernelILj37ELN6hipcub18BlockScanAlgorithmE1ElEvPT1_S2_.kd
    .uniform_work_group_size: 1
    .uses_dynamic_stack: false
    .vgpr_count:     14
    .vgpr_spill_count: 0
    .wavefront_size: 64
  - .agpr_count:     0
    .args:
      - .address_space:  global
        .offset:         0
        .size:           8
        .value_kind:     global_buffer
      - .offset:         8
        .size:           8
        .value_kind:     by_value
    .group_segment_fixed_size: 1056
    .kernarg_segment_align: 8
    .kernarg_segment_size: 16
    .language:       OpenCL C
    .language_version:
      - 2
      - 0
    .max_flat_workgroup_size: 65
    .name:           _Z21exclusive_scan_kernelILj65ELN6hipcub18BlockScanAlgorithmE1EmEvPT1_S2_
    .private_segment_fixed_size: 0
    .sgpr_count:     11
    .sgpr_spill_count: 0
    .symbol:         _Z21exclusive_scan_kernelILj65ELN6hipcub18BlockScanAlgorithmE1EmEvPT1_S2_.kd
    .uniform_work_group_size: 1
    .uses_dynamic_stack: false
    .vgpr_count:     19
    .vgpr_spill_count: 0
    .wavefront_size: 64
  - .agpr_count:     0
    .args:
      - .address_space:  global
        .offset:         0
        .size:           8
        .value_kind:     global_buffer
      - .offset:         8
        .size:           4
        .value_kind:     by_value
    .group_segment_fixed_size: 2112
    .kernarg_segment_align: 8
    .kernarg_segment_size: 12
    .language:       OpenCL C
    .language_version:
      - 2
      - 0
    .max_flat_workgroup_size: 512
    .name:           _Z21exclusive_scan_kernelILj512ELN6hipcub18BlockScanAlgorithmE1EiEvPT1_S2_
    .private_segment_fixed_size: 0
    .sgpr_count:     11
    .sgpr_spill_count: 0
    .symbol:         _Z21exclusive_scan_kernelILj512ELN6hipcub18BlockScanAlgorithmE1EiEvPT1_S2_.kd
    .uniform_work_group_size: 1
    .uses_dynamic_stack: false
    .vgpr_count:     17
    .vgpr_spill_count: 0
    .wavefront_size: 64
  - .agpr_count:     0
    .args:
      - .address_space:  global
        .offset:         0
        .size:           8
        .value_kind:     global_buffer
      - .offset:         8
        .size:           4
        .value_kind:     by_value
    .group_segment_fixed_size: 1056
    .kernarg_segment_align: 8
    .kernarg_segment_size: 12
    .language:       OpenCL C
    .language_version:
      - 2
      - 0
    .max_flat_workgroup_size: 256
    .name:           _Z21exclusive_scan_kernelILj256ELN6hipcub18BlockScanAlgorithmE1EiEvPT1_S2_
    .private_segment_fixed_size: 0
    .sgpr_count:     11
    .sgpr_spill_count: 0
    .symbol:         _Z21exclusive_scan_kernelILj256ELN6hipcub18BlockScanAlgorithmE1EiEvPT1_S2_.kd
    .uniform_work_group_size: 1
    .uses_dynamic_stack: false
    .vgpr_count:     13
    .vgpr_spill_count: 0
    .wavefront_size: 64
  - .agpr_count:     0
    .args:
      - .address_space:  global
        .offset:         0
        .size:           8
        .value_kind:     global_buffer
      - .offset:         8
        .size:           4
        .value_kind:     by_value
    .group_segment_fixed_size: 528
    .kernarg_segment_align: 8
    .kernarg_segment_size: 12
    .language:       OpenCL C
    .language_version:
      - 2
      - 0
    .max_flat_workgroup_size: 128
    .name:           _Z21exclusive_scan_kernelILj128ELN6hipcub18BlockScanAlgorithmE1EiEvPT1_S2_
    .private_segment_fixed_size: 0
    .sgpr_count:     11
    .sgpr_spill_count: 0
    .symbol:         _Z21exclusive_scan_kernelILj128ELN6hipcub18BlockScanAlgorithmE1EiEvPT1_S2_.kd
    .uniform_work_group_size: 1
    .uses_dynamic_stack: false
    .vgpr_count:     11
    .vgpr_spill_count: 0
    .wavefront_size: 64
  - .agpr_count:     0
    .args:
      - .address_space:  global
        .offset:         0
        .size:           8
        .value_kind:     global_buffer
      - .offset:         8
        .size:           4
        .value_kind:     by_value
    .group_segment_fixed_size: 4
    .kernarg_segment_align: 8
    .kernarg_segment_size: 12
    .language:       OpenCL C
    .language_version:
      - 2
      - 0
    .max_flat_workgroup_size: 64
    .name:           _Z21exclusive_scan_kernelILj64ELN6hipcub18BlockScanAlgorithmE1EiEvPT1_S2_
    .private_segment_fixed_size: 0
    .sgpr_count:     11
    .sgpr_spill_count: 0
    .symbol:         _Z21exclusive_scan_kernelILj64ELN6hipcub18BlockScanAlgorithmE1EiEvPT1_S2_.kd
    .uniform_work_group_size: 1
    .uses_dynamic_stack: false
    .vgpr_count:     9
    .vgpr_spill_count: 0
    .wavefront_size: 64
  - .agpr_count:     0
    .args:
      - .address_space:  global
        .offset:         0
        .size:           8
        .value_kind:     global_buffer
      - .offset:         8
        .size:           8
        .value_kind:     by_value
    .group_segment_fixed_size: 48
    .kernarg_segment_align: 8
    .kernarg_segment_size: 16
    .language:       OpenCL C
    .language_version:
      - 2
      - 0
    .max_flat_workgroup_size: 377
    .name:           _Z21exclusive_scan_kernelILj377ELN6hipcub18BlockScanAlgorithmE0ElEvPT1_S2_
    .private_segment_fixed_size: 0
    .sgpr_count:     16
    .sgpr_spill_count: 0
    .symbol:         _Z21exclusive_scan_kernelILj377ELN6hipcub18BlockScanAlgorithmE0ElEvPT1_S2_.kd
    .uniform_work_group_size: 1
    .uses_dynamic_stack: false
    .vgpr_count:     16
    .vgpr_spill_count: 0
    .wavefront_size: 64
  - .agpr_count:     0
    .args:
      - .address_space:  global
        .offset:         0
        .size:           8
        .value_kind:     global_buffer
      - .offset:         8
        .size:           8
        .value_kind:     by_value
    .group_segment_fixed_size: 32
    .kernarg_segment_align: 8
    .kernarg_segment_size: 16
    .language:       OpenCL C
    .language_version:
      - 2
      - 0
    .max_flat_workgroup_size: 256
    .name:           _Z21exclusive_scan_kernelILj256ELN6hipcub18BlockScanAlgorithmE0ElEvPT1_S2_
    .private_segment_fixed_size: 0
    .sgpr_count:     16
    .sgpr_spill_count: 0
    .symbol:         _Z21exclusive_scan_kernelILj256ELN6hipcub18BlockScanAlgorithmE0ElEvPT1_S2_.kd
    .uniform_work_group_size: 1
    .uses_dynamic_stack: false
    .vgpr_count:     15
    .vgpr_spill_count: 0
    .wavefront_size: 64
  - .agpr_count:     0
    .args:
      - .address_space:  global
        .offset:         0
        .size:           8
        .value_kind:     global_buffer
      - .offset:         8
        .size:           8
        .value_kind:     by_value
    .group_segment_fixed_size: 8
    .kernarg_segment_align: 8
    .kernarg_segment_size: 16
    .language:       OpenCL C
    .language_version:
      - 2
      - 0
    .max_flat_workgroup_size: 64
    .name:           _Z21exclusive_scan_kernelILj64ELN6hipcub18BlockScanAlgorithmE0ElEvPT1_S2_
    .private_segment_fixed_size: 0
    .sgpr_count:     16
    .sgpr_spill_count: 0
    .symbol:         _Z21exclusive_scan_kernelILj64ELN6hipcub18BlockScanAlgorithmE0ElEvPT1_S2_.kd
    .uniform_work_group_size: 1
    .uses_dynamic_stack: false
    .vgpr_count:     14
    .vgpr_spill_count: 0
    .wavefront_size: 64
  - .agpr_count:     0
    .args:
      - .address_space:  global
        .offset:         0
        .size:           8
        .value_kind:     global_buffer
      - .offset:         8
        .size:           4
        .value_kind:     by_value
    .group_segment_fixed_size: 24
    .kernarg_segment_align: 8
    .kernarg_segment_size: 12
    .language:       OpenCL C
    .language_version:
      - 2
      - 0
    .max_flat_workgroup_size: 377
    .name:           _Z21exclusive_scan_kernelILj377ELN6hipcub18BlockScanAlgorithmE0EjEvPT1_S2_
    .private_segment_fixed_size: 0
    .sgpr_count:     11
    .sgpr_spill_count: 0
    .symbol:         _Z21exclusive_scan_kernelILj377ELN6hipcub18BlockScanAlgorithmE0EjEvPT1_S2_.kd
    .uniform_work_group_size: 1
    .uses_dynamic_stack: false
    .vgpr_count:     10
    .vgpr_spill_count: 0
    .wavefront_size: 64
  - .agpr_count:     0
    .args:
      - .address_space:  global
        .offset:         0
        .size:           8
        .value_kind:     global_buffer
      - .offset:         8
        .size:           4
        .value_kind:     by_value
    .group_segment_fixed_size: 16
    .kernarg_segment_align: 8
    .kernarg_segment_size: 12
    .language:       OpenCL C
    .language_version:
      - 2
      - 0
    .max_flat_workgroup_size: 256
    .name:           _Z21exclusive_scan_kernelILj256ELN6hipcub18BlockScanAlgorithmE0EjEvPT1_S2_
    .private_segment_fixed_size: 0
    .sgpr_count:     11
    .sgpr_spill_count: 0
    .symbol:         _Z21exclusive_scan_kernelILj256ELN6hipcub18BlockScanAlgorithmE0EjEvPT1_S2_.kd
    .uniform_work_group_size: 1
    .uses_dynamic_stack: false
    .vgpr_count:     10
    .vgpr_spill_count: 0
    .wavefront_size: 64
  - .agpr_count:     0
    .args:
      - .address_space:  global
        .offset:         0
        .size:           8
        .value_kind:     global_buffer
      - .offset:         8
        .size:           4
        .value_kind:     by_value
    .group_segment_fixed_size: 4
    .kernarg_segment_align: 8
    .kernarg_segment_size: 12
    .language:       OpenCL C
    .language_version:
      - 2
      - 0
    .max_flat_workgroup_size: 64
    .name:           _Z21exclusive_scan_kernelILj64ELN6hipcub18BlockScanAlgorithmE0EjEvPT1_S2_
    .private_segment_fixed_size: 0
    .sgpr_count:     11
    .sgpr_spill_count: 0
    .symbol:         _Z21exclusive_scan_kernelILj64ELN6hipcub18BlockScanAlgorithmE0EjEvPT1_S2_.kd
    .uniform_work_group_size: 1
    .uses_dynamic_stack: false
    .vgpr_count:     9
    .vgpr_spill_count: 0
    .wavefront_size: 64
  - .agpr_count:     0
    .args:
      - .address_space:  global
        .offset:         0
        .size:           8
        .value_kind:     global_buffer
      - .offset:         8
        .size:           4
        .value_kind:     by_value
    .group_segment_fixed_size: 16
    .kernarg_segment_align: 8
    .kernarg_segment_size: 12
    .language:       OpenCL C
    .language_version:
      - 2
      - 0
    .max_flat_workgroup_size: 255
    .name:           _Z21exclusive_scan_kernelILj255ELN6hipcub18BlockScanAlgorithmE0EiEvPT1_S2_
    .private_segment_fixed_size: 0
    .sgpr_count:     11
    .sgpr_spill_count: 0
    .symbol:         _Z21exclusive_scan_kernelILj255ELN6hipcub18BlockScanAlgorithmE0EiEvPT1_S2_.kd
    .uniform_work_group_size: 1
    .uses_dynamic_stack: false
    .vgpr_count:     10
    .vgpr_spill_count: 0
    .wavefront_size: 64
  - .agpr_count:     0
    .args:
      - .address_space:  global
        .offset:         0
        .size:           8
        .value_kind:     global_buffer
      - .offset:         8
        .size:           4
        .value_kind:     by_value
    .group_segment_fixed_size: 12
    .kernarg_segment_align: 8
    .kernarg_segment_size: 12
    .language:       OpenCL C
    .language_version:
      - 2
      - 0
    .max_flat_workgroup_size: 162
    .name:           _Z21exclusive_scan_kernelILj162ELN6hipcub18BlockScanAlgorithmE0EiEvPT1_S2_
    .private_segment_fixed_size: 0
    .sgpr_count:     11
    .sgpr_spill_count: 0
    .symbol:         _Z21exclusive_scan_kernelILj162ELN6hipcub18BlockScanAlgorithmE0EiEvPT1_S2_.kd
    .uniform_work_group_size: 1
    .uses_dynamic_stack: false
    .vgpr_count:     10
    .vgpr_spill_count: 0
    .wavefront_size: 64
  - .agpr_count:     0
    .args:
      - .address_space:  global
        .offset:         0
        .size:           8
        .value_kind:     global_buffer
      - .offset:         8
        .size:           4
        .value_kind:     by_value
    .group_segment_fixed_size: 4
    .kernarg_segment_align: 8
    .kernarg_segment_size: 12
    .language:       OpenCL C
    .language_version:
      - 2
      - 0
    .max_flat_workgroup_size: 37
    .name:           _Z21exclusive_scan_kernelILj37ELN6hipcub18BlockScanAlgorithmE0EiEvPT1_S2_
    .private_segment_fixed_size: 0
    .sgpr_count:     11
    .sgpr_spill_count: 0
    .symbol:         _Z21exclusive_scan_kernelILj37ELN6hipcub18BlockScanAlgorithmE0EiEvPT1_S2_.kd
    .uniform_work_group_size: 1
    .uses_dynamic_stack: false
    .vgpr_count:     9
    .vgpr_spill_count: 0
    .wavefront_size: 64
  - .agpr_count:     0
    .args:
      - .address_space:  global
        .offset:         0
        .size:           8
        .value_kind:     global_buffer
      - .offset:         8
        .size:           4
        .value_kind:     by_value
    .group_segment_fixed_size: 8
    .kernarg_segment_align: 8
    .kernarg_segment_size: 12
    .language:       OpenCL C
    .language_version:
      - 2
      - 0
    .max_flat_workgroup_size: 65
    .name:           _Z21exclusive_scan_kernelILj65ELN6hipcub18BlockScanAlgorithmE0EiEvPT1_S2_
    .private_segment_fixed_size: 0
    .sgpr_count:     11
    .sgpr_spill_count: 0
    .symbol:         _Z21exclusive_scan_kernelILj65ELN6hipcub18BlockScanAlgorithmE0EiEvPT1_S2_.kd
    .uniform_work_group_size: 1
    .uses_dynamic_stack: false
    .vgpr_count:     10
    .vgpr_spill_count: 0
    .wavefront_size: 64
  - .agpr_count:     0
    .args:
      - .address_space:  global
        .offset:         0
        .size:           8
        .value_kind:     global_buffer
      - .offset:         8
        .size:           4
        .value_kind:     by_value
    .group_segment_fixed_size: 32
    .kernarg_segment_align: 8
    .kernarg_segment_size: 12
    .language:       OpenCL C
    .language_version:
      - 2
      - 0
    .max_flat_workgroup_size: 512
    .name:           _Z21exclusive_scan_kernelILj512ELN6hipcub18BlockScanAlgorithmE0EiEvPT1_S2_
    .private_segment_fixed_size: 0
    .sgpr_count:     11
    .sgpr_spill_count: 0
    .symbol:         _Z21exclusive_scan_kernelILj512ELN6hipcub18BlockScanAlgorithmE0EiEvPT1_S2_.kd
    .uniform_work_group_size: 1
    .uses_dynamic_stack: false
    .vgpr_count:     10
    .vgpr_spill_count: 0
    .wavefront_size: 64
  - .agpr_count:     0
    .args:
      - .address_space:  global
        .offset:         0
        .size:           8
        .value_kind:     global_buffer
      - .offset:         8
        .size:           4
        .value_kind:     by_value
    .group_segment_fixed_size: 16
    .kernarg_segment_align: 8
    .kernarg_segment_size: 12
    .language:       OpenCL C
    .language_version:
      - 2
      - 0
    .max_flat_workgroup_size: 256
    .name:           _Z21exclusive_scan_kernelILj256ELN6hipcub18BlockScanAlgorithmE0EiEvPT1_S2_
    .private_segment_fixed_size: 0
    .sgpr_count:     11
    .sgpr_spill_count: 0
    .symbol:         _Z21exclusive_scan_kernelILj256ELN6hipcub18BlockScanAlgorithmE0EiEvPT1_S2_.kd
    .uniform_work_group_size: 1
    .uses_dynamic_stack: false
    .vgpr_count:     10
    .vgpr_spill_count: 0
    .wavefront_size: 64
  - .agpr_count:     0
    .args:
      - .address_space:  global
        .offset:         0
        .size:           8
        .value_kind:     global_buffer
      - .offset:         8
        .size:           4
        .value_kind:     by_value
    .group_segment_fixed_size: 8
    .kernarg_segment_align: 8
    .kernarg_segment_size: 12
    .language:       OpenCL C
    .language_version:
      - 2
      - 0
    .max_flat_workgroup_size: 128
    .name:           _Z21exclusive_scan_kernelILj128ELN6hipcub18BlockScanAlgorithmE0EiEvPT1_S2_
    .private_segment_fixed_size: 0
    .sgpr_count:     11
    .sgpr_spill_count: 0
    .symbol:         _Z21exclusive_scan_kernelILj128ELN6hipcub18BlockScanAlgorithmE0EiEvPT1_S2_.kd
    .uniform_work_group_size: 1
    .uses_dynamic_stack: false
    .vgpr_count:     10
    .vgpr_spill_count: 0
    .wavefront_size: 64
  - .agpr_count:     0
    .args:
      - .address_space:  global
        .offset:         0
        .size:           8
        .value_kind:     global_buffer
      - .offset:         8
        .size:           4
        .value_kind:     by_value
    .group_segment_fixed_size: 4
    .kernarg_segment_align: 8
    .kernarg_segment_size: 12
    .language:       OpenCL C
    .language_version:
      - 2
      - 0
    .max_flat_workgroup_size: 64
    .name:           _Z21exclusive_scan_kernelILj64ELN6hipcub18BlockScanAlgorithmE0EiEvPT1_S2_
    .private_segment_fixed_size: 0
    .sgpr_count:     11
    .sgpr_spill_count: 0
    .symbol:         _Z21exclusive_scan_kernelILj64ELN6hipcub18BlockScanAlgorithmE0EiEvPT1_S2_.kd
    .uniform_work_group_size: 1
    .uses_dynamic_stack: false
    .vgpr_count:     9
    .vgpr_spill_count: 0
    .wavefront_size: 64
  - .agpr_count:     0
    .args:
      - .address_space:  global
        .offset:         0
        .size:           8
        .value_kind:     global_buffer
      - .address_space:  global
        .offset:         8
        .size:           8
        .value_kind:     global_buffer
      - .offset:         16
        .size:           1
        .value_kind:     by_value
    .group_segment_fixed_size: 384
    .kernarg_segment_align: 8
    .kernarg_segment_size: 20
    .language:       OpenCL C
    .language_version:
      - 2
      - 0
    .max_flat_workgroup_size: 377
    .name:           _Z28exclusive_scan_reduce_kernelILj377ELN6hipcub18BlockScanAlgorithmE1EhEvPT1_S3_S2_
    .private_segment_fixed_size: 0
    .sgpr_count:     12
    .sgpr_spill_count: 0
    .symbol:         _Z28exclusive_scan_reduce_kernelILj377ELN6hipcub18BlockScanAlgorithmE1EhEvPT1_S3_S2_.kd
    .uniform_work_group_size: 1
    .uses_dynamic_stack: false
    .vgpr_count:     15
    .vgpr_spill_count: 0
    .wavefront_size: 64
  - .agpr_count:     0
    .args:
      - .address_space:  global
        .offset:         0
        .size:           8
        .value_kind:     global_buffer
      - .address_space:  global
        .offset:         8
        .size:           8
        .value_kind:     global_buffer
      - .offset:         16
        .size:           4
        .value_kind:     by_value
    .group_segment_fixed_size: 1536
    .kernarg_segment_align: 8
    .kernarg_segment_size: 20
    .language:       OpenCL C
    .language_version:
      - 2
      - 0
    .max_flat_workgroup_size: 377
    .name:           _Z28exclusive_scan_reduce_kernelILj377ELN6hipcub18BlockScanAlgorithmE1EiEvPT1_S3_S2_
    .private_segment_fixed_size: 0
    .sgpr_count:     12
    .sgpr_spill_count: 0
    .symbol:         _Z28exclusive_scan_reduce_kernelILj377ELN6hipcub18BlockScanAlgorithmE1EiEvPT1_S3_S2_.kd
    .uniform_work_group_size: 1
    .uses_dynamic_stack: false
    .vgpr_count:     16
    .vgpr_spill_count: 0
    .wavefront_size: 64
  - .agpr_count:     0
    .args:
      - .address_space:  global
        .offset:         0
        .size:           8
        .value_kind:     global_buffer
      - .address_space:  global
        .offset:         8
        .size:           8
        .value_kind:     global_buffer
      - .offset:         16
        .size:           4
        .value_kind:     by_value
    .group_segment_fixed_size: 1056
    .kernarg_segment_align: 8
    .kernarg_segment_size: 20
    .language:       OpenCL C
    .language_version:
      - 2
      - 0
    .max_flat_workgroup_size: 255
    .name:           _Z28exclusive_scan_reduce_kernelILj255ELN6hipcub18BlockScanAlgorithmE1EjEvPT1_S3_S2_
    .private_segment_fixed_size: 0
    .sgpr_count:     12
    .sgpr_spill_count: 0
    .symbol:         _Z28exclusive_scan_reduce_kernelILj255ELN6hipcub18BlockScanAlgorithmE1EjEvPT1_S3_S2_.kd
    .uniform_work_group_size: 1
    .uses_dynamic_stack: false
    .vgpr_count:     13
    .vgpr_spill_count: 0
    .wavefront_size: 64
  - .agpr_count:     0
    .args:
      - .address_space:  global
        .offset:         0
        .size:           8
        .value_kind:     global_buffer
      - .address_space:  global
        .offset:         8
        .size:           8
        .value_kind:     global_buffer
      - .offset:         16
        .size:           2
        .value_kind:     by_value
    .group_segment_fixed_size: 384
    .kernarg_segment_align: 8
    .kernarg_segment_size: 20
    .language:       OpenCL C
    .language_version:
      - 2
      - 0
    .max_flat_workgroup_size: 162
    .name:           _Z28exclusive_scan_reduce_kernelILj162ELN6hipcub18BlockScanAlgorithmE1EsEvPT1_S3_S2_
    .private_segment_fixed_size: 0
    .sgpr_count:     12
    .sgpr_spill_count: 0
    .symbol:         _Z28exclusive_scan_reduce_kernelILj162ELN6hipcub18BlockScanAlgorithmE1EsEvPT1_S3_S2_.kd
    .uniform_work_group_size: 1
    .uses_dynamic_stack: false
    .vgpr_count:     13
    .vgpr_spill_count: 0
    .wavefront_size: 64
  - .agpr_count:     0
    .args:
      - .address_space:  global
        .offset:         0
        .size:           8
        .value_kind:     global_buffer
      - .address_space:  global
        .offset:         8
        .size:           8
        .value_kind:     global_buffer
      - .offset:         16
        .size:           8
        .value_kind:     by_value
    .group_segment_fixed_size: 8
    .kernarg_segment_align: 8
    .kernarg_segment_size: 24
    .language:       OpenCL C
    .language_version:
      - 2
      - 0
    .max_flat_workgroup_size: 37
    .name:           _Z28exclusive_scan_reduce_kernelILj37ELN6hipcub18BlockScanAlgorithmE1ElEvPT1_S3_S2_
    .private_segment_fixed_size: 0
    .sgpr_count:     18
    .sgpr_spill_count: 0
    .symbol:         _Z28exclusive_scan_reduce_kernelILj37ELN6hipcub18BlockScanAlgorithmE1ElEvPT1_S3_S2_.kd
    .uniform_work_group_size: 1
    .uses_dynamic_stack: false
    .vgpr_count:     14
    .vgpr_spill_count: 0
    .wavefront_size: 64
  - .agpr_count:     0
    .args:
      - .address_space:  global
        .offset:         0
        .size:           8
        .value_kind:     global_buffer
      - .address_space:  global
        .offset:         8
        .size:           8
        .value_kind:     global_buffer
      - .offset:         16
        .size:           8
        .value_kind:     by_value
    .group_segment_fixed_size: 1056
    .kernarg_segment_align: 8
    .kernarg_segment_size: 24
    .language:       OpenCL C
    .language_version:
      - 2
      - 0
    .max_flat_workgroup_size: 65
    .name:           _Z28exclusive_scan_reduce_kernelILj65ELN6hipcub18BlockScanAlgorithmE1EmEvPT1_S3_S2_
    .private_segment_fixed_size: 0
    .sgpr_count:     14
    .sgpr_spill_count: 0
    .symbol:         _Z28exclusive_scan_reduce_kernelILj65ELN6hipcub18BlockScanAlgorithmE1EmEvPT1_S3_S2_.kd
    .uniform_work_group_size: 1
    .uses_dynamic_stack: false
    .vgpr_count:     19
    .vgpr_spill_count: 0
    .wavefront_size: 64
  - .agpr_count:     0
    .args:
      - .address_space:  global
        .offset:         0
        .size:           8
        .value_kind:     global_buffer
      - .address_space:  global
        .offset:         8
        .size:           8
        .value_kind:     global_buffer
      - .offset:         16
        .size:           4
        .value_kind:     by_value
    .group_segment_fixed_size: 2112
    .kernarg_segment_align: 8
    .kernarg_segment_size: 20
    .language:       OpenCL C
    .language_version:
      - 2
      - 0
    .max_flat_workgroup_size: 512
    .name:           _Z28exclusive_scan_reduce_kernelILj512ELN6hipcub18BlockScanAlgorithmE1EiEvPT1_S3_S2_
    .private_segment_fixed_size: 0
    .sgpr_count:     12
    .sgpr_spill_count: 0
    .symbol:         _Z28exclusive_scan_reduce_kernelILj512ELN6hipcub18BlockScanAlgorithmE1EiEvPT1_S3_S2_.kd
    .uniform_work_group_size: 1
    .uses_dynamic_stack: false
    .vgpr_count:     17
    .vgpr_spill_count: 0
    .wavefront_size: 64
  - .agpr_count:     0
    .args:
      - .address_space:  global
        .offset:         0
        .size:           8
        .value_kind:     global_buffer
      - .address_space:  global
        .offset:         8
        .size:           8
        .value_kind:     global_buffer
      - .offset:         16
        .size:           4
        .value_kind:     by_value
    .group_segment_fixed_size: 1056
    .kernarg_segment_align: 8
    .kernarg_segment_size: 20
    .language:       OpenCL C
    .language_version:
      - 2
      - 0
    .max_flat_workgroup_size: 256
    .name:           _Z28exclusive_scan_reduce_kernelILj256ELN6hipcub18BlockScanAlgorithmE1EiEvPT1_S3_S2_
    .private_segment_fixed_size: 0
    .sgpr_count:     12
    .sgpr_spill_count: 0
    .symbol:         _Z28exclusive_scan_reduce_kernelILj256ELN6hipcub18BlockScanAlgorithmE1EiEvPT1_S3_S2_.kd
    .uniform_work_group_size: 1
    .uses_dynamic_stack: false
    .vgpr_count:     13
    .vgpr_spill_count: 0
    .wavefront_size: 64
  - .agpr_count:     0
    .args:
      - .address_space:  global
        .offset:         0
        .size:           8
        .value_kind:     global_buffer
      - .address_space:  global
        .offset:         8
        .size:           8
        .value_kind:     global_buffer
      - .offset:         16
        .size:           4
        .value_kind:     by_value
    .group_segment_fixed_size: 528
    .kernarg_segment_align: 8
    .kernarg_segment_size: 20
    .language:       OpenCL C
    .language_version:
      - 2
      - 0
    .max_flat_workgroup_size: 128
    .name:           _Z28exclusive_scan_reduce_kernelILj128ELN6hipcub18BlockScanAlgorithmE1EiEvPT1_S3_S2_
    .private_segment_fixed_size: 0
    .sgpr_count:     12
    .sgpr_spill_count: 0
    .symbol:         _Z28exclusive_scan_reduce_kernelILj128ELN6hipcub18BlockScanAlgorithmE1EiEvPT1_S3_S2_.kd
    .uniform_work_group_size: 1
    .uses_dynamic_stack: false
    .vgpr_count:     11
    .vgpr_spill_count: 0
    .wavefront_size: 64
  - .agpr_count:     0
    .args:
      - .address_space:  global
        .offset:         0
        .size:           8
        .value_kind:     global_buffer
      - .address_space:  global
        .offset:         8
        .size:           8
        .value_kind:     global_buffer
      - .offset:         16
        .size:           4
        .value_kind:     by_value
    .group_segment_fixed_size: 4
    .kernarg_segment_align: 8
    .kernarg_segment_size: 20
    .language:       OpenCL C
    .language_version:
      - 2
      - 0
    .max_flat_workgroup_size: 64
    .name:           _Z28exclusive_scan_reduce_kernelILj64ELN6hipcub18BlockScanAlgorithmE1EiEvPT1_S3_S2_
    .private_segment_fixed_size: 0
    .sgpr_count:     12
    .sgpr_spill_count: 0
    .symbol:         _Z28exclusive_scan_reduce_kernelILj64ELN6hipcub18BlockScanAlgorithmE1EiEvPT1_S3_S2_.kd
    .uniform_work_group_size: 1
    .uses_dynamic_stack: false
    .vgpr_count:     9
    .vgpr_spill_count: 0
    .wavefront_size: 64
  - .agpr_count:     0
    .args:
      - .address_space:  global
        .offset:         0
        .size:           8
        .value_kind:     global_buffer
      - .address_space:  global
        .offset:         8
        .size:           8
        .value_kind:     global_buffer
      - .offset:         16
        .size:           8
        .value_kind:     by_value
    .group_segment_fixed_size: 48
    .kernarg_segment_align: 8
    .kernarg_segment_size: 24
    .language:       OpenCL C
    .language_version:
      - 2
      - 0
    .max_flat_workgroup_size: 377
    .name:           _Z28exclusive_scan_reduce_kernelILj377ELN6hipcub18BlockScanAlgorithmE0ElEvPT1_S3_S2_
    .private_segment_fixed_size: 0
    .sgpr_count:     18
    .sgpr_spill_count: 0
    .symbol:         _Z28exclusive_scan_reduce_kernelILj377ELN6hipcub18BlockScanAlgorithmE0ElEvPT1_S3_S2_.kd
    .uniform_work_group_size: 1
    .uses_dynamic_stack: false
    .vgpr_count:     16
    .vgpr_spill_count: 0
    .wavefront_size: 64
  - .agpr_count:     0
    .args:
      - .address_space:  global
        .offset:         0
        .size:           8
        .value_kind:     global_buffer
      - .address_space:  global
        .offset:         8
        .size:           8
        .value_kind:     global_buffer
      - .offset:         16
        .size:           8
        .value_kind:     by_value
    .group_segment_fixed_size: 32
    .kernarg_segment_align: 8
    .kernarg_segment_size: 24
    .language:       OpenCL C
    .language_version:
      - 2
      - 0
    .max_flat_workgroup_size: 256
    .name:           _Z28exclusive_scan_reduce_kernelILj256ELN6hipcub18BlockScanAlgorithmE0ElEvPT1_S3_S2_
    .private_segment_fixed_size: 0
    .sgpr_count:     18
    .sgpr_spill_count: 0
    .symbol:         _Z28exclusive_scan_reduce_kernelILj256ELN6hipcub18BlockScanAlgorithmE0ElEvPT1_S3_S2_.kd
    .uniform_work_group_size: 1
    .uses_dynamic_stack: false
    .vgpr_count:     15
    .vgpr_spill_count: 0
    .wavefront_size: 64
  - .agpr_count:     0
    .args:
      - .address_space:  global
        .offset:         0
        .size:           8
        .value_kind:     global_buffer
      - .address_space:  global
        .offset:         8
        .size:           8
        .value_kind:     global_buffer
      - .offset:         16
        .size:           8
        .value_kind:     by_value
    .group_segment_fixed_size: 8
    .kernarg_segment_align: 8
    .kernarg_segment_size: 24
    .language:       OpenCL C
    .language_version:
      - 2
      - 0
    .max_flat_workgroup_size: 64
    .name:           _Z28exclusive_scan_reduce_kernelILj64ELN6hipcub18BlockScanAlgorithmE0ElEvPT1_S3_S2_
    .private_segment_fixed_size: 0
    .sgpr_count:     18
    .sgpr_spill_count: 0
    .symbol:         _Z28exclusive_scan_reduce_kernelILj64ELN6hipcub18BlockScanAlgorithmE0ElEvPT1_S3_S2_.kd
    .uniform_work_group_size: 1
    .uses_dynamic_stack: false
    .vgpr_count:     14
    .vgpr_spill_count: 0
    .wavefront_size: 64
  - .agpr_count:     0
    .args:
      - .address_space:  global
        .offset:         0
        .size:           8
        .value_kind:     global_buffer
      - .address_space:  global
        .offset:         8
        .size:           8
        .value_kind:     global_buffer
      - .offset:         16
        .size:           4
        .value_kind:     by_value
    .group_segment_fixed_size: 24
    .kernarg_segment_align: 8
    .kernarg_segment_size: 20
    .language:       OpenCL C
    .language_version:
      - 2
      - 0
    .max_flat_workgroup_size: 377
    .name:           _Z28exclusive_scan_reduce_kernelILj377ELN6hipcub18BlockScanAlgorithmE0EjEvPT1_S3_S2_
    .private_segment_fixed_size: 0
    .sgpr_count:     12
    .sgpr_spill_count: 0
    .symbol:         _Z28exclusive_scan_reduce_kernelILj377ELN6hipcub18BlockScanAlgorithmE0EjEvPT1_S3_S2_.kd
    .uniform_work_group_size: 1
    .uses_dynamic_stack: false
    .vgpr_count:     10
    .vgpr_spill_count: 0
    .wavefront_size: 64
  - .agpr_count:     0
    .args:
      - .address_space:  global
        .offset:         0
        .size:           8
        .value_kind:     global_buffer
      - .address_space:  global
        .offset:         8
        .size:           8
        .value_kind:     global_buffer
      - .offset:         16
        .size:           4
        .value_kind:     by_value
    .group_segment_fixed_size: 16
    .kernarg_segment_align: 8
    .kernarg_segment_size: 20
    .language:       OpenCL C
    .language_version:
      - 2
      - 0
    .max_flat_workgroup_size: 256
    .name:           _Z28exclusive_scan_reduce_kernelILj256ELN6hipcub18BlockScanAlgorithmE0EjEvPT1_S3_S2_
    .private_segment_fixed_size: 0
    .sgpr_count:     12
    .sgpr_spill_count: 0
    .symbol:         _Z28exclusive_scan_reduce_kernelILj256ELN6hipcub18BlockScanAlgorithmE0EjEvPT1_S3_S2_.kd
    .uniform_work_group_size: 1
    .uses_dynamic_stack: false
    .vgpr_count:     10
    .vgpr_spill_count: 0
    .wavefront_size: 64
  - .agpr_count:     0
    .args:
      - .address_space:  global
        .offset:         0
        .size:           8
        .value_kind:     global_buffer
      - .address_space:  global
        .offset:         8
        .size:           8
        .value_kind:     global_buffer
      - .offset:         16
        .size:           4
        .value_kind:     by_value
    .group_segment_fixed_size: 4
    .kernarg_segment_align: 8
    .kernarg_segment_size: 20
    .language:       OpenCL C
    .language_version:
      - 2
      - 0
    .max_flat_workgroup_size: 64
    .name:           _Z28exclusive_scan_reduce_kernelILj64ELN6hipcub18BlockScanAlgorithmE0EjEvPT1_S3_S2_
    .private_segment_fixed_size: 0
    .sgpr_count:     12
    .sgpr_spill_count: 0
    .symbol:         _Z28exclusive_scan_reduce_kernelILj64ELN6hipcub18BlockScanAlgorithmE0EjEvPT1_S3_S2_.kd
    .uniform_work_group_size: 1
    .uses_dynamic_stack: false
    .vgpr_count:     9
    .vgpr_spill_count: 0
    .wavefront_size: 64
  - .agpr_count:     0
    .args:
      - .address_space:  global
        .offset:         0
        .size:           8
        .value_kind:     global_buffer
      - .address_space:  global
        .offset:         8
        .size:           8
        .value_kind:     global_buffer
      - .offset:         16
        .size:           4
        .value_kind:     by_value
    .group_segment_fixed_size: 16
    .kernarg_segment_align: 8
    .kernarg_segment_size: 20
    .language:       OpenCL C
    .language_version:
      - 2
      - 0
    .max_flat_workgroup_size: 255
    .name:           _Z28exclusive_scan_reduce_kernelILj255ELN6hipcub18BlockScanAlgorithmE0EiEvPT1_S3_S2_
    .private_segment_fixed_size: 0
    .sgpr_count:     12
    .sgpr_spill_count: 0
    .symbol:         _Z28exclusive_scan_reduce_kernelILj255ELN6hipcub18BlockScanAlgorithmE0EiEvPT1_S3_S2_.kd
    .uniform_work_group_size: 1
    .uses_dynamic_stack: false
    .vgpr_count:     10
    .vgpr_spill_count: 0
    .wavefront_size: 64
  - .agpr_count:     0
    .args:
      - .address_space:  global
        .offset:         0
        .size:           8
        .value_kind:     global_buffer
      - .address_space:  global
        .offset:         8
        .size:           8
        .value_kind:     global_buffer
      - .offset:         16
        .size:           4
        .value_kind:     by_value
    .group_segment_fixed_size: 12
    .kernarg_segment_align: 8
    .kernarg_segment_size: 20
    .language:       OpenCL C
    .language_version:
      - 2
      - 0
    .max_flat_workgroup_size: 162
    .name:           _Z28exclusive_scan_reduce_kernelILj162ELN6hipcub18BlockScanAlgorithmE0EiEvPT1_S3_S2_
    .private_segment_fixed_size: 0
    .sgpr_count:     12
    .sgpr_spill_count: 0
    .symbol:         _Z28exclusive_scan_reduce_kernelILj162ELN6hipcub18BlockScanAlgorithmE0EiEvPT1_S3_S2_.kd
    .uniform_work_group_size: 1
    .uses_dynamic_stack: false
    .vgpr_count:     10
    .vgpr_spill_count: 0
    .wavefront_size: 64
  - .agpr_count:     0
    .args:
      - .address_space:  global
        .offset:         0
        .size:           8
        .value_kind:     global_buffer
      - .address_space:  global
        .offset:         8
        .size:           8
        .value_kind:     global_buffer
      - .offset:         16
        .size:           4
        .value_kind:     by_value
    .group_segment_fixed_size: 4
    .kernarg_segment_align: 8
    .kernarg_segment_size: 20
    .language:       OpenCL C
    .language_version:
      - 2
      - 0
    .max_flat_workgroup_size: 37
    .name:           _Z28exclusive_scan_reduce_kernelILj37ELN6hipcub18BlockScanAlgorithmE0EiEvPT1_S3_S2_
    .private_segment_fixed_size: 0
    .sgpr_count:     14
    .sgpr_spill_count: 0
    .symbol:         _Z28exclusive_scan_reduce_kernelILj37ELN6hipcub18BlockScanAlgorithmE0EiEvPT1_S3_S2_.kd
    .uniform_work_group_size: 1
    .uses_dynamic_stack: false
    .vgpr_count:     9
    .vgpr_spill_count: 0
    .wavefront_size: 64
  - .agpr_count:     0
    .args:
      - .address_space:  global
        .offset:         0
        .size:           8
        .value_kind:     global_buffer
      - .address_space:  global
        .offset:         8
        .size:           8
        .value_kind:     global_buffer
      - .offset:         16
        .size:           4
        .value_kind:     by_value
    .group_segment_fixed_size: 8
    .kernarg_segment_align: 8
    .kernarg_segment_size: 20
    .language:       OpenCL C
    .language_version:
      - 2
      - 0
    .max_flat_workgroup_size: 65
    .name:           _Z28exclusive_scan_reduce_kernelILj65ELN6hipcub18BlockScanAlgorithmE0EiEvPT1_S3_S2_
    .private_segment_fixed_size: 0
    .sgpr_count:     14
    .sgpr_spill_count: 0
    .symbol:         _Z28exclusive_scan_reduce_kernelILj65ELN6hipcub18BlockScanAlgorithmE0EiEvPT1_S3_S2_.kd
    .uniform_work_group_size: 1
    .uses_dynamic_stack: false
    .vgpr_count:     10
    .vgpr_spill_count: 0
    .wavefront_size: 64
  - .agpr_count:     0
    .args:
      - .address_space:  global
        .offset:         0
        .size:           8
        .value_kind:     global_buffer
      - .address_space:  global
        .offset:         8
        .size:           8
        .value_kind:     global_buffer
      - .offset:         16
        .size:           4
        .value_kind:     by_value
    .group_segment_fixed_size: 32
    .kernarg_segment_align: 8
    .kernarg_segment_size: 20
    .language:       OpenCL C
    .language_version:
      - 2
      - 0
    .max_flat_workgroup_size: 512
    .name:           _Z28exclusive_scan_reduce_kernelILj512ELN6hipcub18BlockScanAlgorithmE0EiEvPT1_S3_S2_
    .private_segment_fixed_size: 0
    .sgpr_count:     12
    .sgpr_spill_count: 0
    .symbol:         _Z28exclusive_scan_reduce_kernelILj512ELN6hipcub18BlockScanAlgorithmE0EiEvPT1_S3_S2_.kd
    .uniform_work_group_size: 1
    .uses_dynamic_stack: false
    .vgpr_count:     10
    .vgpr_spill_count: 0
    .wavefront_size: 64
  - .agpr_count:     0
    .args:
      - .address_space:  global
        .offset:         0
        .size:           8
        .value_kind:     global_buffer
      - .address_space:  global
        .offset:         8
        .size:           8
        .value_kind:     global_buffer
      - .offset:         16
        .size:           4
        .value_kind:     by_value
    .group_segment_fixed_size: 16
    .kernarg_segment_align: 8
    .kernarg_segment_size: 20
    .language:       OpenCL C
    .language_version:
      - 2
      - 0
    .max_flat_workgroup_size: 256
    .name:           _Z28exclusive_scan_reduce_kernelILj256ELN6hipcub18BlockScanAlgorithmE0EiEvPT1_S3_S2_
    .private_segment_fixed_size: 0
    .sgpr_count:     12
    .sgpr_spill_count: 0
    .symbol:         _Z28exclusive_scan_reduce_kernelILj256ELN6hipcub18BlockScanAlgorithmE0EiEvPT1_S3_S2_.kd
    .uniform_work_group_size: 1
    .uses_dynamic_stack: false
    .vgpr_count:     10
    .vgpr_spill_count: 0
    .wavefront_size: 64
  - .agpr_count:     0
    .args:
      - .address_space:  global
        .offset:         0
        .size:           8
        .value_kind:     global_buffer
      - .address_space:  global
        .offset:         8
        .size:           8
        .value_kind:     global_buffer
      - .offset:         16
        .size:           4
        .value_kind:     by_value
    .group_segment_fixed_size: 8
    .kernarg_segment_align: 8
    .kernarg_segment_size: 20
    .language:       OpenCL C
    .language_version:
      - 2
      - 0
    .max_flat_workgroup_size: 128
    .name:           _Z28exclusive_scan_reduce_kernelILj128ELN6hipcub18BlockScanAlgorithmE0EiEvPT1_S3_S2_
    .private_segment_fixed_size: 0
    .sgpr_count:     12
    .sgpr_spill_count: 0
    .symbol:         _Z28exclusive_scan_reduce_kernelILj128ELN6hipcub18BlockScanAlgorithmE0EiEvPT1_S3_S2_.kd
    .uniform_work_group_size: 1
    .uses_dynamic_stack: false
    .vgpr_count:     10
    .vgpr_spill_count: 0
    .wavefront_size: 64
  - .agpr_count:     0
    .args:
      - .address_space:  global
        .offset:         0
        .size:           8
        .value_kind:     global_buffer
      - .address_space:  global
        .offset:         8
        .size:           8
        .value_kind:     global_buffer
      - .offset:         16
        .size:           4
        .value_kind:     by_value
    .group_segment_fixed_size: 4
    .kernarg_segment_align: 8
    .kernarg_segment_size: 20
    .language:       OpenCL C
    .language_version:
      - 2
      - 0
    .max_flat_workgroup_size: 64
    .name:           _Z28exclusive_scan_reduce_kernelILj64ELN6hipcub18BlockScanAlgorithmE0EiEvPT1_S3_S2_
    .private_segment_fixed_size: 0
    .sgpr_count:     12
    .sgpr_spill_count: 0
    .symbol:         _Z28exclusive_scan_reduce_kernelILj64ELN6hipcub18BlockScanAlgorithmE0EiEvPT1_S3_S2_.kd
    .uniform_work_group_size: 1
    .uses_dynamic_stack: false
    .vgpr_count:     9
    .vgpr_spill_count: 0
    .wavefront_size: 64
  - .agpr_count:     0
    .args:
      - .address_space:  global
        .offset:         0
        .size:           8
        .value_kind:     global_buffer
      - .address_space:  global
        .offset:         8
        .size:           8
        .value_kind:     global_buffer
      - .offset:         16
        .size:           1
        .value_kind:     by_value
    .group_segment_fixed_size: 384
    .kernarg_segment_align: 8
    .kernarg_segment_size: 20
    .language:       OpenCL C
    .language_version:
      - 2
      - 0
    .max_flat_workgroup_size: 377
    .name:           _Z37exclusive_scan_prefix_callback_kernelILj377ELN6hipcub18BlockScanAlgorithmE1EhEvPT1_S3_S2_
    .private_segment_fixed_size: 0
    .sgpr_count:     16
    .sgpr_spill_count: 0
    .symbol:         _Z37exclusive_scan_prefix_callback_kernelILj377ELN6hipcub18BlockScanAlgorithmE1EhEvPT1_S3_S2_.kd
    .uniform_work_group_size: 1
    .uses_dynamic_stack: false
    .vgpr_count:     16
    .vgpr_spill_count: 0
    .wavefront_size: 64
  - .agpr_count:     0
    .args:
      - .address_space:  global
        .offset:         0
        .size:           8
        .value_kind:     global_buffer
      - .address_space:  global
        .offset:         8
        .size:           8
        .value_kind:     global_buffer
      - .offset:         16
        .size:           4
        .value_kind:     by_value
    .group_segment_fixed_size: 1536
    .kernarg_segment_align: 8
    .kernarg_segment_size: 20
    .language:       OpenCL C
    .language_version:
      - 2
      - 0
    .max_flat_workgroup_size: 377
    .name:           _Z37exclusive_scan_prefix_callback_kernelILj377ELN6hipcub18BlockScanAlgorithmE1EiEvPT1_S3_S2_
    .private_segment_fixed_size: 0
    .sgpr_count:     16
    .sgpr_spill_count: 0
    .symbol:         _Z37exclusive_scan_prefix_callback_kernelILj377ELN6hipcub18BlockScanAlgorithmE1EiEvPT1_S3_S2_.kd
    .uniform_work_group_size: 1
    .uses_dynamic_stack: false
    .vgpr_count:     17
    .vgpr_spill_count: 0
    .wavefront_size: 64
  - .agpr_count:     0
    .args:
      - .address_space:  global
        .offset:         0
        .size:           8
        .value_kind:     global_buffer
      - .address_space:  global
        .offset:         8
        .size:           8
        .value_kind:     global_buffer
      - .offset:         16
        .size:           4
        .value_kind:     by_value
    .group_segment_fixed_size: 1056
    .kernarg_segment_align: 8
    .kernarg_segment_size: 20
    .language:       OpenCL C
    .language_version:
      - 2
      - 0
    .max_flat_workgroup_size: 255
    .name:           _Z37exclusive_scan_prefix_callback_kernelILj255ELN6hipcub18BlockScanAlgorithmE1EjEvPT1_S3_S2_
    .private_segment_fixed_size: 0
    .sgpr_count:     16
    .sgpr_spill_count: 0
    .symbol:         _Z37exclusive_scan_prefix_callback_kernelILj255ELN6hipcub18BlockScanAlgorithmE1EjEvPT1_S3_S2_.kd
    .uniform_work_group_size: 1
    .uses_dynamic_stack: false
    .vgpr_count:     14
    .vgpr_spill_count: 0
    .wavefront_size: 64
  - .agpr_count:     0
    .args:
      - .address_space:  global
        .offset:         0
        .size:           8
        .value_kind:     global_buffer
      - .address_space:  global
        .offset:         8
        .size:           8
        .value_kind:     global_buffer
      - .offset:         16
        .size:           2
        .value_kind:     by_value
    .group_segment_fixed_size: 384
    .kernarg_segment_align: 8
    .kernarg_segment_size: 20
    .language:       OpenCL C
    .language_version:
      - 2
      - 0
    .max_flat_workgroup_size: 162
    .name:           _Z37exclusive_scan_prefix_callback_kernelILj162ELN6hipcub18BlockScanAlgorithmE1EsEvPT1_S3_S2_
    .private_segment_fixed_size: 0
    .sgpr_count:     16
    .sgpr_spill_count: 0
    .symbol:         _Z37exclusive_scan_prefix_callback_kernelILj162ELN6hipcub18BlockScanAlgorithmE1EsEvPT1_S3_S2_.kd
    .uniform_work_group_size: 1
    .uses_dynamic_stack: false
    .vgpr_count:     14
    .vgpr_spill_count: 0
    .wavefront_size: 64
  - .agpr_count:     0
    .args:
      - .address_space:  global
        .offset:         0
        .size:           8
        .value_kind:     global_buffer
      - .address_space:  global
        .offset:         8
        .size:           8
        .value_kind:     global_buffer
      - .offset:         16
        .size:           8
        .value_kind:     by_value
    .group_segment_fixed_size: 8
    .kernarg_segment_align: 8
    .kernarg_segment_size: 24
    .language:       OpenCL C
    .language_version:
      - 2
      - 0
    .max_flat_workgroup_size: 37
    .name:           _Z37exclusive_scan_prefix_callback_kernelILj37ELN6hipcub18BlockScanAlgorithmE1ElEvPT1_S3_S2_
    .private_segment_fixed_size: 0
    .sgpr_count:     14
    .sgpr_spill_count: 0
    .symbol:         _Z37exclusive_scan_prefix_callback_kernelILj37ELN6hipcub18BlockScanAlgorithmE1ElEvPT1_S3_S2_.kd
    .uniform_work_group_size: 1
    .uses_dynamic_stack: false
    .vgpr_count:     14
    .vgpr_spill_count: 0
    .wavefront_size: 64
  - .agpr_count:     0
    .args:
      - .address_space:  global
        .offset:         0
        .size:           8
        .value_kind:     global_buffer
      - .address_space:  global
        .offset:         8
        .size:           8
        .value_kind:     global_buffer
      - .offset:         16
        .size:           8
        .value_kind:     by_value
    .group_segment_fixed_size: 1056
    .kernarg_segment_align: 8
    .kernarg_segment_size: 24
    .language:       OpenCL C
    .language_version:
      - 2
      - 0
    .max_flat_workgroup_size: 65
    .name:           _Z37exclusive_scan_prefix_callback_kernelILj65ELN6hipcub18BlockScanAlgorithmE1EmEvPT1_S3_S2_
    .private_segment_fixed_size: 0
    .sgpr_count:     18
    .sgpr_spill_count: 0
    .symbol:         _Z37exclusive_scan_prefix_callback_kernelILj65ELN6hipcub18BlockScanAlgorithmE1EmEvPT1_S3_S2_.kd
    .uniform_work_group_size: 1
    .uses_dynamic_stack: false
    .vgpr_count:     19
    .vgpr_spill_count: 0
    .wavefront_size: 64
  - .agpr_count:     0
    .args:
      - .address_space:  global
        .offset:         0
        .size:           8
        .value_kind:     global_buffer
      - .address_space:  global
        .offset:         8
        .size:           8
        .value_kind:     global_buffer
      - .offset:         16
        .size:           4
        .value_kind:     by_value
    .group_segment_fixed_size: 2112
    .kernarg_segment_align: 8
    .kernarg_segment_size: 20
    .language:       OpenCL C
    .language_version:
      - 2
      - 0
    .max_flat_workgroup_size: 512
    .name:           _Z37exclusive_scan_prefix_callback_kernelILj512ELN6hipcub18BlockScanAlgorithmE1EiEvPT1_S3_S2_
    .private_segment_fixed_size: 0
    .sgpr_count:     16
    .sgpr_spill_count: 0
    .symbol:         _Z37exclusive_scan_prefix_callback_kernelILj512ELN6hipcub18BlockScanAlgorithmE1EiEvPT1_S3_S2_.kd
    .uniform_work_group_size: 1
    .uses_dynamic_stack: false
    .vgpr_count:     18
    .vgpr_spill_count: 0
    .wavefront_size: 64
  - .agpr_count:     0
    .args:
      - .address_space:  global
        .offset:         0
        .size:           8
        .value_kind:     global_buffer
      - .address_space:  global
        .offset:         8
        .size:           8
        .value_kind:     global_buffer
      - .offset:         16
        .size:           4
        .value_kind:     by_value
    .group_segment_fixed_size: 1056
    .kernarg_segment_align: 8
    .kernarg_segment_size: 20
    .language:       OpenCL C
    .language_version:
      - 2
      - 0
    .max_flat_workgroup_size: 256
    .name:           _Z37exclusive_scan_prefix_callback_kernelILj256ELN6hipcub18BlockScanAlgorithmE1EiEvPT1_S3_S2_
    .private_segment_fixed_size: 0
    .sgpr_count:     16
    .sgpr_spill_count: 0
    .symbol:         _Z37exclusive_scan_prefix_callback_kernelILj256ELN6hipcub18BlockScanAlgorithmE1EiEvPT1_S3_S2_.kd
    .uniform_work_group_size: 1
    .uses_dynamic_stack: false
    .vgpr_count:     14
    .vgpr_spill_count: 0
    .wavefront_size: 64
  - .agpr_count:     0
    .args:
      - .address_space:  global
        .offset:         0
        .size:           8
        .value_kind:     global_buffer
      - .address_space:  global
        .offset:         8
        .size:           8
        .value_kind:     global_buffer
      - .offset:         16
        .size:           4
        .value_kind:     by_value
    .group_segment_fixed_size: 528
    .kernarg_segment_align: 8
    .kernarg_segment_size: 20
    .language:       OpenCL C
    .language_version:
      - 2
      - 0
    .max_flat_workgroup_size: 128
    .name:           _Z37exclusive_scan_prefix_callback_kernelILj128ELN6hipcub18BlockScanAlgorithmE1EiEvPT1_S3_S2_
    .private_segment_fixed_size: 0
    .sgpr_count:     16
    .sgpr_spill_count: 0
    .symbol:         _Z37exclusive_scan_prefix_callback_kernelILj128ELN6hipcub18BlockScanAlgorithmE1EiEvPT1_S3_S2_.kd
    .uniform_work_group_size: 1
    .uses_dynamic_stack: false
    .vgpr_count:     12
    .vgpr_spill_count: 0
    .wavefront_size: 64
  - .agpr_count:     0
    .args:
      - .address_space:  global
        .offset:         0
        .size:           8
        .value_kind:     global_buffer
      - .address_space:  global
        .offset:         8
        .size:           8
        .value_kind:     global_buffer
      - .offset:         16
        .size:           4
        .value_kind:     by_value
    .group_segment_fixed_size: 4
    .kernarg_segment_align: 8
    .kernarg_segment_size: 20
    .language:       OpenCL C
    .language_version:
      - 2
      - 0
    .max_flat_workgroup_size: 64
    .name:           _Z37exclusive_scan_prefix_callback_kernelILj64ELN6hipcub18BlockScanAlgorithmE1EiEvPT1_S3_S2_
    .private_segment_fixed_size: 0
    .sgpr_count:     12
    .sgpr_spill_count: 0
    .symbol:         _Z37exclusive_scan_prefix_callback_kernelILj64ELN6hipcub18BlockScanAlgorithmE1EiEvPT1_S3_S2_.kd
    .uniform_work_group_size: 1
    .uses_dynamic_stack: false
    .vgpr_count:     9
    .vgpr_spill_count: 0
    .wavefront_size: 64
  - .agpr_count:     0
    .args:
      - .address_space:  global
        .offset:         0
        .size:           8
        .value_kind:     global_buffer
      - .address_space:  global
        .offset:         8
        .size:           8
        .value_kind:     global_buffer
      - .offset:         16
        .size:           8
        .value_kind:     by_value
    .group_segment_fixed_size: 48
    .kernarg_segment_align: 8
    .kernarg_segment_size: 24
    .language:       OpenCL C
    .language_version:
      - 2
      - 0
    .max_flat_workgroup_size: 377
    .name:           _Z37exclusive_scan_prefix_callback_kernelILj377ELN6hipcub18BlockScanAlgorithmE0ElEvPT1_S3_S2_
    .private_segment_fixed_size: 0
    .sgpr_count:     16
    .sgpr_spill_count: 0
    .symbol:         _Z37exclusive_scan_prefix_callback_kernelILj377ELN6hipcub18BlockScanAlgorithmE0ElEvPT1_S3_S2_.kd
    .uniform_work_group_size: 1
    .uses_dynamic_stack: false
    .vgpr_count:     16
    .vgpr_spill_count: 0
    .wavefront_size: 64
  - .agpr_count:     0
    .args:
      - .address_space:  global
        .offset:         0
        .size:           8
        .value_kind:     global_buffer
      - .address_space:  global
        .offset:         8
        .size:           8
        .value_kind:     global_buffer
      - .offset:         16
        .size:           8
        .value_kind:     by_value
    .group_segment_fixed_size: 32
    .kernarg_segment_align: 8
    .kernarg_segment_size: 24
    .language:       OpenCL C
    .language_version:
      - 2
      - 0
    .max_flat_workgroup_size: 256
    .name:           _Z37exclusive_scan_prefix_callback_kernelILj256ELN6hipcub18BlockScanAlgorithmE0ElEvPT1_S3_S2_
    .private_segment_fixed_size: 0
    .sgpr_count:     16
    .sgpr_spill_count: 0
    .symbol:         _Z37exclusive_scan_prefix_callback_kernelILj256ELN6hipcub18BlockScanAlgorithmE0ElEvPT1_S3_S2_.kd
    .uniform_work_group_size: 1
    .uses_dynamic_stack: false
    .vgpr_count:     15
    .vgpr_spill_count: 0
    .wavefront_size: 64
  - .agpr_count:     0
    .args:
      - .address_space:  global
        .offset:         0
        .size:           8
        .value_kind:     global_buffer
      - .address_space:  global
        .offset:         8
        .size:           8
        .value_kind:     global_buffer
      - .offset:         16
        .size:           8
        .value_kind:     by_value
    .group_segment_fixed_size: 8
    .kernarg_segment_align: 8
    .kernarg_segment_size: 24
    .language:       OpenCL C
    .language_version:
      - 2
      - 0
    .max_flat_workgroup_size: 64
    .name:           _Z37exclusive_scan_prefix_callback_kernelILj64ELN6hipcub18BlockScanAlgorithmE0ElEvPT1_S3_S2_
    .private_segment_fixed_size: 0
    .sgpr_count:     14
    .sgpr_spill_count: 0
    .symbol:         _Z37exclusive_scan_prefix_callback_kernelILj64ELN6hipcub18BlockScanAlgorithmE0ElEvPT1_S3_S2_.kd
    .uniform_work_group_size: 1
    .uses_dynamic_stack: false
    .vgpr_count:     14
    .vgpr_spill_count: 0
    .wavefront_size: 64
  - .agpr_count:     0
    .args:
      - .address_space:  global
        .offset:         0
        .size:           8
        .value_kind:     global_buffer
      - .address_space:  global
        .offset:         8
        .size:           8
        .value_kind:     global_buffer
      - .offset:         16
        .size:           4
        .value_kind:     by_value
    .group_segment_fixed_size: 24
    .kernarg_segment_align: 8
    .kernarg_segment_size: 20
    .language:       OpenCL C
    .language_version:
      - 2
      - 0
    .max_flat_workgroup_size: 377
    .name:           _Z37exclusive_scan_prefix_callback_kernelILj377ELN6hipcub18BlockScanAlgorithmE0EjEvPT1_S3_S2_
    .private_segment_fixed_size: 0
    .sgpr_count:     14
    .sgpr_spill_count: 0
    .symbol:         _Z37exclusive_scan_prefix_callback_kernelILj377ELN6hipcub18BlockScanAlgorithmE0EjEvPT1_S3_S2_.kd
    .uniform_work_group_size: 1
    .uses_dynamic_stack: false
    .vgpr_count:     10
    .vgpr_spill_count: 0
    .wavefront_size: 64
  - .agpr_count:     0
    .args:
      - .address_space:  global
        .offset:         0
        .size:           8
        .value_kind:     global_buffer
      - .address_space:  global
        .offset:         8
        .size:           8
        .value_kind:     global_buffer
      - .offset:         16
        .size:           4
        .value_kind:     by_value
    .group_segment_fixed_size: 16
    .kernarg_segment_align: 8
    .kernarg_segment_size: 20
    .language:       OpenCL C
    .language_version:
      - 2
      - 0
    .max_flat_workgroup_size: 256
    .name:           _Z37exclusive_scan_prefix_callback_kernelILj256ELN6hipcub18BlockScanAlgorithmE0EjEvPT1_S3_S2_
    .private_segment_fixed_size: 0
    .sgpr_count:     14
    .sgpr_spill_count: 0
    .symbol:         _Z37exclusive_scan_prefix_callback_kernelILj256ELN6hipcub18BlockScanAlgorithmE0EjEvPT1_S3_S2_.kd
    .uniform_work_group_size: 1
    .uses_dynamic_stack: false
    .vgpr_count:     10
    .vgpr_spill_count: 0
    .wavefront_size: 64
  - .agpr_count:     0
    .args:
      - .address_space:  global
        .offset:         0
        .size:           8
        .value_kind:     global_buffer
      - .address_space:  global
        .offset:         8
        .size:           8
        .value_kind:     global_buffer
      - .offset:         16
        .size:           4
        .value_kind:     by_value
    .group_segment_fixed_size: 4
    .kernarg_segment_align: 8
    .kernarg_segment_size: 20
    .language:       OpenCL C
    .language_version:
      - 2
      - 0
    .max_flat_workgroup_size: 64
    .name:           _Z37exclusive_scan_prefix_callback_kernelILj64ELN6hipcub18BlockScanAlgorithmE0EjEvPT1_S3_S2_
    .private_segment_fixed_size: 0
    .sgpr_count:     12
    .sgpr_spill_count: 0
    .symbol:         _Z37exclusive_scan_prefix_callback_kernelILj64ELN6hipcub18BlockScanAlgorithmE0EjEvPT1_S3_S2_.kd
    .uniform_work_group_size: 1
    .uses_dynamic_stack: false
    .vgpr_count:     9
    .vgpr_spill_count: 0
    .wavefront_size: 64
  - .agpr_count:     0
    .args:
      - .address_space:  global
        .offset:         0
        .size:           8
        .value_kind:     global_buffer
      - .address_space:  global
        .offset:         8
        .size:           8
        .value_kind:     global_buffer
      - .offset:         16
        .size:           4
        .value_kind:     by_value
    .group_segment_fixed_size: 16
    .kernarg_segment_align: 8
    .kernarg_segment_size: 20
    .language:       OpenCL C
    .language_version:
      - 2
      - 0
    .max_flat_workgroup_size: 255
    .name:           _Z37exclusive_scan_prefix_callback_kernelILj255ELN6hipcub18BlockScanAlgorithmE0EiEvPT1_S3_S2_
    .private_segment_fixed_size: 0
    .sgpr_count:     14
    .sgpr_spill_count: 0
    .symbol:         _Z37exclusive_scan_prefix_callback_kernelILj255ELN6hipcub18BlockScanAlgorithmE0EiEvPT1_S3_S2_.kd
    .uniform_work_group_size: 1
    .uses_dynamic_stack: false
    .vgpr_count:     10
    .vgpr_spill_count: 0
    .wavefront_size: 64
  - .agpr_count:     0
    .args:
      - .address_space:  global
        .offset:         0
        .size:           8
        .value_kind:     global_buffer
      - .address_space:  global
        .offset:         8
        .size:           8
        .value_kind:     global_buffer
      - .offset:         16
        .size:           4
        .value_kind:     by_value
    .group_segment_fixed_size: 12
    .kernarg_segment_align: 8
    .kernarg_segment_size: 20
    .language:       OpenCL C
    .language_version:
      - 2
      - 0
    .max_flat_workgroup_size: 162
    .name:           _Z37exclusive_scan_prefix_callback_kernelILj162ELN6hipcub18BlockScanAlgorithmE0EiEvPT1_S3_S2_
    .private_segment_fixed_size: 0
    .sgpr_count:     14
    .sgpr_spill_count: 0
    .symbol:         _Z37exclusive_scan_prefix_callback_kernelILj162ELN6hipcub18BlockScanAlgorithmE0EiEvPT1_S3_S2_.kd
    .uniform_work_group_size: 1
    .uses_dynamic_stack: false
    .vgpr_count:     10
    .vgpr_spill_count: 0
    .wavefront_size: 64
  - .agpr_count:     0
    .args:
      - .address_space:  global
        .offset:         0
        .size:           8
        .value_kind:     global_buffer
      - .address_space:  global
        .offset:         8
        .size:           8
        .value_kind:     global_buffer
      - .offset:         16
        .size:           4
        .value_kind:     by_value
    .group_segment_fixed_size: 4
    .kernarg_segment_align: 8
    .kernarg_segment_size: 20
    .language:       OpenCL C
    .language_version:
      - 2
      - 0
    .max_flat_workgroup_size: 37
    .name:           _Z37exclusive_scan_prefix_callback_kernelILj37ELN6hipcub18BlockScanAlgorithmE0EiEvPT1_S3_S2_
    .private_segment_fixed_size: 0
    .sgpr_count:     14
    .sgpr_spill_count: 0
    .symbol:         _Z37exclusive_scan_prefix_callback_kernelILj37ELN6hipcub18BlockScanAlgorithmE0EiEvPT1_S3_S2_.kd
    .uniform_work_group_size: 1
    .uses_dynamic_stack: false
    .vgpr_count:     9
    .vgpr_spill_count: 0
    .wavefront_size: 64
  - .agpr_count:     0
    .args:
      - .address_space:  global
        .offset:         0
        .size:           8
        .value_kind:     global_buffer
      - .address_space:  global
        .offset:         8
        .size:           8
        .value_kind:     global_buffer
      - .offset:         16
        .size:           4
        .value_kind:     by_value
    .group_segment_fixed_size: 8
    .kernarg_segment_align: 8
    .kernarg_segment_size: 20
    .language:       OpenCL C
    .language_version:
      - 2
      - 0
    .max_flat_workgroup_size: 65
    .name:           _Z37exclusive_scan_prefix_callback_kernelILj65ELN6hipcub18BlockScanAlgorithmE0EiEvPT1_S3_S2_
    .private_segment_fixed_size: 0
    .sgpr_count:     16
    .sgpr_spill_count: 0
    .symbol:         _Z37exclusive_scan_prefix_callback_kernelILj65ELN6hipcub18BlockScanAlgorithmE0EiEvPT1_S3_S2_.kd
    .uniform_work_group_size: 1
    .uses_dynamic_stack: false
    .vgpr_count:     10
    .vgpr_spill_count: 0
    .wavefront_size: 64
  - .agpr_count:     0
    .args:
      - .address_space:  global
        .offset:         0
        .size:           8
        .value_kind:     global_buffer
      - .address_space:  global
        .offset:         8
        .size:           8
        .value_kind:     global_buffer
      - .offset:         16
        .size:           4
        .value_kind:     by_value
    .group_segment_fixed_size: 32
    .kernarg_segment_align: 8
    .kernarg_segment_size: 20
    .language:       OpenCL C
    .language_version:
      - 2
      - 0
    .max_flat_workgroup_size: 512
    .name:           _Z37exclusive_scan_prefix_callback_kernelILj512ELN6hipcub18BlockScanAlgorithmE0EiEvPT1_S3_S2_
    .private_segment_fixed_size: 0
    .sgpr_count:     14
    .sgpr_spill_count: 0
    .symbol:         _Z37exclusive_scan_prefix_callback_kernelILj512ELN6hipcub18BlockScanAlgorithmE0EiEvPT1_S3_S2_.kd
    .uniform_work_group_size: 1
    .uses_dynamic_stack: false
    .vgpr_count:     10
    .vgpr_spill_count: 0
    .wavefront_size: 64
  - .agpr_count:     0
    .args:
      - .address_space:  global
        .offset:         0
        .size:           8
        .value_kind:     global_buffer
      - .address_space:  global
        .offset:         8
        .size:           8
        .value_kind:     global_buffer
      - .offset:         16
        .size:           4
        .value_kind:     by_value
    .group_segment_fixed_size: 16
    .kernarg_segment_align: 8
    .kernarg_segment_size: 20
    .language:       OpenCL C
    .language_version:
      - 2
      - 0
    .max_flat_workgroup_size: 256
    .name:           _Z37exclusive_scan_prefix_callback_kernelILj256ELN6hipcub18BlockScanAlgorithmE0EiEvPT1_S3_S2_
    .private_segment_fixed_size: 0
    .sgpr_count:     14
    .sgpr_spill_count: 0
    .symbol:         _Z37exclusive_scan_prefix_callback_kernelILj256ELN6hipcub18BlockScanAlgorithmE0EiEvPT1_S3_S2_.kd
    .uniform_work_group_size: 1
    .uses_dynamic_stack: false
    .vgpr_count:     10
    .vgpr_spill_count: 0
    .wavefront_size: 64
  - .agpr_count:     0
    .args:
      - .address_space:  global
        .offset:         0
        .size:           8
        .value_kind:     global_buffer
      - .address_space:  global
        .offset:         8
        .size:           8
        .value_kind:     global_buffer
      - .offset:         16
        .size:           4
        .value_kind:     by_value
    .group_segment_fixed_size: 8
    .kernarg_segment_align: 8
    .kernarg_segment_size: 20
    .language:       OpenCL C
    .language_version:
      - 2
      - 0
    .max_flat_workgroup_size: 128
    .name:           _Z37exclusive_scan_prefix_callback_kernelILj128ELN6hipcub18BlockScanAlgorithmE0EiEvPT1_S3_S2_
    .private_segment_fixed_size: 0
    .sgpr_count:     14
    .sgpr_spill_count: 0
    .symbol:         _Z37exclusive_scan_prefix_callback_kernelILj128ELN6hipcub18BlockScanAlgorithmE0EiEvPT1_S3_S2_.kd
    .uniform_work_group_size: 1
    .uses_dynamic_stack: false
    .vgpr_count:     10
    .vgpr_spill_count: 0
    .wavefront_size: 64
  - .agpr_count:     0
    .args:
      - .address_space:  global
        .offset:         0
        .size:           8
        .value_kind:     global_buffer
      - .address_space:  global
        .offset:         8
        .size:           8
        .value_kind:     global_buffer
      - .offset:         16
        .size:           4
        .value_kind:     by_value
    .group_segment_fixed_size: 4
    .kernarg_segment_align: 8
    .kernarg_segment_size: 20
    .language:       OpenCL C
    .language_version:
      - 2
      - 0
    .max_flat_workgroup_size: 64
    .name:           _Z37exclusive_scan_prefix_callback_kernelILj64ELN6hipcub18BlockScanAlgorithmE0EiEvPT1_S3_S2_
    .private_segment_fixed_size: 0
    .sgpr_count:     12
    .sgpr_spill_count: 0
    .symbol:         _Z37exclusive_scan_prefix_callback_kernelILj64ELN6hipcub18BlockScanAlgorithmE0EiEvPT1_S3_S2_.kd
    .uniform_work_group_size: 1
    .uses_dynamic_stack: false
    .vgpr_count:     9
    .vgpr_spill_count: 0
    .wavefront_size: 64
  - .agpr_count:     0
    .args:
      - .address_space:  global
        .offset:         0
        .size:           8
        .value_kind:     global_buffer
    .group_segment_fixed_size: 768
    .kernarg_segment_align: 8
    .kernarg_segment_size: 8
    .language:       OpenCL C
    .language_version:
      - 2
      - 0
    .max_flat_workgroup_size: 377
    .name:           _Z21inclusive_scan_kernelILj377ELN6hipcub18BlockScanAlgorithmE1EN10test_utils16custom_test_typeIhEEEvPT1_
    .private_segment_fixed_size: 0
    .sgpr_count:     11
    .sgpr_spill_count: 0
    .symbol:         _Z21inclusive_scan_kernelILj377ELN6hipcub18BlockScanAlgorithmE1EN10test_utils16custom_test_typeIhEEEvPT1_.kd
    .uniform_work_group_size: 1
    .uses_dynamic_stack: false
    .vgpr_count:     22
    .vgpr_spill_count: 0
    .wavefront_size: 64
  - .agpr_count:     0
    .args:
      - .address_space:  global
        .offset:         0
        .size:           8
        .value_kind:     global_buffer
    .group_segment_fixed_size: 3072
    .kernarg_segment_align: 8
    .kernarg_segment_size: 8
    .language:       OpenCL C
    .language_version:
      - 2
      - 0
    .max_flat_workgroup_size: 377
    .name:           _Z21inclusive_scan_kernelILj377ELN6hipcub18BlockScanAlgorithmE1EN10test_utils16custom_test_typeIiEEEvPT1_
    .private_segment_fixed_size: 0
    .sgpr_count:     11
    .sgpr_spill_count: 0
    .symbol:         _Z21inclusive_scan_kernelILj377ELN6hipcub18BlockScanAlgorithmE1EN10test_utils16custom_test_typeIiEEEvPT1_.kd
    .uniform_work_group_size: 1
    .uses_dynamic_stack: false
    .vgpr_count:     27
    .vgpr_spill_count: 0
    .wavefront_size: 64
  - .agpr_count:     0
    .args:
      - .address_space:  global
        .offset:         0
        .size:           8
        .value_kind:     global_buffer
    .group_segment_fixed_size: 2112
    .kernarg_segment_align: 8
    .kernarg_segment_size: 8
    .language:       OpenCL C
    .language_version:
      - 2
      - 0
    .max_flat_workgroup_size: 255
    .name:           _Z21inclusive_scan_kernelILj255ELN6hipcub18BlockScanAlgorithmE1EN10test_utils16custom_test_typeIjEEEvPT1_
    .private_segment_fixed_size: 0
    .sgpr_count:     11
    .sgpr_spill_count: 0
    .symbol:         _Z21inclusive_scan_kernelILj255ELN6hipcub18BlockScanAlgorithmE1EN10test_utils16custom_test_typeIjEEEvPT1_.kd
    .uniform_work_group_size: 1
    .uses_dynamic_stack: false
    .vgpr_count:     21
    .vgpr_spill_count: 0
    .wavefront_size: 64
  - .agpr_count:     0
    .args:
      - .address_space:  global
        .offset:         0
        .size:           8
        .value_kind:     global_buffer
    .group_segment_fixed_size: 768
    .kernarg_segment_align: 8
    .kernarg_segment_size: 8
    .language:       OpenCL C
    .language_version:
      - 2
      - 0
    .max_flat_workgroup_size: 162
    .name:           _Z21inclusive_scan_kernelILj162ELN6hipcub18BlockScanAlgorithmE1EN10test_utils16custom_test_typeIsEEEvPT1_
    .private_segment_fixed_size: 0
    .sgpr_count:     11
    .sgpr_spill_count: 0
    .symbol:         _Z21inclusive_scan_kernelILj162ELN6hipcub18BlockScanAlgorithmE1EN10test_utils16custom_test_typeIsEEEvPT1_.kd
    .uniform_work_group_size: 1
    .uses_dynamic_stack: false
    .vgpr_count:     17
    .vgpr_spill_count: 0
    .wavefront_size: 64
  - .agpr_count:     0
    .args:
      - .address_space:  global
        .offset:         0
        .size:           8
        .value_kind:     global_buffer
    .group_segment_fixed_size: 16
    .kernarg_segment_align: 8
    .kernarg_segment_size: 8
    .language:       OpenCL C
    .language_version:
      - 2
      - 0
    .max_flat_workgroup_size: 37
    .name:           _Z21inclusive_scan_kernelILj37ELN6hipcub18BlockScanAlgorithmE1EN10test_utils16custom_test_typeIlEEEvPT1_
    .private_segment_fixed_size: 0
    .sgpr_count:     11
    .sgpr_spill_count: 0
    .symbol:         _Z21inclusive_scan_kernelILj37ELN6hipcub18BlockScanAlgorithmE1EN10test_utils16custom_test_typeIlEEEvPT1_.kd
    .uniform_work_group_size: 1
    .uses_dynamic_stack: false
    .vgpr_count:     15
    .vgpr_spill_count: 0
    .wavefront_size: 64
  - .agpr_count:     0
    .args:
      - .address_space:  global
        .offset:         0
        .size:           8
        .value_kind:     global_buffer
    .group_segment_fixed_size: 2112
    .kernarg_segment_align: 8
    .kernarg_segment_size: 8
    .language:       OpenCL C
    .language_version:
      - 2
      - 0
    .max_flat_workgroup_size: 65
    .name:           _Z21inclusive_scan_kernelILj65ELN6hipcub18BlockScanAlgorithmE1EN10test_utils16custom_test_typeImEEEvPT1_
    .private_segment_fixed_size: 0
    .sgpr_count:     11
    .sgpr_spill_count: 0
    .symbol:         _Z21inclusive_scan_kernelILj65ELN6hipcub18BlockScanAlgorithmE1EN10test_utils16custom_test_typeImEEEvPT1_.kd
    .uniform_work_group_size: 1
    .uses_dynamic_stack: false
    .vgpr_count:     31
    .vgpr_spill_count: 0
    .wavefront_size: 64
  - .agpr_count:     0
    .args:
      - .address_space:  global
        .offset:         0
        .size:           8
        .value_kind:     global_buffer
    .group_segment_fixed_size: 4224
    .kernarg_segment_align: 8
    .kernarg_segment_size: 8
    .language:       OpenCL C
    .language_version:
      - 2
      - 0
    .max_flat_workgroup_size: 512
    .name:           _Z21inclusive_scan_kernelILj512ELN6hipcub18BlockScanAlgorithmE1EN10test_utils16custom_test_typeIiEEEvPT1_
    .private_segment_fixed_size: 0
    .sgpr_count:     11
    .sgpr_spill_count: 0
    .symbol:         _Z21inclusive_scan_kernelILj512ELN6hipcub18BlockScanAlgorithmE1EN10test_utils16custom_test_typeIiEEEvPT1_.kd
    .uniform_work_group_size: 1
    .uses_dynamic_stack: false
    .vgpr_count:     31
    .vgpr_spill_count: 0
    .wavefront_size: 64
  - .agpr_count:     0
    .args:
      - .address_space:  global
        .offset:         0
        .size:           8
        .value_kind:     global_buffer
    .group_segment_fixed_size: 2112
    .kernarg_segment_align: 8
    .kernarg_segment_size: 8
    .language:       OpenCL C
    .language_version:
      - 2
      - 0
    .max_flat_workgroup_size: 256
    .name:           _Z21inclusive_scan_kernelILj256ELN6hipcub18BlockScanAlgorithmE1EN10test_utils16custom_test_typeIiEEEvPT1_
    .private_segment_fixed_size: 0
    .sgpr_count:     11
    .sgpr_spill_count: 0
    .symbol:         _Z21inclusive_scan_kernelILj256ELN6hipcub18BlockScanAlgorithmE1EN10test_utils16custom_test_typeIiEEEvPT1_.kd
    .uniform_work_group_size: 1
    .uses_dynamic_stack: false
    .vgpr_count:     21
    .vgpr_spill_count: 0
    .wavefront_size: 64
  - .agpr_count:     0
    .args:
      - .address_space:  global
        .offset:         0
        .size:           8
        .value_kind:     global_buffer
    .group_segment_fixed_size: 1056
    .kernarg_segment_align: 8
    .kernarg_segment_size: 8
    .language:       OpenCL C
    .language_version:
      - 2
      - 0
    .max_flat_workgroup_size: 128
    .name:           _Z21inclusive_scan_kernelILj128ELN6hipcub18BlockScanAlgorithmE1EN10test_utils16custom_test_typeIiEEEvPT1_
    .private_segment_fixed_size: 0
    .sgpr_count:     11
    .sgpr_spill_count: 0
    .symbol:         _Z21inclusive_scan_kernelILj128ELN6hipcub18BlockScanAlgorithmE1EN10test_utils16custom_test_typeIiEEEvPT1_.kd
    .uniform_work_group_size: 1
    .uses_dynamic_stack: false
    .vgpr_count:     17
    .vgpr_spill_count: 0
    .wavefront_size: 64
  - .agpr_count:     0
    .args:
      - .address_space:  global
        .offset:         0
        .size:           8
        .value_kind:     global_buffer
    .group_segment_fixed_size: 8
    .kernarg_segment_align: 8
    .kernarg_segment_size: 8
    .language:       OpenCL C
    .language_version:
      - 2
      - 0
    .max_flat_workgroup_size: 64
    .name:           _Z21inclusive_scan_kernelILj64ELN6hipcub18BlockScanAlgorithmE1EN10test_utils16custom_test_typeIiEEEvPT1_
    .private_segment_fixed_size: 0
    .sgpr_count:     11
    .sgpr_spill_count: 0
    .symbol:         _Z21inclusive_scan_kernelILj64ELN6hipcub18BlockScanAlgorithmE1EN10test_utils16custom_test_typeIiEEEvPT1_.kd
    .uniform_work_group_size: 1
    .uses_dynamic_stack: false
    .vgpr_count:     11
    .vgpr_spill_count: 0
    .wavefront_size: 64
  - .agpr_count:     0
    .args:
      - .address_space:  global
        .offset:         0
        .size:           8
        .value_kind:     global_buffer
    .group_segment_fixed_size: 96
    .kernarg_segment_align: 8
    .kernarg_segment_size: 8
    .language:       OpenCL C
    .language_version:
      - 2
      - 0
    .max_flat_workgroup_size: 377
    .name:           _Z21inclusive_scan_kernelILj377ELN6hipcub18BlockScanAlgorithmE0EN10test_utils16custom_test_typeIlEEEvPT1_
    .private_segment_fixed_size: 0
    .sgpr_count:     11
    .sgpr_spill_count: 0
    .symbol:         _Z21inclusive_scan_kernelILj377ELN6hipcub18BlockScanAlgorithmE0EN10test_utils16custom_test_typeIlEEEvPT1_.kd
    .uniform_work_group_size: 1
    .uses_dynamic_stack: false
    .vgpr_count:     20
    .vgpr_spill_count: 0
    .wavefront_size: 64
  - .agpr_count:     0
    .args:
      - .address_space:  global
        .offset:         0
        .size:           8
        .value_kind:     global_buffer
    .group_segment_fixed_size: 64
    .kernarg_segment_align: 8
    .kernarg_segment_size: 8
    .language:       OpenCL C
    .language_version:
      - 2
      - 0
    .max_flat_workgroup_size: 256
    .name:           _Z21inclusive_scan_kernelILj256ELN6hipcub18BlockScanAlgorithmE0EN10test_utils16custom_test_typeIlEEEvPT1_
    .private_segment_fixed_size: 0
    .sgpr_count:     11
    .sgpr_spill_count: 0
    .symbol:         _Z21inclusive_scan_kernelILj256ELN6hipcub18BlockScanAlgorithmE0EN10test_utils16custom_test_typeIlEEEvPT1_.kd
    .uniform_work_group_size: 1
    .uses_dynamic_stack: false
    .vgpr_count:     20
    .vgpr_spill_count: 0
    .wavefront_size: 64
  - .agpr_count:     0
    .args:
      - .address_space:  global
        .offset:         0
        .size:           8
        .value_kind:     global_buffer
    .group_segment_fixed_size: 16
    .kernarg_segment_align: 8
    .kernarg_segment_size: 8
    .language:       OpenCL C
    .language_version:
      - 2
      - 0
    .max_flat_workgroup_size: 64
    .name:           _Z21inclusive_scan_kernelILj64ELN6hipcub18BlockScanAlgorithmE0EN10test_utils16custom_test_typeIlEEEvPT1_
    .private_segment_fixed_size: 0
    .sgpr_count:     11
    .sgpr_spill_count: 0
    .symbol:         _Z21inclusive_scan_kernelILj64ELN6hipcub18BlockScanAlgorithmE0EN10test_utils16custom_test_typeIlEEEvPT1_.kd
    .uniform_work_group_size: 1
    .uses_dynamic_stack: false
    .vgpr_count:     15
    .vgpr_spill_count: 0
    .wavefront_size: 64
  - .agpr_count:     0
    .args:
      - .address_space:  global
        .offset:         0
        .size:           8
        .value_kind:     global_buffer
    .group_segment_fixed_size: 48
    .kernarg_segment_align: 8
    .kernarg_segment_size: 8
    .language:       OpenCL C
    .language_version:
      - 2
      - 0
    .max_flat_workgroup_size: 377
    .name:           _Z21inclusive_scan_kernelILj377ELN6hipcub18BlockScanAlgorithmE0EN10test_utils16custom_test_typeIjEEEvPT1_
    .private_segment_fixed_size: 0
    .sgpr_count:     11
    .sgpr_spill_count: 0
    .symbol:         _Z21inclusive_scan_kernelILj377ELN6hipcub18BlockScanAlgorithmE0EN10test_utils16custom_test_typeIjEEEvPT1_.kd
    .uniform_work_group_size: 1
    .uses_dynamic_stack: false
    .vgpr_count:     12
    .vgpr_spill_count: 0
    .wavefront_size: 64
  - .agpr_count:     0
    .args:
      - .address_space:  global
        .offset:         0
        .size:           8
        .value_kind:     global_buffer
    .group_segment_fixed_size: 32
    .kernarg_segment_align: 8
    .kernarg_segment_size: 8
    .language:       OpenCL C
    .language_version:
      - 2
      - 0
    .max_flat_workgroup_size: 256
    .name:           _Z21inclusive_scan_kernelILj256ELN6hipcub18BlockScanAlgorithmE0EN10test_utils16custom_test_typeIjEEEvPT1_
    .private_segment_fixed_size: 0
    .sgpr_count:     11
    .sgpr_spill_count: 0
    .symbol:         _Z21inclusive_scan_kernelILj256ELN6hipcub18BlockScanAlgorithmE0EN10test_utils16custom_test_typeIjEEEvPT1_.kd
    .uniform_work_group_size: 1
    .uses_dynamic_stack: false
    .vgpr_count:     12
    .vgpr_spill_count: 0
    .wavefront_size: 64
  - .agpr_count:     0
    .args:
      - .address_space:  global
        .offset:         0
        .size:           8
        .value_kind:     global_buffer
    .group_segment_fixed_size: 8
    .kernarg_segment_align: 8
    .kernarg_segment_size: 8
    .language:       OpenCL C
    .language_version:
      - 2
      - 0
    .max_flat_workgroup_size: 64
    .name:           _Z21inclusive_scan_kernelILj64ELN6hipcub18BlockScanAlgorithmE0EN10test_utils16custom_test_typeIjEEEvPT1_
    .private_segment_fixed_size: 0
    .sgpr_count:     11
    .sgpr_spill_count: 0
    .symbol:         _Z21inclusive_scan_kernelILj64ELN6hipcub18BlockScanAlgorithmE0EN10test_utils16custom_test_typeIjEEEvPT1_.kd
    .uniform_work_group_size: 1
    .uses_dynamic_stack: false
    .vgpr_count:     11
    .vgpr_spill_count: 0
    .wavefront_size: 64
  - .agpr_count:     0
    .args:
      - .address_space:  global
        .offset:         0
        .size:           8
        .value_kind:     global_buffer
    .group_segment_fixed_size: 32
    .kernarg_segment_align: 8
    .kernarg_segment_size: 8
    .language:       OpenCL C
    .language_version:
      - 2
      - 0
    .max_flat_workgroup_size: 255
    .name:           _Z21inclusive_scan_kernelILj255ELN6hipcub18BlockScanAlgorithmE0EN10test_utils16custom_test_typeIiEEEvPT1_
    .private_segment_fixed_size: 0
    .sgpr_count:     11
    .sgpr_spill_count: 0
    .symbol:         _Z21inclusive_scan_kernelILj255ELN6hipcub18BlockScanAlgorithmE0EN10test_utils16custom_test_typeIiEEEvPT1_.kd
    .uniform_work_group_size: 1
    .uses_dynamic_stack: false
    .vgpr_count:     12
    .vgpr_spill_count: 0
    .wavefront_size: 64
  - .agpr_count:     0
    .args:
      - .address_space:  global
        .offset:         0
        .size:           8
        .value_kind:     global_buffer
    .group_segment_fixed_size: 24
    .kernarg_segment_align: 8
    .kernarg_segment_size: 8
    .language:       OpenCL C
    .language_version:
      - 2
      - 0
    .max_flat_workgroup_size: 162
    .name:           _Z21inclusive_scan_kernelILj162ELN6hipcub18BlockScanAlgorithmE0EN10test_utils16custom_test_typeIiEEEvPT1_
    .private_segment_fixed_size: 0
    .sgpr_count:     11
    .sgpr_spill_count: 0
    .symbol:         _Z21inclusive_scan_kernelILj162ELN6hipcub18BlockScanAlgorithmE0EN10test_utils16custom_test_typeIiEEEvPT1_.kd
    .uniform_work_group_size: 1
    .uses_dynamic_stack: false
    .vgpr_count:     12
    .vgpr_spill_count: 0
    .wavefront_size: 64
  - .agpr_count:     0
    .args:
      - .address_space:  global
        .offset:         0
        .size:           8
        .value_kind:     global_buffer
    .group_segment_fixed_size: 8
    .kernarg_segment_align: 8
    .kernarg_segment_size: 8
    .language:       OpenCL C
    .language_version:
      - 2
      - 0
    .max_flat_workgroup_size: 37
    .name:           _Z21inclusive_scan_kernelILj37ELN6hipcub18BlockScanAlgorithmE0EN10test_utils16custom_test_typeIiEEEvPT1_
    .private_segment_fixed_size: 0
    .sgpr_count:     11
    .sgpr_spill_count: 0
    .symbol:         _Z21inclusive_scan_kernelILj37ELN6hipcub18BlockScanAlgorithmE0EN10test_utils16custom_test_typeIiEEEvPT1_.kd
    .uniform_work_group_size: 1
    .uses_dynamic_stack: false
    .vgpr_count:     11
    .vgpr_spill_count: 0
    .wavefront_size: 64
  - .agpr_count:     0
    .args:
      - .address_space:  global
        .offset:         0
        .size:           8
        .value_kind:     global_buffer
    .group_segment_fixed_size: 16
    .kernarg_segment_align: 8
    .kernarg_segment_size: 8
    .language:       OpenCL C
    .language_version:
      - 2
      - 0
    .max_flat_workgroup_size: 65
    .name:           _Z21inclusive_scan_kernelILj65ELN6hipcub18BlockScanAlgorithmE0EN10test_utils16custom_test_typeIiEEEvPT1_
    .private_segment_fixed_size: 0
    .sgpr_count:     11
    .sgpr_spill_count: 0
    .symbol:         _Z21inclusive_scan_kernelILj65ELN6hipcub18BlockScanAlgorithmE0EN10test_utils16custom_test_typeIiEEEvPT1_.kd
    .uniform_work_group_size: 1
    .uses_dynamic_stack: false
    .vgpr_count:     12
    .vgpr_spill_count: 0
    .wavefront_size: 64
  - .agpr_count:     0
    .args:
      - .address_space:  global
        .offset:         0
        .size:           8
        .value_kind:     global_buffer
    .group_segment_fixed_size: 64
    .kernarg_segment_align: 8
    .kernarg_segment_size: 8
    .language:       OpenCL C
    .language_version:
      - 2
      - 0
    .max_flat_workgroup_size: 512
    .name:           _Z21inclusive_scan_kernelILj512ELN6hipcub18BlockScanAlgorithmE0EN10test_utils16custom_test_typeIiEEEvPT1_
    .private_segment_fixed_size: 0
    .sgpr_count:     11
    .sgpr_spill_count: 0
    .symbol:         _Z21inclusive_scan_kernelILj512ELN6hipcub18BlockScanAlgorithmE0EN10test_utils16custom_test_typeIiEEEvPT1_.kd
    .uniform_work_group_size: 1
    .uses_dynamic_stack: false
    .vgpr_count:     12
    .vgpr_spill_count: 0
    .wavefront_size: 64
  - .agpr_count:     0
    .args:
      - .address_space:  global
        .offset:         0
        .size:           8
        .value_kind:     global_buffer
    .group_segment_fixed_size: 32
    .kernarg_segment_align: 8
    .kernarg_segment_size: 8
    .language:       OpenCL C
    .language_version:
      - 2
      - 0
    .max_flat_workgroup_size: 256
    .name:           _Z21inclusive_scan_kernelILj256ELN6hipcub18BlockScanAlgorithmE0EN10test_utils16custom_test_typeIiEEEvPT1_
    .private_segment_fixed_size: 0
    .sgpr_count:     11
    .sgpr_spill_count: 0
    .symbol:         _Z21inclusive_scan_kernelILj256ELN6hipcub18BlockScanAlgorithmE0EN10test_utils16custom_test_typeIiEEEvPT1_.kd
    .uniform_work_group_size: 1
    .uses_dynamic_stack: false
    .vgpr_count:     12
    .vgpr_spill_count: 0
    .wavefront_size: 64
  - .agpr_count:     0
    .args:
      - .address_space:  global
        .offset:         0
        .size:           8
        .value_kind:     global_buffer
    .group_segment_fixed_size: 16
    .kernarg_segment_align: 8
    .kernarg_segment_size: 8
    .language:       OpenCL C
    .language_version:
      - 2
      - 0
    .max_flat_workgroup_size: 128
    .name:           _Z21inclusive_scan_kernelILj128ELN6hipcub18BlockScanAlgorithmE0EN10test_utils16custom_test_typeIiEEEvPT1_
    .private_segment_fixed_size: 0
    .sgpr_count:     11
    .sgpr_spill_count: 0
    .symbol:         _Z21inclusive_scan_kernelILj128ELN6hipcub18BlockScanAlgorithmE0EN10test_utils16custom_test_typeIiEEEvPT1_.kd
    .uniform_work_group_size: 1
    .uses_dynamic_stack: false
    .vgpr_count:     12
    .vgpr_spill_count: 0
    .wavefront_size: 64
  - .agpr_count:     0
    .args:
      - .address_space:  global
        .offset:         0
        .size:           8
        .value_kind:     global_buffer
    .group_segment_fixed_size: 8
    .kernarg_segment_align: 8
    .kernarg_segment_size: 8
    .language:       OpenCL C
    .language_version:
      - 2
      - 0
    .max_flat_workgroup_size: 64
    .name:           _Z21inclusive_scan_kernelILj64ELN6hipcub18BlockScanAlgorithmE0EN10test_utils16custom_test_typeIiEEEvPT1_
    .private_segment_fixed_size: 0
    .sgpr_count:     11
    .sgpr_spill_count: 0
    .symbol:         _Z21inclusive_scan_kernelILj64ELN6hipcub18BlockScanAlgorithmE0EN10test_utils16custom_test_typeIiEEEvPT1_.kd
    .uniform_work_group_size: 1
    .uses_dynamic_stack: false
    .vgpr_count:     11
    .vgpr_spill_count: 0
    .wavefront_size: 64
  - .agpr_count:     0
    .args:
      - .address_space:  global
        .offset:         0
        .size:           8
        .value_kind:     global_buffer
    .group_segment_fixed_size: 2
    .kernarg_segment_align: 8
    .kernarg_segment_size: 8
    .language:       OpenCL C
    .language_version:
      - 2
      - 0
    .max_flat_workgroup_size: 16
    .name:           _Z27inclusive_scan_array_kernelILj16ELj5ELN6hipcub18BlockScanAlgorithmE1E12hip_bfloat16EvPT2_
    .private_segment_fixed_size: 0
    .sgpr_count:     11
    .sgpr_spill_count: 0
    .symbol:         _Z27inclusive_scan_array_kernelILj16ELj5ELN6hipcub18BlockScanAlgorithmE1E12hip_bfloat16EvPT2_.kd
    .uniform_work_group_size: 1
    .uses_dynamic_stack: false
    .vgpr_count:     25
    .vgpr_spill_count: 0
    .wavefront_size: 64
  - .agpr_count:     0
    .args:
      - .address_space:  global
        .offset:         0
        .size:           8
        .value_kind:     global_buffer
    .group_segment_fixed_size: 264
    .kernarg_segment_align: 8
    .kernarg_segment_size: 8
    .language:       OpenCL C
    .language_version:
      - 2
      - 0
    .max_flat_workgroup_size: 65
    .name:           _Z27inclusive_scan_array_kernelILj65ELj5ELN6hipcub18BlockScanAlgorithmE1E6__halfEvPT2_
    .private_segment_fixed_size: 0
    .sgpr_count:     11
    .sgpr_spill_count: 0
    .symbol:         _Z27inclusive_scan_array_kernelILj65ELj5ELN6hipcub18BlockScanAlgorithmE1E6__halfEvPT2_.kd
    .uniform_work_group_size: 1
    .uses_dynamic_stack: false
    .vgpr_count:     24
    .vgpr_spill_count: 0
    .wavefront_size: 64
  - .agpr_count:     0
    .args:
      - .address_space:  global
        .offset:         0
        .size:           8
        .value_kind:     global_buffer
    .group_segment_fixed_size: 1056
    .kernarg_segment_align: 8
    .kernarg_segment_size: 8
    .language:       OpenCL C
    .language_version:
      - 2
      - 0
    .max_flat_workgroup_size: 255
    .name:           _Z27inclusive_scan_array_kernelILj255ELj15ELN6hipcub18BlockScanAlgorithmE1EfEvPT2_
    .private_segment_fixed_size: 0
    .sgpr_count:     11
    .sgpr_spill_count: 0
    .symbol:         _Z27inclusive_scan_array_kernelILj255ELj15ELN6hipcub18BlockScanAlgorithmE1EfEvPT2_.kd
    .uniform_work_group_size: 1
    .uses_dynamic_stack: false
    .vgpr_count:     56
    .vgpr_spill_count: 0
    .wavefront_size: 64
  - .agpr_count:     0
    .args:
      - .address_space:  global
        .offset:         0
        .size:           8
        .value_kind:     global_buffer
    .group_segment_fixed_size: 768
    .kernarg_segment_align: 8
    .kernarg_segment_size: 8
    .language:       OpenCL C
    .language_version:
      - 2
      - 0
    .max_flat_workgroup_size: 162
    .name:           _Z27inclusive_scan_array_kernelILj162ELj7ELN6hipcub18BlockScanAlgorithmE1EfEvPT2_
    .private_segment_fixed_size: 0
    .sgpr_count:     11
    .sgpr_spill_count: 0
    .symbol:         _Z27inclusive_scan_array_kernelILj162ELj7ELN6hipcub18BlockScanAlgorithmE1EfEvPT2_.kd
    .uniform_work_group_size: 1
    .uses_dynamic_stack: false
    .vgpr_count:     32
    .vgpr_spill_count: 0
    .wavefront_size: 64
  - .agpr_count:     0
    .args:
      - .address_space:  global
        .offset:         0
        .size:           8
        .value_kind:     global_buffer
    .group_segment_fixed_size: 528
    .kernarg_segment_align: 8
    .kernarg_segment_size: 8
    .language:       OpenCL C
    .language_version:
      - 2
      - 0
    .max_flat_workgroup_size: 65
    .name:           _Z27inclusive_scan_array_kernelILj65ELj5ELN6hipcub18BlockScanAlgorithmE1EfEvPT2_
    .private_segment_fixed_size: 0
    .sgpr_count:     11
    .sgpr_spill_count: 0
    .symbol:         _Z27inclusive_scan_array_kernelILj65ELj5ELN6hipcub18BlockScanAlgorithmE1EfEvPT2_.kd
    .uniform_work_group_size: 1
    .uses_dynamic_stack: false
    .vgpr_count:     24
    .vgpr_spill_count: 0
    .wavefront_size: 64
  - .agpr_count:     0
    .args:
      - .address_space:  global
        .offset:         0
        .size:           8
        .value_kind:     global_buffer
    .group_segment_fixed_size: 4
    .kernarg_segment_align: 8
    .kernarg_segment_size: 8
    .language:       OpenCL C
    .language_version:
      - 2
      - 0
    .max_flat_workgroup_size: 37
    .name:           _Z27inclusive_scan_array_kernelILj37ELj2ELN6hipcub18BlockScanAlgorithmE1EfEvPT2_
    .private_segment_fixed_size: 0
    .sgpr_count:     11
    .sgpr_spill_count: 0
    .symbol:         _Z27inclusive_scan_array_kernelILj37ELj2ELN6hipcub18BlockScanAlgorithmE1EfEvPT2_.kd
    .uniform_work_group_size: 1
    .uses_dynamic_stack: false
    .vgpr_count:     11
    .vgpr_spill_count: 0
    .wavefront_size: 64
  - .agpr_count:     0
    .args:
      - .address_space:  global
        .offset:         0
        .size:           8
        .value_kind:     global_buffer
    .group_segment_fixed_size: 2112
    .kernarg_segment_align: 8
    .kernarg_segment_size: 8
    .language:       OpenCL C
    .language_version:
      - 2
      - 0
    .max_flat_workgroup_size: 512
    .name:           _Z27inclusive_scan_array_kernelILj512ELj4ELN6hipcub18BlockScanAlgorithmE1EjEvPT2_
    .private_segment_fixed_size: 0
    .sgpr_count:     11
    .sgpr_spill_count: 0
    .symbol:         _Z27inclusive_scan_array_kernelILj512ELj4ELN6hipcub18BlockScanAlgorithmE1EjEvPT2_.kd
    .uniform_work_group_size: 1
    .uses_dynamic_stack: false
    .vgpr_count:     22
    .vgpr_spill_count: 0
    .wavefront_size: 64
  - .agpr_count:     0
    .args:
      - .address_space:  global
        .offset:         0
        .size:           8
        .value_kind:     global_buffer
    .group_segment_fixed_size: 1056
    .kernarg_segment_align: 8
    .kernarg_segment_size: 8
    .language:       OpenCL C
    .language_version:
      - 2
      - 0
    .max_flat_workgroup_size: 256
    .name:           _Z27inclusive_scan_array_kernelILj256ELj3ELN6hipcub18BlockScanAlgorithmE1EiEvPT2_
    .private_segment_fixed_size: 0
    .sgpr_count:     11
    .sgpr_spill_count: 0
    .symbol:         _Z27inclusive_scan_array_kernelILj256ELj3ELN6hipcub18BlockScanAlgorithmE1EiEvPT2_.kd
    .uniform_work_group_size: 1
    .uses_dynamic_stack: false
    .vgpr_count:     21
    .vgpr_spill_count: 0
    .wavefront_size: 64
  - .agpr_count:     0
    .args:
      - .address_space:  global
        .offset:         0
        .size:           8
        .value_kind:     global_buffer
    .group_segment_fixed_size: 4
    .kernarg_segment_align: 8
    .kernarg_segment_size: 8
    .language:       OpenCL C
    .language_version:
      - 2
      - 0
    .max_flat_workgroup_size: 32
    .name:           _Z27inclusive_scan_array_kernelILj32ELj2ELN6hipcub18BlockScanAlgorithmE1EfEvPT2_
    .private_segment_fixed_size: 0
    .sgpr_count:     11
    .sgpr_spill_count: 0
    .symbol:         _Z27inclusive_scan_array_kernelILj32ELj2ELN6hipcub18BlockScanAlgorithmE1EfEvPT2_.kd
    .uniform_work_group_size: 1
    .uses_dynamic_stack: false
    .vgpr_count:     11
    .vgpr_spill_count: 0
    .wavefront_size: 64
  - .agpr_count:     0
    .args:
      - .address_space:  global
        .offset:         0
        .size:           8
        .value_kind:     global_buffer
    .group_segment_fixed_size: 4
    .kernarg_segment_align: 8
    .kernarg_segment_size: 8
    .language:       OpenCL C
    .language_version:
      - 2
      - 0
    .max_flat_workgroup_size: 6
    .name:           _Z27inclusive_scan_array_kernelILj6ELj32ELN6hipcub18BlockScanAlgorithmE1EfEvPT2_
    .private_segment_fixed_size: 0
    .sgpr_count:     11
    .sgpr_spill_count: 0
    .symbol:         _Z27inclusive_scan_array_kernelILj6ELj32ELN6hipcub18BlockScanAlgorithmE1EfEvPT2_.kd
    .uniform_work_group_size: 1
    .uses_dynamic_stack: false
    .vgpr_count:     40
    .vgpr_spill_count: 0
    .wavefront_size: 64
  - .agpr_count:     0
    .args:
      - .address_space:  global
        .offset:         0
        .size:           8
        .value_kind:     global_buffer
    .group_segment_fixed_size: 2
    .kernarg_segment_align: 8
    .kernarg_segment_size: 8
    .language:       OpenCL C
    .language_version:
      - 2
      - 0
    .max_flat_workgroup_size: 16
    .name:           _Z27inclusive_scan_array_kernelILj16ELj5ELN6hipcub18BlockScanAlgorithmE0E12hip_bfloat16EvPT2_
    .private_segment_fixed_size: 0
    .sgpr_count:     11
    .sgpr_spill_count: 0
    .symbol:         _Z27inclusive_scan_array_kernelILj16ELj5ELN6hipcub18BlockScanAlgorithmE0E12hip_bfloat16EvPT2_.kd
    .uniform_work_group_size: 1
    .uses_dynamic_stack: false
    .vgpr_count:     25
    .vgpr_spill_count: 0
    .wavefront_size: 64
  - .agpr_count:     0
    .args:
      - .address_space:  global
        .offset:         0
        .size:           8
        .value_kind:     global_buffer
    .group_segment_fixed_size: 4
    .kernarg_segment_align: 8
    .kernarg_segment_size: 8
    .language:       OpenCL C
    .language_version:
      - 2
      - 0
    .max_flat_workgroup_size: 65
    .name:           _Z27inclusive_scan_array_kernelILj65ELj5ELN6hipcub18BlockScanAlgorithmE0E6__halfEvPT2_
    .private_segment_fixed_size: 0
    .sgpr_count:     11
    .sgpr_spill_count: 0
    .symbol:         _Z27inclusive_scan_array_kernelILj65ELj5ELN6hipcub18BlockScanAlgorithmE0E6__halfEvPT2_.kd
    .uniform_work_group_size: 1
    .uses_dynamic_stack: false
    .vgpr_count:     23
    .vgpr_spill_count: 0
    .wavefront_size: 64
  - .agpr_count:     0
    .args:
      - .address_space:  global
        .offset:         0
        .size:           8
        .value_kind:     global_buffer
    .group_segment_fixed_size: 16
    .kernarg_segment_align: 8
    .kernarg_segment_size: 8
    .language:       OpenCL C
    .language_version:
      - 2
      - 0
    .max_flat_workgroup_size: 255
    .name:           _Z27inclusive_scan_array_kernelILj255ELj15ELN6hipcub18BlockScanAlgorithmE0EfEvPT2_
    .private_segment_fixed_size: 0
    .sgpr_count:     11
    .sgpr_spill_count: 0
    .symbol:         _Z27inclusive_scan_array_kernelILj255ELj15ELN6hipcub18BlockScanAlgorithmE0EfEvPT2_.kd
    .uniform_work_group_size: 1
    .uses_dynamic_stack: false
    .vgpr_count:     53
    .vgpr_spill_count: 0
    .wavefront_size: 64
  - .agpr_count:     0
    .args:
      - .address_space:  global
        .offset:         0
        .size:           8
        .value_kind:     global_buffer
    .group_segment_fixed_size: 12
    .kernarg_segment_align: 8
    .kernarg_segment_size: 8
    .language:       OpenCL C
    .language_version:
      - 2
      - 0
    .max_flat_workgroup_size: 162
    .name:           _Z27inclusive_scan_array_kernelILj162ELj7ELN6hipcub18BlockScanAlgorithmE0EfEvPT2_
    .private_segment_fixed_size: 0
    .sgpr_count:     11
    .sgpr_spill_count: 0
    .symbol:         _Z27inclusive_scan_array_kernelILj162ELj7ELN6hipcub18BlockScanAlgorithmE0EfEvPT2_.kd
    .uniform_work_group_size: 1
    .uses_dynamic_stack: false
    .vgpr_count:     29
    .vgpr_spill_count: 0
    .wavefront_size: 64
  - .agpr_count:     0
    .args:
      - .address_space:  global
        .offset:         0
        .size:           8
        .value_kind:     global_buffer
    .group_segment_fixed_size: 8
    .kernarg_segment_align: 8
    .kernarg_segment_size: 8
    .language:       OpenCL C
    .language_version:
      - 2
      - 0
    .max_flat_workgroup_size: 65
    .name:           _Z27inclusive_scan_array_kernelILj65ELj5ELN6hipcub18BlockScanAlgorithmE0EfEvPT2_
    .private_segment_fixed_size: 0
    .sgpr_count:     11
    .sgpr_spill_count: 0
    .symbol:         _Z27inclusive_scan_array_kernelILj65ELj5ELN6hipcub18BlockScanAlgorithmE0EfEvPT2_.kd
    .uniform_work_group_size: 1
    .uses_dynamic_stack: false
    .vgpr_count:     23
    .vgpr_spill_count: 0
    .wavefront_size: 64
  - .agpr_count:     0
    .args:
      - .address_space:  global
        .offset:         0
        .size:           8
        .value_kind:     global_buffer
    .group_segment_fixed_size: 4
    .kernarg_segment_align: 8
    .kernarg_segment_size: 8
    .language:       OpenCL C
    .language_version:
      - 2
      - 0
    .max_flat_workgroup_size: 37
    .name:           _Z27inclusive_scan_array_kernelILj37ELj2ELN6hipcub18BlockScanAlgorithmE0EfEvPT2_
    .private_segment_fixed_size: 0
    .sgpr_count:     11
    .sgpr_spill_count: 0
    .symbol:         _Z27inclusive_scan_array_kernelILj37ELj2ELN6hipcub18BlockScanAlgorithmE0EfEvPT2_.kd
    .uniform_work_group_size: 1
    .uses_dynamic_stack: false
    .vgpr_count:     11
    .vgpr_spill_count: 0
    .wavefront_size: 64
  - .agpr_count:     0
    .args:
      - .address_space:  global
        .offset:         0
        .size:           8
        .value_kind:     global_buffer
    .group_segment_fixed_size: 32
    .kernarg_segment_align: 8
    .kernarg_segment_size: 8
    .language:       OpenCL C
    .language_version:
      - 2
      - 0
    .max_flat_workgroup_size: 512
    .name:           _Z27inclusive_scan_array_kernelILj512ELj4ELN6hipcub18BlockScanAlgorithmE0EiEvPT2_
    .private_segment_fixed_size: 0
    .sgpr_count:     11
    .sgpr_spill_count: 0
    .symbol:         _Z27inclusive_scan_array_kernelILj512ELj4ELN6hipcub18BlockScanAlgorithmE0EiEvPT2_.kd
    .uniform_work_group_size: 1
    .uses_dynamic_stack: false
    .vgpr_count:     15
    .vgpr_spill_count: 0
    .wavefront_size: 64
  - .agpr_count:     0
    .args:
      - .address_space:  global
        .offset:         0
        .size:           8
        .value_kind:     global_buffer
    .group_segment_fixed_size: 16
    .kernarg_segment_align: 8
    .kernarg_segment_size: 8
    .language:       OpenCL C
    .language_version:
      - 2
      - 0
    .max_flat_workgroup_size: 256
    .name:           _Z27inclusive_scan_array_kernelILj256ELj3ELN6hipcub18BlockScanAlgorithmE0EjEvPT2_
    .private_segment_fixed_size: 0
    .sgpr_count:     11
    .sgpr_spill_count: 0
    .symbol:         _Z27inclusive_scan_array_kernelILj256ELj3ELN6hipcub18BlockScanAlgorithmE0EjEvPT2_.kd
    .uniform_work_group_size: 1
    .uses_dynamic_stack: false
    .vgpr_count:     17
    .vgpr_spill_count: 0
    .wavefront_size: 64
  - .agpr_count:     0
    .args:
      - .address_space:  global
        .offset:         0
        .size:           8
        .value_kind:     global_buffer
    .group_segment_fixed_size: 4
    .kernarg_segment_align: 8
    .kernarg_segment_size: 8
    .language:       OpenCL C
    .language_version:
      - 2
      - 0
    .max_flat_workgroup_size: 32
    .name:           _Z27inclusive_scan_array_kernelILj32ELj2ELN6hipcub18BlockScanAlgorithmE0EfEvPT2_
    .private_segment_fixed_size: 0
    .sgpr_count:     11
    .sgpr_spill_count: 0
    .symbol:         _Z27inclusive_scan_array_kernelILj32ELj2ELN6hipcub18BlockScanAlgorithmE0EfEvPT2_.kd
    .uniform_work_group_size: 1
    .uses_dynamic_stack: false
    .vgpr_count:     11
    .vgpr_spill_count: 0
    .wavefront_size: 64
  - .agpr_count:     0
    .args:
      - .address_space:  global
        .offset:         0
        .size:           8
        .value_kind:     global_buffer
    .group_segment_fixed_size: 4
    .kernarg_segment_align: 8
    .kernarg_segment_size: 8
    .language:       OpenCL C
    .language_version:
      - 2
      - 0
    .max_flat_workgroup_size: 6
    .name:           _Z27inclusive_scan_array_kernelILj6ELj32ELN6hipcub18BlockScanAlgorithmE0EfEvPT2_
    .private_segment_fixed_size: 0
    .sgpr_count:     11
    .sgpr_spill_count: 0
    .symbol:         _Z27inclusive_scan_array_kernelILj6ELj32ELN6hipcub18BlockScanAlgorithmE0EfEvPT2_.kd
    .uniform_work_group_size: 1
    .uses_dynamic_stack: false
    .vgpr_count:     40
    .vgpr_spill_count: 0
    .wavefront_size: 64
  - .agpr_count:     0
    .args:
      - .address_space:  global
        .offset:         0
        .size:           8
        .value_kind:     global_buffer
      - .address_space:  global
        .offset:         8
        .size:           8
        .value_kind:     global_buffer
    .group_segment_fixed_size: 2
    .kernarg_segment_align: 8
    .kernarg_segment_size: 16
    .language:       OpenCL C
    .language_version:
      - 2
      - 0
    .max_flat_workgroup_size: 16
    .name:           _Z34inclusive_scan_reduce_array_kernelILj16ELj5ELN6hipcub18BlockScanAlgorithmE1E12hip_bfloat16EvPT2_S4_
    .private_segment_fixed_size: 0
    .sgpr_count:     14
    .sgpr_spill_count: 0
    .symbol:         _Z34inclusive_scan_reduce_array_kernelILj16ELj5ELN6hipcub18BlockScanAlgorithmE1E12hip_bfloat16EvPT2_S4_.kd
    .uniform_work_group_size: 1
    .uses_dynamic_stack: false
    .vgpr_count:     25
    .vgpr_spill_count: 0
    .wavefront_size: 64
  - .agpr_count:     0
    .args:
      - .address_space:  global
        .offset:         0
        .size:           8
        .value_kind:     global_buffer
      - .address_space:  global
        .offset:         8
        .size:           8
        .value_kind:     global_buffer
    .group_segment_fixed_size: 264
    .kernarg_segment_align: 8
    .kernarg_segment_size: 16
    .language:       OpenCL C
    .language_version:
      - 2
      - 0
    .max_flat_workgroup_size: 65
    .name:           _Z34inclusive_scan_reduce_array_kernelILj65ELj5ELN6hipcub18BlockScanAlgorithmE1E6__halfEvPT2_S4_
    .private_segment_fixed_size: 0
    .sgpr_count:     12
    .sgpr_spill_count: 0
    .symbol:         _Z34inclusive_scan_reduce_array_kernelILj65ELj5ELN6hipcub18BlockScanAlgorithmE1E6__halfEvPT2_S4_.kd
    .uniform_work_group_size: 1
    .uses_dynamic_stack: false
    .vgpr_count:     24
    .vgpr_spill_count: 0
    .wavefront_size: 64
  - .agpr_count:     0
    .args:
      - .address_space:  global
        .offset:         0
        .size:           8
        .value_kind:     global_buffer
      - .address_space:  global
        .offset:         8
        .size:           8
        .value_kind:     global_buffer
    .group_segment_fixed_size: 1056
    .kernarg_segment_align: 8
    .kernarg_segment_size: 16
    .language:       OpenCL C
    .language_version:
      - 2
      - 0
    .max_flat_workgroup_size: 255
    .name:           _Z34inclusive_scan_reduce_array_kernelILj255ELj15ELN6hipcub18BlockScanAlgorithmE1EfEvPT2_S3_
    .private_segment_fixed_size: 0
    .sgpr_count:     12
    .sgpr_spill_count: 0
    .symbol:         _Z34inclusive_scan_reduce_array_kernelILj255ELj15ELN6hipcub18BlockScanAlgorithmE1EfEvPT2_S3_.kd
    .uniform_work_group_size: 1
    .uses_dynamic_stack: false
    .vgpr_count:     56
    .vgpr_spill_count: 0
    .wavefront_size: 64
  - .agpr_count:     0
    .args:
      - .address_space:  global
        .offset:         0
        .size:           8
        .value_kind:     global_buffer
      - .address_space:  global
        .offset:         8
        .size:           8
        .value_kind:     global_buffer
    .group_segment_fixed_size: 768
    .kernarg_segment_align: 8
    .kernarg_segment_size: 16
    .language:       OpenCL C
    .language_version:
      - 2
      - 0
    .max_flat_workgroup_size: 162
    .name:           _Z34inclusive_scan_reduce_array_kernelILj162ELj7ELN6hipcub18BlockScanAlgorithmE1EfEvPT2_S3_
    .private_segment_fixed_size: 0
    .sgpr_count:     12
    .sgpr_spill_count: 0
    .symbol:         _Z34inclusive_scan_reduce_array_kernelILj162ELj7ELN6hipcub18BlockScanAlgorithmE1EfEvPT2_S3_.kd
    .uniform_work_group_size: 1
    .uses_dynamic_stack: false
    .vgpr_count:     32
    .vgpr_spill_count: 0
    .wavefront_size: 64
  - .agpr_count:     0
    .args:
      - .address_space:  global
        .offset:         0
        .size:           8
        .value_kind:     global_buffer
      - .address_space:  global
        .offset:         8
        .size:           8
        .value_kind:     global_buffer
    .group_segment_fixed_size: 528
    .kernarg_segment_align: 8
    .kernarg_segment_size: 16
    .language:       OpenCL C
    .language_version:
      - 2
      - 0
    .max_flat_workgroup_size: 65
    .name:           _Z34inclusive_scan_reduce_array_kernelILj65ELj5ELN6hipcub18BlockScanAlgorithmE1EfEvPT2_S3_
    .private_segment_fixed_size: 0
    .sgpr_count:     12
    .sgpr_spill_count: 0
    .symbol:         _Z34inclusive_scan_reduce_array_kernelILj65ELj5ELN6hipcub18BlockScanAlgorithmE1EfEvPT2_S3_.kd
    .uniform_work_group_size: 1
    .uses_dynamic_stack: false
    .vgpr_count:     24
    .vgpr_spill_count: 0
    .wavefront_size: 64
  - .agpr_count:     0
    .args:
      - .address_space:  global
        .offset:         0
        .size:           8
        .value_kind:     global_buffer
      - .address_space:  global
        .offset:         8
        .size:           8
        .value_kind:     global_buffer
    .group_segment_fixed_size: 4
    .kernarg_segment_align: 8
    .kernarg_segment_size: 16
    .language:       OpenCL C
    .language_version:
      - 2
      - 0
    .max_flat_workgroup_size: 37
    .name:           _Z34inclusive_scan_reduce_array_kernelILj37ELj2ELN6hipcub18BlockScanAlgorithmE1EfEvPT2_S3_
    .private_segment_fixed_size: 0
    .sgpr_count:     12
    .sgpr_spill_count: 0
    .symbol:         _Z34inclusive_scan_reduce_array_kernelILj37ELj2ELN6hipcub18BlockScanAlgorithmE1EfEvPT2_S3_.kd
    .uniform_work_group_size: 1
    .uses_dynamic_stack: false
    .vgpr_count:     11
    .vgpr_spill_count: 0
    .wavefront_size: 64
  - .agpr_count:     0
    .args:
      - .address_space:  global
        .offset:         0
        .size:           8
        .value_kind:     global_buffer
      - .address_space:  global
        .offset:         8
        .size:           8
        .value_kind:     global_buffer
    .group_segment_fixed_size: 2112
    .kernarg_segment_align: 8
    .kernarg_segment_size: 16
    .language:       OpenCL C
    .language_version:
      - 2
      - 0
    .max_flat_workgroup_size: 512
    .name:           _Z34inclusive_scan_reduce_array_kernelILj512ELj4ELN6hipcub18BlockScanAlgorithmE1EjEvPT2_S3_
    .private_segment_fixed_size: 0
    .sgpr_count:     12
    .sgpr_spill_count: 0
    .symbol:         _Z34inclusive_scan_reduce_array_kernelILj512ELj4ELN6hipcub18BlockScanAlgorithmE1EjEvPT2_S3_.kd
    .uniform_work_group_size: 1
    .uses_dynamic_stack: false
    .vgpr_count:     22
    .vgpr_spill_count: 0
    .wavefront_size: 64
  - .agpr_count:     0
    .args:
      - .address_space:  global
        .offset:         0
        .size:           8
        .value_kind:     global_buffer
      - .address_space:  global
        .offset:         8
        .size:           8
        .value_kind:     global_buffer
    .group_segment_fixed_size: 1056
    .kernarg_segment_align: 8
    .kernarg_segment_size: 16
    .language:       OpenCL C
    .language_version:
      - 2
      - 0
    .max_flat_workgroup_size: 256
    .name:           _Z34inclusive_scan_reduce_array_kernelILj256ELj3ELN6hipcub18BlockScanAlgorithmE1EiEvPT2_S3_
    .private_segment_fixed_size: 0
    .sgpr_count:     12
    .sgpr_spill_count: 0
    .symbol:         _Z34inclusive_scan_reduce_array_kernelILj256ELj3ELN6hipcub18BlockScanAlgorithmE1EiEvPT2_S3_.kd
    .uniform_work_group_size: 1
    .uses_dynamic_stack: false
    .vgpr_count:     21
    .vgpr_spill_count: 0
    .wavefront_size: 64
  - .agpr_count:     0
    .args:
      - .address_space:  global
        .offset:         0
        .size:           8
        .value_kind:     global_buffer
      - .address_space:  global
        .offset:         8
        .size:           8
        .value_kind:     global_buffer
    .group_segment_fixed_size: 4
    .kernarg_segment_align: 8
    .kernarg_segment_size: 16
    .language:       OpenCL C
    .language_version:
      - 2
      - 0
    .max_flat_workgroup_size: 32
    .name:           _Z34inclusive_scan_reduce_array_kernelILj32ELj2ELN6hipcub18BlockScanAlgorithmE1EfEvPT2_S3_
    .private_segment_fixed_size: 0
    .sgpr_count:     12
    .sgpr_spill_count: 0
    .symbol:         _Z34inclusive_scan_reduce_array_kernelILj32ELj2ELN6hipcub18BlockScanAlgorithmE1EfEvPT2_S3_.kd
    .uniform_work_group_size: 1
    .uses_dynamic_stack: false
    .vgpr_count:     11
    .vgpr_spill_count: 0
    .wavefront_size: 64
  - .agpr_count:     0
    .args:
      - .address_space:  global
        .offset:         0
        .size:           8
        .value_kind:     global_buffer
      - .address_space:  global
        .offset:         8
        .size:           8
        .value_kind:     global_buffer
    .group_segment_fixed_size: 4
    .kernarg_segment_align: 8
    .kernarg_segment_size: 16
    .language:       OpenCL C
    .language_version:
      - 2
      - 0
    .max_flat_workgroup_size: 6
    .name:           _Z34inclusive_scan_reduce_array_kernelILj6ELj32ELN6hipcub18BlockScanAlgorithmE1EfEvPT2_S3_
    .private_segment_fixed_size: 0
    .sgpr_count:     12
    .sgpr_spill_count: 0
    .symbol:         _Z34inclusive_scan_reduce_array_kernelILj6ELj32ELN6hipcub18BlockScanAlgorithmE1EfEvPT2_S3_.kd
    .uniform_work_group_size: 1
    .uses_dynamic_stack: false
    .vgpr_count:     40
    .vgpr_spill_count: 0
    .wavefront_size: 64
  - .agpr_count:     0
    .args:
      - .address_space:  global
        .offset:         0
        .size:           8
        .value_kind:     global_buffer
      - .address_space:  global
        .offset:         8
        .size:           8
        .value_kind:     global_buffer
    .group_segment_fixed_size: 2
    .kernarg_segment_align: 8
    .kernarg_segment_size: 16
    .language:       OpenCL C
    .language_version:
      - 2
      - 0
    .max_flat_workgroup_size: 16
    .name:           _Z34inclusive_scan_reduce_array_kernelILj16ELj5ELN6hipcub18BlockScanAlgorithmE0E12hip_bfloat16EvPT2_S4_
    .private_segment_fixed_size: 0
    .sgpr_count:     14
    .sgpr_spill_count: 0
    .symbol:         _Z34inclusive_scan_reduce_array_kernelILj16ELj5ELN6hipcub18BlockScanAlgorithmE0E12hip_bfloat16EvPT2_S4_.kd
    .uniform_work_group_size: 1
    .uses_dynamic_stack: false
    .vgpr_count:     25
    .vgpr_spill_count: 0
    .wavefront_size: 64
  - .agpr_count:     0
    .args:
      - .address_space:  global
        .offset:         0
        .size:           8
        .value_kind:     global_buffer
      - .address_space:  global
        .offset:         8
        .size:           8
        .value_kind:     global_buffer
    .group_segment_fixed_size: 4
    .kernarg_segment_align: 8
    .kernarg_segment_size: 16
    .language:       OpenCL C
    .language_version:
      - 2
      - 0
    .max_flat_workgroup_size: 65
    .name:           _Z34inclusive_scan_reduce_array_kernelILj65ELj5ELN6hipcub18BlockScanAlgorithmE0E6__halfEvPT2_S4_
    .private_segment_fixed_size: 0
    .sgpr_count:     12
    .sgpr_spill_count: 0
    .symbol:         _Z34inclusive_scan_reduce_array_kernelILj65ELj5ELN6hipcub18BlockScanAlgorithmE0E6__halfEvPT2_S4_.kd
    .uniform_work_group_size: 1
    .uses_dynamic_stack: false
    .vgpr_count:     23
    .vgpr_spill_count: 0
    .wavefront_size: 64
  - .agpr_count:     0
    .args:
      - .address_space:  global
        .offset:         0
        .size:           8
        .value_kind:     global_buffer
      - .address_space:  global
        .offset:         8
        .size:           8
        .value_kind:     global_buffer
    .group_segment_fixed_size: 16
    .kernarg_segment_align: 8
    .kernarg_segment_size: 16
    .language:       OpenCL C
    .language_version:
      - 2
      - 0
    .max_flat_workgroup_size: 255
    .name:           _Z34inclusive_scan_reduce_array_kernelILj255ELj15ELN6hipcub18BlockScanAlgorithmE0EfEvPT2_S3_
    .private_segment_fixed_size: 0
    .sgpr_count:     12
    .sgpr_spill_count: 0
    .symbol:         _Z34inclusive_scan_reduce_array_kernelILj255ELj15ELN6hipcub18BlockScanAlgorithmE0EfEvPT2_S3_.kd
    .uniform_work_group_size: 1
    .uses_dynamic_stack: false
    .vgpr_count:     53
    .vgpr_spill_count: 0
    .wavefront_size: 64
  - .agpr_count:     0
    .args:
      - .address_space:  global
        .offset:         0
        .size:           8
        .value_kind:     global_buffer
      - .address_space:  global
        .offset:         8
        .size:           8
        .value_kind:     global_buffer
    .group_segment_fixed_size: 12
    .kernarg_segment_align: 8
    .kernarg_segment_size: 16
    .language:       OpenCL C
    .language_version:
      - 2
      - 0
    .max_flat_workgroup_size: 162
    .name:           _Z34inclusive_scan_reduce_array_kernelILj162ELj7ELN6hipcub18BlockScanAlgorithmE0EfEvPT2_S3_
    .private_segment_fixed_size: 0
    .sgpr_count:     12
    .sgpr_spill_count: 0
    .symbol:         _Z34inclusive_scan_reduce_array_kernelILj162ELj7ELN6hipcub18BlockScanAlgorithmE0EfEvPT2_S3_.kd
    .uniform_work_group_size: 1
    .uses_dynamic_stack: false
    .vgpr_count:     29
    .vgpr_spill_count: 0
    .wavefront_size: 64
  - .agpr_count:     0
    .args:
      - .address_space:  global
        .offset:         0
        .size:           8
        .value_kind:     global_buffer
      - .address_space:  global
        .offset:         8
        .size:           8
        .value_kind:     global_buffer
    .group_segment_fixed_size: 8
    .kernarg_segment_align: 8
    .kernarg_segment_size: 16
    .language:       OpenCL C
    .language_version:
      - 2
      - 0
    .max_flat_workgroup_size: 65
    .name:           _Z34inclusive_scan_reduce_array_kernelILj65ELj5ELN6hipcub18BlockScanAlgorithmE0EfEvPT2_S3_
    .private_segment_fixed_size: 0
    .sgpr_count:     12
    .sgpr_spill_count: 0
    .symbol:         _Z34inclusive_scan_reduce_array_kernelILj65ELj5ELN6hipcub18BlockScanAlgorithmE0EfEvPT2_S3_.kd
    .uniform_work_group_size: 1
    .uses_dynamic_stack: false
    .vgpr_count:     23
    .vgpr_spill_count: 0
    .wavefront_size: 64
  - .agpr_count:     0
    .args:
      - .address_space:  global
        .offset:         0
        .size:           8
        .value_kind:     global_buffer
      - .address_space:  global
        .offset:         8
        .size:           8
        .value_kind:     global_buffer
    .group_segment_fixed_size: 4
    .kernarg_segment_align: 8
    .kernarg_segment_size: 16
    .language:       OpenCL C
    .language_version:
      - 2
      - 0
    .max_flat_workgroup_size: 37
    .name:           _Z34inclusive_scan_reduce_array_kernelILj37ELj2ELN6hipcub18BlockScanAlgorithmE0EfEvPT2_S3_
    .private_segment_fixed_size: 0
    .sgpr_count:     12
    .sgpr_spill_count: 0
    .symbol:         _Z34inclusive_scan_reduce_array_kernelILj37ELj2ELN6hipcub18BlockScanAlgorithmE0EfEvPT2_S3_.kd
    .uniform_work_group_size: 1
    .uses_dynamic_stack: false
    .vgpr_count:     11
    .vgpr_spill_count: 0
    .wavefront_size: 64
  - .agpr_count:     0
    .args:
      - .address_space:  global
        .offset:         0
        .size:           8
        .value_kind:     global_buffer
      - .address_space:  global
        .offset:         8
        .size:           8
        .value_kind:     global_buffer
    .group_segment_fixed_size: 32
    .kernarg_segment_align: 8
    .kernarg_segment_size: 16
    .language:       OpenCL C
    .language_version:
      - 2
      - 0
    .max_flat_workgroup_size: 512
    .name:           _Z34inclusive_scan_reduce_array_kernelILj512ELj4ELN6hipcub18BlockScanAlgorithmE0EiEvPT2_S3_
    .private_segment_fixed_size: 0
    .sgpr_count:     12
    .sgpr_spill_count: 0
    .symbol:         _Z34inclusive_scan_reduce_array_kernelILj512ELj4ELN6hipcub18BlockScanAlgorithmE0EiEvPT2_S3_.kd
    .uniform_work_group_size: 1
    .uses_dynamic_stack: false
    .vgpr_count:     15
    .vgpr_spill_count: 0
    .wavefront_size: 64
  - .agpr_count:     0
    .args:
      - .address_space:  global
        .offset:         0
        .size:           8
        .value_kind:     global_buffer
      - .address_space:  global
        .offset:         8
        .size:           8
        .value_kind:     global_buffer
    .group_segment_fixed_size: 16
    .kernarg_segment_align: 8
    .kernarg_segment_size: 16
    .language:       OpenCL C
    .language_version:
      - 2
      - 0
    .max_flat_workgroup_size: 256
    .name:           _Z34inclusive_scan_reduce_array_kernelILj256ELj3ELN6hipcub18BlockScanAlgorithmE0EjEvPT2_S3_
    .private_segment_fixed_size: 0
    .sgpr_count:     12
    .sgpr_spill_count: 0
    .symbol:         _Z34inclusive_scan_reduce_array_kernelILj256ELj3ELN6hipcub18BlockScanAlgorithmE0EjEvPT2_S3_.kd
    .uniform_work_group_size: 1
    .uses_dynamic_stack: false
    .vgpr_count:     17
    .vgpr_spill_count: 0
    .wavefront_size: 64
  - .agpr_count:     0
    .args:
      - .address_space:  global
        .offset:         0
        .size:           8
        .value_kind:     global_buffer
      - .address_space:  global
        .offset:         8
        .size:           8
        .value_kind:     global_buffer
    .group_segment_fixed_size: 4
    .kernarg_segment_align: 8
    .kernarg_segment_size: 16
    .language:       OpenCL C
    .language_version:
      - 2
      - 0
    .max_flat_workgroup_size: 32
    .name:           _Z34inclusive_scan_reduce_array_kernelILj32ELj2ELN6hipcub18BlockScanAlgorithmE0EfEvPT2_S3_
    .private_segment_fixed_size: 0
    .sgpr_count:     12
    .sgpr_spill_count: 0
    .symbol:         _Z34inclusive_scan_reduce_array_kernelILj32ELj2ELN6hipcub18BlockScanAlgorithmE0EfEvPT2_S3_.kd
    .uniform_work_group_size: 1
    .uses_dynamic_stack: false
    .vgpr_count:     11
    .vgpr_spill_count: 0
    .wavefront_size: 64
  - .agpr_count:     0
    .args:
      - .address_space:  global
        .offset:         0
        .size:           8
        .value_kind:     global_buffer
      - .address_space:  global
        .offset:         8
        .size:           8
        .value_kind:     global_buffer
    .group_segment_fixed_size: 4
    .kernarg_segment_align: 8
    .kernarg_segment_size: 16
    .language:       OpenCL C
    .language_version:
      - 2
      - 0
    .max_flat_workgroup_size: 6
    .name:           _Z34inclusive_scan_reduce_array_kernelILj6ELj32ELN6hipcub18BlockScanAlgorithmE0EfEvPT2_S3_
    .private_segment_fixed_size: 0
    .sgpr_count:     12
    .sgpr_spill_count: 0
    .symbol:         _Z34inclusive_scan_reduce_array_kernelILj6ELj32ELN6hipcub18BlockScanAlgorithmE0EfEvPT2_S3_.kd
    .uniform_work_group_size: 1
    .uses_dynamic_stack: false
    .vgpr_count:     40
    .vgpr_spill_count: 0
    .wavefront_size: 64
  - .agpr_count:     0
    .args:
      - .address_space:  global
        .offset:         0
        .size:           8
        .value_kind:     global_buffer
      - .address_space:  global
        .offset:         8
        .size:           8
        .value_kind:     global_buffer
      - .offset:         16
        .size:           2
        .value_kind:     by_value
    .group_segment_fixed_size: 2
    .kernarg_segment_align: 8
    .kernarg_segment_size: 20
    .language:       OpenCL C
    .language_version:
      - 2
      - 0
    .max_flat_workgroup_size: 16
    .name:           _Z43inclusive_scan_array_prefix_callback_kernelILj16ELj5ELN6hipcub18BlockScanAlgorithmE1E12hip_bfloat16EvPT2_S4_S3_
    .private_segment_fixed_size: 0
    .sgpr_count:     14
    .sgpr_spill_count: 0
    .symbol:         _Z43inclusive_scan_array_prefix_callback_kernelILj16ELj5ELN6hipcub18BlockScanAlgorithmE1E12hip_bfloat16EvPT2_S4_S3_.kd
    .uniform_work_group_size: 1
    .uses_dynamic_stack: false
    .vgpr_count:     23
    .vgpr_spill_count: 0
    .wavefront_size: 64
  - .agpr_count:     0
    .args:
      - .address_space:  global
        .offset:         0
        .size:           8
        .value_kind:     global_buffer
      - .address_space:  global
        .offset:         8
        .size:           8
        .value_kind:     global_buffer
      - .offset:         16
        .size:           2
        .value_kind:     by_value
    .group_segment_fixed_size: 264
    .kernarg_segment_align: 8
    .kernarg_segment_size: 20
    .language:       OpenCL C
    .language_version:
      - 2
      - 0
    .max_flat_workgroup_size: 65
    .name:           _Z43inclusive_scan_array_prefix_callback_kernelILj65ELj5ELN6hipcub18BlockScanAlgorithmE1E6__halfEvPT2_S4_S3_
    .private_segment_fixed_size: 0
    .sgpr_count:     16
    .sgpr_spill_count: 0
    .symbol:         _Z43inclusive_scan_array_prefix_callback_kernelILj65ELj5ELN6hipcub18BlockScanAlgorithmE1E6__halfEvPT2_S4_S3_.kd
    .uniform_work_group_size: 1
    .uses_dynamic_stack: false
    .vgpr_count:     24
    .vgpr_spill_count: 0
    .wavefront_size: 64
  - .agpr_count:     0
    .args:
      - .address_space:  global
        .offset:         0
        .size:           8
        .value_kind:     global_buffer
      - .address_space:  global
        .offset:         8
        .size:           8
        .value_kind:     global_buffer
      - .offset:         16
        .size:           4
        .value_kind:     by_value
    .group_segment_fixed_size: 1056
    .kernarg_segment_align: 8
    .kernarg_segment_size: 20
    .language:       OpenCL C
    .language_version:
      - 2
      - 0
    .max_flat_workgroup_size: 255
    .name:           _Z43inclusive_scan_array_prefix_callback_kernelILj255ELj15ELN6hipcub18BlockScanAlgorithmE1EfEvPT2_S3_S2_
    .private_segment_fixed_size: 0
    .sgpr_count:     16
    .sgpr_spill_count: 0
    .symbol:         _Z43inclusive_scan_array_prefix_callback_kernelILj255ELj15ELN6hipcub18BlockScanAlgorithmE1EfEvPT2_S3_S2_.kd
    .uniform_work_group_size: 1
    .uses_dynamic_stack: false
    .vgpr_count:     56
    .vgpr_spill_count: 0
    .wavefront_size: 64
  - .agpr_count:     0
    .args:
      - .address_space:  global
        .offset:         0
        .size:           8
        .value_kind:     global_buffer
      - .address_space:  global
        .offset:         8
        .size:           8
        .value_kind:     global_buffer
      - .offset:         16
        .size:           4
        .value_kind:     by_value
    .group_segment_fixed_size: 768
    .kernarg_segment_align: 8
    .kernarg_segment_size: 20
    .language:       OpenCL C
    .language_version:
      - 2
      - 0
    .max_flat_workgroup_size: 162
    .name:           _Z43inclusive_scan_array_prefix_callback_kernelILj162ELj7ELN6hipcub18BlockScanAlgorithmE1EfEvPT2_S3_S2_
    .private_segment_fixed_size: 0
    .sgpr_count:     16
    .sgpr_spill_count: 0
    .symbol:         _Z43inclusive_scan_array_prefix_callback_kernelILj162ELj7ELN6hipcub18BlockScanAlgorithmE1EfEvPT2_S3_S2_.kd
    .uniform_work_group_size: 1
    .uses_dynamic_stack: false
    .vgpr_count:     32
    .vgpr_spill_count: 0
    .wavefront_size: 64
  - .agpr_count:     0
    .args:
      - .address_space:  global
        .offset:         0
        .size:           8
        .value_kind:     global_buffer
      - .address_space:  global
        .offset:         8
        .size:           8
        .value_kind:     global_buffer
      - .offset:         16
        .size:           4
        .value_kind:     by_value
    .group_segment_fixed_size: 528
    .kernarg_segment_align: 8
    .kernarg_segment_size: 20
    .language:       OpenCL C
    .language_version:
      - 2
      - 0
    .max_flat_workgroup_size: 65
    .name:           _Z43inclusive_scan_array_prefix_callback_kernelILj65ELj5ELN6hipcub18BlockScanAlgorithmE1EfEvPT2_S3_S2_
    .private_segment_fixed_size: 0
    .sgpr_count:     16
    .sgpr_spill_count: 0
    .symbol:         _Z43inclusive_scan_array_prefix_callback_kernelILj65ELj5ELN6hipcub18BlockScanAlgorithmE1EfEvPT2_S3_S2_.kd
    .uniform_work_group_size: 1
    .uses_dynamic_stack: false
    .vgpr_count:     24
    .vgpr_spill_count: 0
    .wavefront_size: 64
  - .agpr_count:     0
    .args:
      - .address_space:  global
        .offset:         0
        .size:           8
        .value_kind:     global_buffer
      - .address_space:  global
        .offset:         8
        .size:           8
        .value_kind:     global_buffer
      - .offset:         16
        .size:           4
        .value_kind:     by_value
    .group_segment_fixed_size: 4
    .kernarg_segment_align: 8
    .kernarg_segment_size: 20
    .language:       OpenCL C
    .language_version:
      - 2
      - 0
    .max_flat_workgroup_size: 37
    .name:           _Z43inclusive_scan_array_prefix_callback_kernelILj37ELj2ELN6hipcub18BlockScanAlgorithmE1EfEvPT2_S3_S2_
    .private_segment_fixed_size: 0
    .sgpr_count:     12
    .sgpr_spill_count: 0
    .symbol:         _Z43inclusive_scan_array_prefix_callback_kernelILj37ELj2ELN6hipcub18BlockScanAlgorithmE1EfEvPT2_S3_S2_.kd
    .uniform_work_group_size: 1
    .uses_dynamic_stack: false
    .vgpr_count:     11
    .vgpr_spill_count: 0
    .wavefront_size: 64
  - .agpr_count:     0
    .args:
      - .address_space:  global
        .offset:         0
        .size:           8
        .value_kind:     global_buffer
      - .address_space:  global
        .offset:         8
        .size:           8
        .value_kind:     global_buffer
      - .offset:         16
        .size:           4
        .value_kind:     by_value
    .group_segment_fixed_size: 2112
    .kernarg_segment_align: 8
    .kernarg_segment_size: 20
    .language:       OpenCL C
    .language_version:
      - 2
      - 0
    .max_flat_workgroup_size: 512
    .name:           _Z43inclusive_scan_array_prefix_callback_kernelILj512ELj4ELN6hipcub18BlockScanAlgorithmE1EjEvPT2_S3_S2_
    .private_segment_fixed_size: 0
    .sgpr_count:     16
    .sgpr_spill_count: 0
    .symbol:         _Z43inclusive_scan_array_prefix_callback_kernelILj512ELj4ELN6hipcub18BlockScanAlgorithmE1EjEvPT2_S3_S2_.kd
    .uniform_work_group_size: 1
    .uses_dynamic_stack: false
    .vgpr_count:     22
    .vgpr_spill_count: 0
    .wavefront_size: 64
  - .agpr_count:     0
    .args:
      - .address_space:  global
        .offset:         0
        .size:           8
        .value_kind:     global_buffer
      - .address_space:  global
        .offset:         8
        .size:           8
        .value_kind:     global_buffer
      - .offset:         16
        .size:           4
        .value_kind:     by_value
    .group_segment_fixed_size: 1056
    .kernarg_segment_align: 8
    .kernarg_segment_size: 20
    .language:       OpenCL C
    .language_version:
      - 2
      - 0
    .max_flat_workgroup_size: 256
    .name:           _Z43inclusive_scan_array_prefix_callback_kernelILj256ELj3ELN6hipcub18BlockScanAlgorithmE1EiEvPT2_S3_S2_
    .private_segment_fixed_size: 0
    .sgpr_count:     16
    .sgpr_spill_count: 0
    .symbol:         _Z43inclusive_scan_array_prefix_callback_kernelILj256ELj3ELN6hipcub18BlockScanAlgorithmE1EiEvPT2_S3_S2_.kd
    .uniform_work_group_size: 1
    .uses_dynamic_stack: false
    .vgpr_count:     21
    .vgpr_spill_count: 0
    .wavefront_size: 64
  - .agpr_count:     0
    .args:
      - .address_space:  global
        .offset:         0
        .size:           8
        .value_kind:     global_buffer
      - .address_space:  global
        .offset:         8
        .size:           8
        .value_kind:     global_buffer
      - .offset:         16
        .size:           4
        .value_kind:     by_value
    .group_segment_fixed_size: 4
    .kernarg_segment_align: 8
    .kernarg_segment_size: 20
    .language:       OpenCL C
    .language_version:
      - 2
      - 0
    .max_flat_workgroup_size: 32
    .name:           _Z43inclusive_scan_array_prefix_callback_kernelILj32ELj2ELN6hipcub18BlockScanAlgorithmE1EfEvPT2_S3_S2_
    .private_segment_fixed_size: 0
    .sgpr_count:     12
    .sgpr_spill_count: 0
    .symbol:         _Z43inclusive_scan_array_prefix_callback_kernelILj32ELj2ELN6hipcub18BlockScanAlgorithmE1EfEvPT2_S3_S2_.kd
    .uniform_work_group_size: 1
    .uses_dynamic_stack: false
    .vgpr_count:     11
    .vgpr_spill_count: 0
    .wavefront_size: 64
  - .agpr_count:     0
    .args:
      - .address_space:  global
        .offset:         0
        .size:           8
        .value_kind:     global_buffer
      - .address_space:  global
        .offset:         8
        .size:           8
        .value_kind:     global_buffer
      - .offset:         16
        .size:           4
        .value_kind:     by_value
    .group_segment_fixed_size: 4
    .kernarg_segment_align: 8
    .kernarg_segment_size: 20
    .language:       OpenCL C
    .language_version:
      - 2
      - 0
    .max_flat_workgroup_size: 6
    .name:           _Z43inclusive_scan_array_prefix_callback_kernelILj6ELj32ELN6hipcub18BlockScanAlgorithmE1EfEvPT2_S3_S2_
    .private_segment_fixed_size: 0
    .sgpr_count:     12
    .sgpr_spill_count: 0
    .symbol:         _Z43inclusive_scan_array_prefix_callback_kernelILj6ELj32ELN6hipcub18BlockScanAlgorithmE1EfEvPT2_S3_S2_.kd
    .uniform_work_group_size: 1
    .uses_dynamic_stack: false
    .vgpr_count:     40
    .vgpr_spill_count: 0
    .wavefront_size: 64
  - .agpr_count:     0
    .args:
      - .address_space:  global
        .offset:         0
        .size:           8
        .value_kind:     global_buffer
      - .address_space:  global
        .offset:         8
        .size:           8
        .value_kind:     global_buffer
      - .offset:         16
        .size:           2
        .value_kind:     by_value
    .group_segment_fixed_size: 2
    .kernarg_segment_align: 8
    .kernarg_segment_size: 20
    .language:       OpenCL C
    .language_version:
      - 2
      - 0
    .max_flat_workgroup_size: 16
    .name:           _Z43inclusive_scan_array_prefix_callback_kernelILj16ELj5ELN6hipcub18BlockScanAlgorithmE0E12hip_bfloat16EvPT2_S4_S3_
    .private_segment_fixed_size: 0
    .sgpr_count:     14
    .sgpr_spill_count: 0
    .symbol:         _Z43inclusive_scan_array_prefix_callback_kernelILj16ELj5ELN6hipcub18BlockScanAlgorithmE0E12hip_bfloat16EvPT2_S4_S3_.kd
    .uniform_work_group_size: 1
    .uses_dynamic_stack: false
    .vgpr_count:     23
    .vgpr_spill_count: 0
    .wavefront_size: 64
  - .agpr_count:     0
    .args:
      - .address_space:  global
        .offset:         0
        .size:           8
        .value_kind:     global_buffer
      - .address_space:  global
        .offset:         8
        .size:           8
        .value_kind:     global_buffer
      - .offset:         16
        .size:           2
        .value_kind:     by_value
    .group_segment_fixed_size: 4
    .kernarg_segment_align: 8
    .kernarg_segment_size: 20
    .language:       OpenCL C
    .language_version:
      - 2
      - 0
    .max_flat_workgroup_size: 65
    .name:           _Z43inclusive_scan_array_prefix_callback_kernelILj65ELj5ELN6hipcub18BlockScanAlgorithmE0E6__halfEvPT2_S4_S3_
    .private_segment_fixed_size: 0
    .sgpr_count:     16
    .sgpr_spill_count: 0
    .symbol:         _Z43inclusive_scan_array_prefix_callback_kernelILj65ELj5ELN6hipcub18BlockScanAlgorithmE0E6__halfEvPT2_S4_S3_.kd
    .uniform_work_group_size: 1
    .uses_dynamic_stack: false
    .vgpr_count:     23
    .vgpr_spill_count: 0
    .wavefront_size: 64
  - .agpr_count:     0
    .args:
      - .address_space:  global
        .offset:         0
        .size:           8
        .value_kind:     global_buffer
      - .address_space:  global
        .offset:         8
        .size:           8
        .value_kind:     global_buffer
      - .offset:         16
        .size:           4
        .value_kind:     by_value
    .group_segment_fixed_size: 16
    .kernarg_segment_align: 8
    .kernarg_segment_size: 20
    .language:       OpenCL C
    .language_version:
      - 2
      - 0
    .max_flat_workgroup_size: 255
    .name:           _Z43inclusive_scan_array_prefix_callback_kernelILj255ELj15ELN6hipcub18BlockScanAlgorithmE0EfEvPT2_S3_S2_
    .private_segment_fixed_size: 0
    .sgpr_count:     14
    .sgpr_spill_count: 0
    .symbol:         _Z43inclusive_scan_array_prefix_callback_kernelILj255ELj15ELN6hipcub18BlockScanAlgorithmE0EfEvPT2_S3_S2_.kd
    .uniform_work_group_size: 1
    .uses_dynamic_stack: false
    .vgpr_count:     53
    .vgpr_spill_count: 0
    .wavefront_size: 64
  - .agpr_count:     0
    .args:
      - .address_space:  global
        .offset:         0
        .size:           8
        .value_kind:     global_buffer
      - .address_space:  global
        .offset:         8
        .size:           8
        .value_kind:     global_buffer
      - .offset:         16
        .size:           4
        .value_kind:     by_value
    .group_segment_fixed_size: 12
    .kernarg_segment_align: 8
    .kernarg_segment_size: 20
    .language:       OpenCL C
    .language_version:
      - 2
      - 0
    .max_flat_workgroup_size: 162
    .name:           _Z43inclusive_scan_array_prefix_callback_kernelILj162ELj7ELN6hipcub18BlockScanAlgorithmE0EfEvPT2_S3_S2_
    .private_segment_fixed_size: 0
    .sgpr_count:     14
    .sgpr_spill_count: 0
    .symbol:         _Z43inclusive_scan_array_prefix_callback_kernelILj162ELj7ELN6hipcub18BlockScanAlgorithmE0EfEvPT2_S3_S2_.kd
    .uniform_work_group_size: 1
    .uses_dynamic_stack: false
    .vgpr_count:     29
    .vgpr_spill_count: 0
    .wavefront_size: 64
  - .agpr_count:     0
    .args:
      - .address_space:  global
        .offset:         0
        .size:           8
        .value_kind:     global_buffer
      - .address_space:  global
        .offset:         8
        .size:           8
        .value_kind:     global_buffer
      - .offset:         16
        .size:           4
        .value_kind:     by_value
    .group_segment_fixed_size: 8
    .kernarg_segment_align: 8
    .kernarg_segment_size: 20
    .language:       OpenCL C
    .language_version:
      - 2
      - 0
    .max_flat_workgroup_size: 65
    .name:           _Z43inclusive_scan_array_prefix_callback_kernelILj65ELj5ELN6hipcub18BlockScanAlgorithmE0EfEvPT2_S3_S2_
    .private_segment_fixed_size: 0
    .sgpr_count:     16
    .sgpr_spill_count: 0
    .symbol:         _Z43inclusive_scan_array_prefix_callback_kernelILj65ELj5ELN6hipcub18BlockScanAlgorithmE0EfEvPT2_S3_S2_.kd
    .uniform_work_group_size: 1
    .uses_dynamic_stack: false
    .vgpr_count:     23
    .vgpr_spill_count: 0
    .wavefront_size: 64
  - .agpr_count:     0
    .args:
      - .address_space:  global
        .offset:         0
        .size:           8
        .value_kind:     global_buffer
      - .address_space:  global
        .offset:         8
        .size:           8
        .value_kind:     global_buffer
      - .offset:         16
        .size:           4
        .value_kind:     by_value
    .group_segment_fixed_size: 4
    .kernarg_segment_align: 8
    .kernarg_segment_size: 20
    .language:       OpenCL C
    .language_version:
      - 2
      - 0
    .max_flat_workgroup_size: 37
    .name:           _Z43inclusive_scan_array_prefix_callback_kernelILj37ELj2ELN6hipcub18BlockScanAlgorithmE0EfEvPT2_S3_S2_
    .private_segment_fixed_size: 0
    .sgpr_count:     12
    .sgpr_spill_count: 0
    .symbol:         _Z43inclusive_scan_array_prefix_callback_kernelILj37ELj2ELN6hipcub18BlockScanAlgorithmE0EfEvPT2_S3_S2_.kd
    .uniform_work_group_size: 1
    .uses_dynamic_stack: false
    .vgpr_count:     11
    .vgpr_spill_count: 0
    .wavefront_size: 64
  - .agpr_count:     0
    .args:
      - .address_space:  global
        .offset:         0
        .size:           8
        .value_kind:     global_buffer
      - .address_space:  global
        .offset:         8
        .size:           8
        .value_kind:     global_buffer
      - .offset:         16
        .size:           4
        .value_kind:     by_value
    .group_segment_fixed_size: 32
    .kernarg_segment_align: 8
    .kernarg_segment_size: 20
    .language:       OpenCL C
    .language_version:
      - 2
      - 0
    .max_flat_workgroup_size: 512
    .name:           _Z43inclusive_scan_array_prefix_callback_kernelILj512ELj4ELN6hipcub18BlockScanAlgorithmE0EiEvPT2_S3_S2_
    .private_segment_fixed_size: 0
    .sgpr_count:     14
    .sgpr_spill_count: 0
    .symbol:         _Z43inclusive_scan_array_prefix_callback_kernelILj512ELj4ELN6hipcub18BlockScanAlgorithmE0EiEvPT2_S3_S2_.kd
    .uniform_work_group_size: 1
    .uses_dynamic_stack: false
    .vgpr_count:     15
    .vgpr_spill_count: 0
    .wavefront_size: 64
  - .agpr_count:     0
    .args:
      - .address_space:  global
        .offset:         0
        .size:           8
        .value_kind:     global_buffer
      - .address_space:  global
        .offset:         8
        .size:           8
        .value_kind:     global_buffer
      - .offset:         16
        .size:           4
        .value_kind:     by_value
    .group_segment_fixed_size: 16
    .kernarg_segment_align: 8
    .kernarg_segment_size: 20
    .language:       OpenCL C
    .language_version:
      - 2
      - 0
    .max_flat_workgroup_size: 256
    .name:           _Z43inclusive_scan_array_prefix_callback_kernelILj256ELj3ELN6hipcub18BlockScanAlgorithmE0EjEvPT2_S3_S2_
    .private_segment_fixed_size: 0
    .sgpr_count:     14
    .sgpr_spill_count: 0
    .symbol:         _Z43inclusive_scan_array_prefix_callback_kernelILj256ELj3ELN6hipcub18BlockScanAlgorithmE0EjEvPT2_S3_S2_.kd
    .uniform_work_group_size: 1
    .uses_dynamic_stack: false
    .vgpr_count:     17
    .vgpr_spill_count: 0
    .wavefront_size: 64
  - .agpr_count:     0
    .args:
      - .address_space:  global
        .offset:         0
        .size:           8
        .value_kind:     global_buffer
      - .address_space:  global
        .offset:         8
        .size:           8
        .value_kind:     global_buffer
      - .offset:         16
        .size:           4
        .value_kind:     by_value
    .group_segment_fixed_size: 4
    .kernarg_segment_align: 8
    .kernarg_segment_size: 20
    .language:       OpenCL C
    .language_version:
      - 2
      - 0
    .max_flat_workgroup_size: 32
    .name:           _Z43inclusive_scan_array_prefix_callback_kernelILj32ELj2ELN6hipcub18BlockScanAlgorithmE0EfEvPT2_S3_S2_
    .private_segment_fixed_size: 0
    .sgpr_count:     12
    .sgpr_spill_count: 0
    .symbol:         _Z43inclusive_scan_array_prefix_callback_kernelILj32ELj2ELN6hipcub18BlockScanAlgorithmE0EfEvPT2_S3_S2_.kd
    .uniform_work_group_size: 1
    .uses_dynamic_stack: false
    .vgpr_count:     11
    .vgpr_spill_count: 0
    .wavefront_size: 64
  - .agpr_count:     0
    .args:
      - .address_space:  global
        .offset:         0
        .size:           8
        .value_kind:     global_buffer
      - .address_space:  global
        .offset:         8
        .size:           8
        .value_kind:     global_buffer
      - .offset:         16
        .size:           4
        .value_kind:     by_value
    .group_segment_fixed_size: 4
    .kernarg_segment_align: 8
    .kernarg_segment_size: 20
    .language:       OpenCL C
    .language_version:
      - 2
      - 0
    .max_flat_workgroup_size: 6
    .name:           _Z43inclusive_scan_array_prefix_callback_kernelILj6ELj32ELN6hipcub18BlockScanAlgorithmE0EfEvPT2_S3_S2_
    .private_segment_fixed_size: 0
    .sgpr_count:     12
    .sgpr_spill_count: 0
    .symbol:         _Z43inclusive_scan_array_prefix_callback_kernelILj6ELj32ELN6hipcub18BlockScanAlgorithmE0EfEvPT2_S3_S2_.kd
    .uniform_work_group_size: 1
    .uses_dynamic_stack: false
    .vgpr_count:     40
    .vgpr_spill_count: 0
    .wavefront_size: 64
  - .agpr_count:     0
    .args:
      - .address_space:  global
        .offset:         0
        .size:           8
        .value_kind:     global_buffer
      - .offset:         8
        .size:           2
        .value_kind:     by_value
    .group_segment_fixed_size: 2
    .kernarg_segment_align: 8
    .kernarg_segment_size: 12
    .language:       OpenCL C
    .language_version:
      - 2
      - 0
    .max_flat_workgroup_size: 16
    .name:           _Z27exclusive_scan_array_kernelILj16ELj5ELN6hipcub18BlockScanAlgorithmE1E12hip_bfloat16EvPT2_S3_
    .private_segment_fixed_size: 0
    .sgpr_count:     11
    .sgpr_spill_count: 0
    .symbol:         _Z27exclusive_scan_array_kernelILj16ELj5ELN6hipcub18BlockScanAlgorithmE1E12hip_bfloat16EvPT2_S3_.kd
    .uniform_work_group_size: 1
    .uses_dynamic_stack: false
    .vgpr_count:     22
    .vgpr_spill_count: 0
    .wavefront_size: 64
  - .agpr_count:     0
    .args:
      - .address_space:  global
        .offset:         0
        .size:           8
        .value_kind:     global_buffer
      - .offset:         8
        .size:           2
        .value_kind:     by_value
    .group_segment_fixed_size: 264
    .kernarg_segment_align: 8
    .kernarg_segment_size: 12
    .language:       OpenCL C
    .language_version:
      - 2
      - 0
    .max_flat_workgroup_size: 65
    .name:           _Z27exclusive_scan_array_kernelILj65ELj5ELN6hipcub18BlockScanAlgorithmE1E6__halfEvPT2_S3_
    .private_segment_fixed_size: 0
    .sgpr_count:     11
    .sgpr_spill_count: 0
    .symbol:         _Z27exclusive_scan_array_kernelILj65ELj5ELN6hipcub18BlockScanAlgorithmE1E6__halfEvPT2_S3_.kd
    .uniform_work_group_size: 1
    .uses_dynamic_stack: false
    .vgpr_count:     23
    .vgpr_spill_count: 0
    .wavefront_size: 64
  - .agpr_count:     0
    .args:
      - .address_space:  global
        .offset:         0
        .size:           8
        .value_kind:     global_buffer
      - .offset:         8
        .size:           4
        .value_kind:     by_value
    .group_segment_fixed_size: 1056
    .kernarg_segment_align: 8
    .kernarg_segment_size: 12
    .language:       OpenCL C
    .language_version:
      - 2
      - 0
    .max_flat_workgroup_size: 255
    .name:           _Z27exclusive_scan_array_kernelILj255ELj15ELN6hipcub18BlockScanAlgorithmE1EfEvPT2_S2_
    .private_segment_fixed_size: 0
    .sgpr_count:     11
    .sgpr_spill_count: 0
    .symbol:         _Z27exclusive_scan_array_kernelILj255ELj15ELN6hipcub18BlockScanAlgorithmE1EfEvPT2_S2_.kd
    .uniform_work_group_size: 1
    .uses_dynamic_stack: false
    .vgpr_count:     55
    .vgpr_spill_count: 0
    .wavefront_size: 64
  - .agpr_count:     0
    .args:
      - .address_space:  global
        .offset:         0
        .size:           8
        .value_kind:     global_buffer
      - .offset:         8
        .size:           4
        .value_kind:     by_value
    .group_segment_fixed_size: 768
    .kernarg_segment_align: 8
    .kernarg_segment_size: 12
    .language:       OpenCL C
    .language_version:
      - 2
      - 0
    .max_flat_workgroup_size: 162
    .name:           _Z27exclusive_scan_array_kernelILj162ELj7ELN6hipcub18BlockScanAlgorithmE1EfEvPT2_S2_
    .private_segment_fixed_size: 0
    .sgpr_count:     11
    .sgpr_spill_count: 0
    .symbol:         _Z27exclusive_scan_array_kernelILj162ELj7ELN6hipcub18BlockScanAlgorithmE1EfEvPT2_S2_.kd
    .uniform_work_group_size: 1
    .uses_dynamic_stack: false
    .vgpr_count:     31
    .vgpr_spill_count: 0
    .wavefront_size: 64
  - .agpr_count:     0
    .args:
      - .address_space:  global
        .offset:         0
        .size:           8
        .value_kind:     global_buffer
      - .offset:         8
        .size:           4
        .value_kind:     by_value
    .group_segment_fixed_size: 528
    .kernarg_segment_align: 8
    .kernarg_segment_size: 12
    .language:       OpenCL C
    .language_version:
      - 2
      - 0
    .max_flat_workgroup_size: 65
    .name:           _Z27exclusive_scan_array_kernelILj65ELj5ELN6hipcub18BlockScanAlgorithmE1EfEvPT2_S2_
    .private_segment_fixed_size: 0
    .sgpr_count:     11
    .sgpr_spill_count: 0
    .symbol:         _Z27exclusive_scan_array_kernelILj65ELj5ELN6hipcub18BlockScanAlgorithmE1EfEvPT2_S2_.kd
    .uniform_work_group_size: 1
    .uses_dynamic_stack: false
    .vgpr_count:     23
    .vgpr_spill_count: 0
    .wavefront_size: 64
  - .agpr_count:     0
    .args:
      - .address_space:  global
        .offset:         0
        .size:           8
        .value_kind:     global_buffer
      - .offset:         8
        .size:           4
        .value_kind:     by_value
    .group_segment_fixed_size: 4
    .kernarg_segment_align: 8
    .kernarg_segment_size: 12
    .language:       OpenCL C
    .language_version:
      - 2
      - 0
    .max_flat_workgroup_size: 37
    .name:           _Z27exclusive_scan_array_kernelILj37ELj2ELN6hipcub18BlockScanAlgorithmE1EfEvPT2_S2_
    .private_segment_fixed_size: 0
    .sgpr_count:     11
    .sgpr_spill_count: 0
    .symbol:         _Z27exclusive_scan_array_kernelILj37ELj2ELN6hipcub18BlockScanAlgorithmE1EfEvPT2_S2_.kd
    .uniform_work_group_size: 1
    .uses_dynamic_stack: false
    .vgpr_count:     10
    .vgpr_spill_count: 0
    .wavefront_size: 64
  - .agpr_count:     0
    .args:
      - .address_space:  global
        .offset:         0
        .size:           8
        .value_kind:     global_buffer
      - .offset:         8
        .size:           4
        .value_kind:     by_value
    .group_segment_fixed_size: 2112
    .kernarg_segment_align: 8
    .kernarg_segment_size: 12
    .language:       OpenCL C
    .language_version:
      - 2
      - 0
    .max_flat_workgroup_size: 512
    .name:           _Z27exclusive_scan_array_kernelILj512ELj4ELN6hipcub18BlockScanAlgorithmE1EjEvPT2_S2_
    .private_segment_fixed_size: 0
    .sgpr_count:     11
    .sgpr_spill_count: 0
    .symbol:         _Z27exclusive_scan_array_kernelILj512ELj4ELN6hipcub18BlockScanAlgorithmE1EjEvPT2_S2_.kd
    .uniform_work_group_size: 1
    .uses_dynamic_stack: false
    .vgpr_count:     20
    .vgpr_spill_count: 0
    .wavefront_size: 64
  - .agpr_count:     0
    .args:
      - .address_space:  global
        .offset:         0
        .size:           8
        .value_kind:     global_buffer
      - .offset:         8
        .size:           4
        .value_kind:     by_value
    .group_segment_fixed_size: 1056
    .kernarg_segment_align: 8
    .kernarg_segment_size: 12
    .language:       OpenCL C
    .language_version:
      - 2
      - 0
    .max_flat_workgroup_size: 256
    .name:           _Z27exclusive_scan_array_kernelILj256ELj3ELN6hipcub18BlockScanAlgorithmE1EiEvPT2_S2_
    .private_segment_fixed_size: 0
    .sgpr_count:     11
    .sgpr_spill_count: 0
    .symbol:         _Z27exclusive_scan_array_kernelILj256ELj3ELN6hipcub18BlockScanAlgorithmE1EiEvPT2_S2_.kd
    .uniform_work_group_size: 1
    .uses_dynamic_stack: false
    .vgpr_count:     19
    .vgpr_spill_count: 0
    .wavefront_size: 64
  - .agpr_count:     0
    .args:
      - .address_space:  global
        .offset:         0
        .size:           8
        .value_kind:     global_buffer
      - .offset:         8
        .size:           4
        .value_kind:     by_value
    .group_segment_fixed_size: 4
    .kernarg_segment_align: 8
    .kernarg_segment_size: 12
    .language:       OpenCL C
    .language_version:
      - 2
      - 0
    .max_flat_workgroup_size: 32
    .name:           _Z27exclusive_scan_array_kernelILj32ELj2ELN6hipcub18BlockScanAlgorithmE1EfEvPT2_S2_
    .private_segment_fixed_size: 0
    .sgpr_count:     11
    .sgpr_spill_count: 0
    .symbol:         _Z27exclusive_scan_array_kernelILj32ELj2ELN6hipcub18BlockScanAlgorithmE1EfEvPT2_S2_.kd
    .uniform_work_group_size: 1
    .uses_dynamic_stack: false
    .vgpr_count:     10
    .vgpr_spill_count: 0
    .wavefront_size: 64
  - .agpr_count:     0
    .args:
      - .address_space:  global
        .offset:         0
        .size:           8
        .value_kind:     global_buffer
      - .offset:         8
        .size:           4
        .value_kind:     by_value
    .group_segment_fixed_size: 4
    .kernarg_segment_align: 8
    .kernarg_segment_size: 12
    .language:       OpenCL C
    .language_version:
      - 2
      - 0
    .max_flat_workgroup_size: 6
    .name:           _Z27exclusive_scan_array_kernelILj6ELj32ELN6hipcub18BlockScanAlgorithmE1EfEvPT2_S2_
    .private_segment_fixed_size: 0
    .sgpr_count:     11
    .sgpr_spill_count: 0
    .symbol:         _Z27exclusive_scan_array_kernelILj6ELj32ELN6hipcub18BlockScanAlgorithmE1EfEvPT2_S2_.kd
    .uniform_work_group_size: 1
    .uses_dynamic_stack: false
    .vgpr_count:     40
    .vgpr_spill_count: 0
    .wavefront_size: 64
  - .agpr_count:     0
    .args:
      - .address_space:  global
        .offset:         0
        .size:           8
        .value_kind:     global_buffer
      - .offset:         8
        .size:           2
        .value_kind:     by_value
    .group_segment_fixed_size: 2
    .kernarg_segment_align: 8
    .kernarg_segment_size: 12
    .language:       OpenCL C
    .language_version:
      - 2
      - 0
    .max_flat_workgroup_size: 16
    .name:           _Z27exclusive_scan_array_kernelILj16ELj5ELN6hipcub18BlockScanAlgorithmE0E12hip_bfloat16EvPT2_S3_
    .private_segment_fixed_size: 0
    .sgpr_count:     11
    .sgpr_spill_count: 0
    .symbol:         _Z27exclusive_scan_array_kernelILj16ELj5ELN6hipcub18BlockScanAlgorithmE0E12hip_bfloat16EvPT2_S3_.kd
    .uniform_work_group_size: 1
    .uses_dynamic_stack: false
    .vgpr_count:     22
    .vgpr_spill_count: 0
    .wavefront_size: 64
  - .agpr_count:     0
    .args:
      - .address_space:  global
        .offset:         0
        .size:           8
        .value_kind:     global_buffer
      - .offset:         8
        .size:           2
        .value_kind:     by_value
    .group_segment_fixed_size: 4
    .kernarg_segment_align: 8
    .kernarg_segment_size: 12
    .language:       OpenCL C
    .language_version:
      - 2
      - 0
    .max_flat_workgroup_size: 65
    .name:           _Z27exclusive_scan_array_kernelILj65ELj5ELN6hipcub18BlockScanAlgorithmE0E6__halfEvPT2_S3_
    .private_segment_fixed_size: 0
    .sgpr_count:     12
    .sgpr_spill_count: 0
    .symbol:         _Z27exclusive_scan_array_kernelILj65ELj5ELN6hipcub18BlockScanAlgorithmE0E6__halfEvPT2_S3_.kd
    .uniform_work_group_size: 1
    .uses_dynamic_stack: false
    .vgpr_count:     22
    .vgpr_spill_count: 0
    .wavefront_size: 64
  - .agpr_count:     0
    .args:
      - .address_space:  global
        .offset:         0
        .size:           8
        .value_kind:     global_buffer
      - .offset:         8
        .size:           4
        .value_kind:     by_value
    .group_segment_fixed_size: 16
    .kernarg_segment_align: 8
    .kernarg_segment_size: 12
    .language:       OpenCL C
    .language_version:
      - 2
      - 0
    .max_flat_workgroup_size: 255
    .name:           _Z27exclusive_scan_array_kernelILj255ELj15ELN6hipcub18BlockScanAlgorithmE0EfEvPT2_S2_
    .private_segment_fixed_size: 0
    .sgpr_count:     11
    .sgpr_spill_count: 0
    .symbol:         _Z27exclusive_scan_array_kernelILj255ELj15ELN6hipcub18BlockScanAlgorithmE0EfEvPT2_S2_.kd
    .uniform_work_group_size: 1
    .uses_dynamic_stack: false
    .vgpr_count:     52
    .vgpr_spill_count: 0
    .wavefront_size: 64
  - .agpr_count:     0
    .args:
      - .address_space:  global
        .offset:         0
        .size:           8
        .value_kind:     global_buffer
      - .offset:         8
        .size:           4
        .value_kind:     by_value
    .group_segment_fixed_size: 12
    .kernarg_segment_align: 8
    .kernarg_segment_size: 12
    .language:       OpenCL C
    .language_version:
      - 2
      - 0
    .max_flat_workgroup_size: 162
    .name:           _Z27exclusive_scan_array_kernelILj162ELj7ELN6hipcub18BlockScanAlgorithmE0EfEvPT2_S2_
    .private_segment_fixed_size: 0
    .sgpr_count:     11
    .sgpr_spill_count: 0
    .symbol:         _Z27exclusive_scan_array_kernelILj162ELj7ELN6hipcub18BlockScanAlgorithmE0EfEvPT2_S2_.kd
    .uniform_work_group_size: 1
    .uses_dynamic_stack: false
    .vgpr_count:     28
    .vgpr_spill_count: 0
    .wavefront_size: 64
  - .agpr_count:     0
    .args:
      - .address_space:  global
        .offset:         0
        .size:           8
        .value_kind:     global_buffer
      - .offset:         8
        .size:           4
        .value_kind:     by_value
    .group_segment_fixed_size: 8
    .kernarg_segment_align: 8
    .kernarg_segment_size: 12
    .language:       OpenCL C
    .language_version:
      - 2
      - 0
    .max_flat_workgroup_size: 65
    .name:           _Z27exclusive_scan_array_kernelILj65ELj5ELN6hipcub18BlockScanAlgorithmE0EfEvPT2_S2_
    .private_segment_fixed_size: 0
    .sgpr_count:     11
    .sgpr_spill_count: 0
    .symbol:         _Z27exclusive_scan_array_kernelILj65ELj5ELN6hipcub18BlockScanAlgorithmE0EfEvPT2_S2_.kd
    .uniform_work_group_size: 1
    .uses_dynamic_stack: false
    .vgpr_count:     22
    .vgpr_spill_count: 0
    .wavefront_size: 64
  - .agpr_count:     0
    .args:
      - .address_space:  global
        .offset:         0
        .size:           8
        .value_kind:     global_buffer
      - .offset:         8
        .size:           4
        .value_kind:     by_value
    .group_segment_fixed_size: 4
    .kernarg_segment_align: 8
    .kernarg_segment_size: 12
    .language:       OpenCL C
    .language_version:
      - 2
      - 0
    .max_flat_workgroup_size: 37
    .name:           _Z27exclusive_scan_array_kernelILj37ELj2ELN6hipcub18BlockScanAlgorithmE0EfEvPT2_S2_
    .private_segment_fixed_size: 0
    .sgpr_count:     11
    .sgpr_spill_count: 0
    .symbol:         _Z27exclusive_scan_array_kernelILj37ELj2ELN6hipcub18BlockScanAlgorithmE0EfEvPT2_S2_.kd
    .uniform_work_group_size: 1
    .uses_dynamic_stack: false
    .vgpr_count:     10
    .vgpr_spill_count: 0
    .wavefront_size: 64
  - .agpr_count:     0
    .args:
      - .address_space:  global
        .offset:         0
        .size:           8
        .value_kind:     global_buffer
      - .offset:         8
        .size:           4
        .value_kind:     by_value
    .group_segment_fixed_size: 32
    .kernarg_segment_align: 8
    .kernarg_segment_size: 12
    .language:       OpenCL C
    .language_version:
      - 2
      - 0
    .max_flat_workgroup_size: 512
    .name:           _Z27exclusive_scan_array_kernelILj512ELj4ELN6hipcub18BlockScanAlgorithmE0EiEvPT2_S2_
    .private_segment_fixed_size: 0
    .sgpr_count:     11
    .sgpr_spill_count: 0
    .symbol:         _Z27exclusive_scan_array_kernelILj512ELj4ELN6hipcub18BlockScanAlgorithmE0EiEvPT2_S2_.kd
    .uniform_work_group_size: 1
    .uses_dynamic_stack: false
    .vgpr_count:     14
    .vgpr_spill_count: 0
    .wavefront_size: 64
  - .agpr_count:     0
    .args:
      - .address_space:  global
        .offset:         0
        .size:           8
        .value_kind:     global_buffer
      - .offset:         8
        .size:           4
        .value_kind:     by_value
    .group_segment_fixed_size: 16
    .kernarg_segment_align: 8
    .kernarg_segment_size: 12
    .language:       OpenCL C
    .language_version:
      - 2
      - 0
    .max_flat_workgroup_size: 256
    .name:           _Z27exclusive_scan_array_kernelILj256ELj3ELN6hipcub18BlockScanAlgorithmE0EjEvPT2_S2_
    .private_segment_fixed_size: 0
    .sgpr_count:     11
    .sgpr_spill_count: 0
    .symbol:         _Z27exclusive_scan_array_kernelILj256ELj3ELN6hipcub18BlockScanAlgorithmE0EjEvPT2_S2_.kd
    .uniform_work_group_size: 1
    .uses_dynamic_stack: false
    .vgpr_count:     16
    .vgpr_spill_count: 0
    .wavefront_size: 64
  - .agpr_count:     0
    .args:
      - .address_space:  global
        .offset:         0
        .size:           8
        .value_kind:     global_buffer
      - .offset:         8
        .size:           4
        .value_kind:     by_value
    .group_segment_fixed_size: 4
    .kernarg_segment_align: 8
    .kernarg_segment_size: 12
    .language:       OpenCL C
    .language_version:
      - 2
      - 0
    .max_flat_workgroup_size: 32
    .name:           _Z27exclusive_scan_array_kernelILj32ELj2ELN6hipcub18BlockScanAlgorithmE0EfEvPT2_S2_
    .private_segment_fixed_size: 0
    .sgpr_count:     11
    .sgpr_spill_count: 0
    .symbol:         _Z27exclusive_scan_array_kernelILj32ELj2ELN6hipcub18BlockScanAlgorithmE0EfEvPT2_S2_.kd
    .uniform_work_group_size: 1
    .uses_dynamic_stack: false
    .vgpr_count:     10
    .vgpr_spill_count: 0
    .wavefront_size: 64
  - .agpr_count:     0
    .args:
      - .address_space:  global
        .offset:         0
        .size:           8
        .value_kind:     global_buffer
      - .offset:         8
        .size:           4
        .value_kind:     by_value
    .group_segment_fixed_size: 4
    .kernarg_segment_align: 8
    .kernarg_segment_size: 12
    .language:       OpenCL C
    .language_version:
      - 2
      - 0
    .max_flat_workgroup_size: 6
    .name:           _Z27exclusive_scan_array_kernelILj6ELj32ELN6hipcub18BlockScanAlgorithmE0EfEvPT2_S2_
    .private_segment_fixed_size: 0
    .sgpr_count:     11
    .sgpr_spill_count: 0
    .symbol:         _Z27exclusive_scan_array_kernelILj6ELj32ELN6hipcub18BlockScanAlgorithmE0EfEvPT2_S2_.kd
    .uniform_work_group_size: 1
    .uses_dynamic_stack: false
    .vgpr_count:     40
    .vgpr_spill_count: 0
    .wavefront_size: 64
  - .agpr_count:     0
    .args:
      - .address_space:  global
        .offset:         0
        .size:           8
        .value_kind:     global_buffer
      - .address_space:  global
        .offset:         8
        .size:           8
        .value_kind:     global_buffer
      - .offset:         16
        .size:           2
        .value_kind:     by_value
    .group_segment_fixed_size: 2
    .kernarg_segment_align: 8
    .kernarg_segment_size: 20
    .language:       OpenCL C
    .language_version:
      - 2
      - 0
    .max_flat_workgroup_size: 16
    .name:           _Z34exclusive_scan_reduce_array_kernelILj16ELj5ELN6hipcub18BlockScanAlgorithmE1E12hip_bfloat16EvPT2_S4_S3_
    .private_segment_fixed_size: 0
    .sgpr_count:     12
    .sgpr_spill_count: 0
    .symbol:         _Z34exclusive_scan_reduce_array_kernelILj16ELj5ELN6hipcub18BlockScanAlgorithmE1E12hip_bfloat16EvPT2_S4_S3_.kd
    .uniform_work_group_size: 1
    .uses_dynamic_stack: false
    .vgpr_count:     22
    .vgpr_spill_count: 0
    .wavefront_size: 64
  - .agpr_count:     0
    .args:
      - .address_space:  global
        .offset:         0
        .size:           8
        .value_kind:     global_buffer
      - .address_space:  global
        .offset:         8
        .size:           8
        .value_kind:     global_buffer
      - .offset:         16
        .size:           2
        .value_kind:     by_value
    .group_segment_fixed_size: 264
    .kernarg_segment_align: 8
    .kernarg_segment_size: 20
    .language:       OpenCL C
    .language_version:
      - 2
      - 0
    .max_flat_workgroup_size: 65
    .name:           _Z34exclusive_scan_reduce_array_kernelILj65ELj5ELN6hipcub18BlockScanAlgorithmE1E6__halfEvPT2_S4_S3_
    .private_segment_fixed_size: 0
    .sgpr_count:     12
    .sgpr_spill_count: 0
    .symbol:         _Z34exclusive_scan_reduce_array_kernelILj65ELj5ELN6hipcub18BlockScanAlgorithmE1E6__halfEvPT2_S4_S3_.kd
    .uniform_work_group_size: 1
    .uses_dynamic_stack: false
    .vgpr_count:     23
    .vgpr_spill_count: 0
    .wavefront_size: 64
  - .agpr_count:     0
    .args:
      - .address_space:  global
        .offset:         0
        .size:           8
        .value_kind:     global_buffer
      - .address_space:  global
        .offset:         8
        .size:           8
        .value_kind:     global_buffer
      - .offset:         16
        .size:           4
        .value_kind:     by_value
    .group_segment_fixed_size: 1056
    .kernarg_segment_align: 8
    .kernarg_segment_size: 20
    .language:       OpenCL C
    .language_version:
      - 2
      - 0
    .max_flat_workgroup_size: 255
    .name:           _Z34exclusive_scan_reduce_array_kernelILj255ELj15ELN6hipcub18BlockScanAlgorithmE1EfEvPT2_S3_S2_
    .private_segment_fixed_size: 0
    .sgpr_count:     12
    .sgpr_spill_count: 0
    .symbol:         _Z34exclusive_scan_reduce_array_kernelILj255ELj15ELN6hipcub18BlockScanAlgorithmE1EfEvPT2_S3_S2_.kd
    .uniform_work_group_size: 1
    .uses_dynamic_stack: false
    .vgpr_count:     55
    .vgpr_spill_count: 0
    .wavefront_size: 64
  - .agpr_count:     0
    .args:
      - .address_space:  global
        .offset:         0
        .size:           8
        .value_kind:     global_buffer
      - .address_space:  global
        .offset:         8
        .size:           8
        .value_kind:     global_buffer
      - .offset:         16
        .size:           4
        .value_kind:     by_value
    .group_segment_fixed_size: 768
    .kernarg_segment_align: 8
    .kernarg_segment_size: 20
    .language:       OpenCL C
    .language_version:
      - 2
      - 0
    .max_flat_workgroup_size: 162
    .name:           _Z34exclusive_scan_reduce_array_kernelILj162ELj7ELN6hipcub18BlockScanAlgorithmE1EfEvPT2_S3_S2_
    .private_segment_fixed_size: 0
    .sgpr_count:     12
    .sgpr_spill_count: 0
    .symbol:         _Z34exclusive_scan_reduce_array_kernelILj162ELj7ELN6hipcub18BlockScanAlgorithmE1EfEvPT2_S3_S2_.kd
    .uniform_work_group_size: 1
    .uses_dynamic_stack: false
    .vgpr_count:     31
    .vgpr_spill_count: 0
    .wavefront_size: 64
  - .agpr_count:     0
    .args:
      - .address_space:  global
        .offset:         0
        .size:           8
        .value_kind:     global_buffer
      - .address_space:  global
        .offset:         8
        .size:           8
        .value_kind:     global_buffer
      - .offset:         16
        .size:           4
        .value_kind:     by_value
    .group_segment_fixed_size: 528
    .kernarg_segment_align: 8
    .kernarg_segment_size: 20
    .language:       OpenCL C
    .language_version:
      - 2
      - 0
    .max_flat_workgroup_size: 65
    .name:           _Z34exclusive_scan_reduce_array_kernelILj65ELj5ELN6hipcub18BlockScanAlgorithmE1EfEvPT2_S3_S2_
    .private_segment_fixed_size: 0
    .sgpr_count:     12
    .sgpr_spill_count: 0
    .symbol:         _Z34exclusive_scan_reduce_array_kernelILj65ELj5ELN6hipcub18BlockScanAlgorithmE1EfEvPT2_S3_S2_.kd
    .uniform_work_group_size: 1
    .uses_dynamic_stack: false
    .vgpr_count:     23
    .vgpr_spill_count: 0
    .wavefront_size: 64
  - .agpr_count:     0
    .args:
      - .address_space:  global
        .offset:         0
        .size:           8
        .value_kind:     global_buffer
      - .address_space:  global
        .offset:         8
        .size:           8
        .value_kind:     global_buffer
      - .offset:         16
        .size:           4
        .value_kind:     by_value
    .group_segment_fixed_size: 4
    .kernarg_segment_align: 8
    .kernarg_segment_size: 20
    .language:       OpenCL C
    .language_version:
      - 2
      - 0
    .max_flat_workgroup_size: 37
    .name:           _Z34exclusive_scan_reduce_array_kernelILj37ELj2ELN6hipcub18BlockScanAlgorithmE1EfEvPT2_S3_S2_
    .private_segment_fixed_size: 0
    .sgpr_count:     12
    .sgpr_spill_count: 0
    .symbol:         _Z34exclusive_scan_reduce_array_kernelILj37ELj2ELN6hipcub18BlockScanAlgorithmE1EfEvPT2_S3_S2_.kd
    .uniform_work_group_size: 1
    .uses_dynamic_stack: false
    .vgpr_count:     10
    .vgpr_spill_count: 0
    .wavefront_size: 64
  - .agpr_count:     0
    .args:
      - .address_space:  global
        .offset:         0
        .size:           8
        .value_kind:     global_buffer
      - .address_space:  global
        .offset:         8
        .size:           8
        .value_kind:     global_buffer
      - .offset:         16
        .size:           4
        .value_kind:     by_value
    .group_segment_fixed_size: 2112
    .kernarg_segment_align: 8
    .kernarg_segment_size: 20
    .language:       OpenCL C
    .language_version:
      - 2
      - 0
    .max_flat_workgroup_size: 512
    .name:           _Z34exclusive_scan_reduce_array_kernelILj512ELj4ELN6hipcub18BlockScanAlgorithmE1EjEvPT2_S3_S2_
    .private_segment_fixed_size: 0
    .sgpr_count:     12
    .sgpr_spill_count: 0
    .symbol:         _Z34exclusive_scan_reduce_array_kernelILj512ELj4ELN6hipcub18BlockScanAlgorithmE1EjEvPT2_S3_S2_.kd
    .uniform_work_group_size: 1
    .uses_dynamic_stack: false
    .vgpr_count:     20
    .vgpr_spill_count: 0
    .wavefront_size: 64
  - .agpr_count:     0
    .args:
      - .address_space:  global
        .offset:         0
        .size:           8
        .value_kind:     global_buffer
      - .address_space:  global
        .offset:         8
        .size:           8
        .value_kind:     global_buffer
      - .offset:         16
        .size:           4
        .value_kind:     by_value
    .group_segment_fixed_size: 1056
    .kernarg_segment_align: 8
    .kernarg_segment_size: 20
    .language:       OpenCL C
    .language_version:
      - 2
      - 0
    .max_flat_workgroup_size: 256
    .name:           _Z34exclusive_scan_reduce_array_kernelILj256ELj3ELN6hipcub18BlockScanAlgorithmE1EiEvPT2_S3_S2_
    .private_segment_fixed_size: 0
    .sgpr_count:     12
    .sgpr_spill_count: 0
    .symbol:         _Z34exclusive_scan_reduce_array_kernelILj256ELj3ELN6hipcub18BlockScanAlgorithmE1EiEvPT2_S3_S2_.kd
    .uniform_work_group_size: 1
    .uses_dynamic_stack: false
    .vgpr_count:     19
    .vgpr_spill_count: 0
    .wavefront_size: 64
  - .agpr_count:     0
    .args:
      - .address_space:  global
        .offset:         0
        .size:           8
        .value_kind:     global_buffer
      - .address_space:  global
        .offset:         8
        .size:           8
        .value_kind:     global_buffer
      - .offset:         16
        .size:           4
        .value_kind:     by_value
    .group_segment_fixed_size: 4
    .kernarg_segment_align: 8
    .kernarg_segment_size: 20
    .language:       OpenCL C
    .language_version:
      - 2
      - 0
    .max_flat_workgroup_size: 32
    .name:           _Z34exclusive_scan_reduce_array_kernelILj32ELj2ELN6hipcub18BlockScanAlgorithmE1EfEvPT2_S3_S2_
    .private_segment_fixed_size: 0
    .sgpr_count:     12
    .sgpr_spill_count: 0
    .symbol:         _Z34exclusive_scan_reduce_array_kernelILj32ELj2ELN6hipcub18BlockScanAlgorithmE1EfEvPT2_S3_S2_.kd
    .uniform_work_group_size: 1
    .uses_dynamic_stack: false
    .vgpr_count:     10
    .vgpr_spill_count: 0
    .wavefront_size: 64
  - .agpr_count:     0
    .args:
      - .address_space:  global
        .offset:         0
        .size:           8
        .value_kind:     global_buffer
      - .address_space:  global
        .offset:         8
        .size:           8
        .value_kind:     global_buffer
      - .offset:         16
        .size:           4
        .value_kind:     by_value
    .group_segment_fixed_size: 4
    .kernarg_segment_align: 8
    .kernarg_segment_size: 20
    .language:       OpenCL C
    .language_version:
      - 2
      - 0
    .max_flat_workgroup_size: 6
    .name:           _Z34exclusive_scan_reduce_array_kernelILj6ELj32ELN6hipcub18BlockScanAlgorithmE1EfEvPT2_S3_S2_
    .private_segment_fixed_size: 0
    .sgpr_count:     12
    .sgpr_spill_count: 0
    .symbol:         _Z34exclusive_scan_reduce_array_kernelILj6ELj32ELN6hipcub18BlockScanAlgorithmE1EfEvPT2_S3_S2_.kd
    .uniform_work_group_size: 1
    .uses_dynamic_stack: false
    .vgpr_count:     40
    .vgpr_spill_count: 0
    .wavefront_size: 64
  - .agpr_count:     0
    .args:
      - .address_space:  global
        .offset:         0
        .size:           8
        .value_kind:     global_buffer
      - .address_space:  global
        .offset:         8
        .size:           8
        .value_kind:     global_buffer
      - .offset:         16
        .size:           2
        .value_kind:     by_value
    .group_segment_fixed_size: 2
    .kernarg_segment_align: 8
    .kernarg_segment_size: 20
    .language:       OpenCL C
    .language_version:
      - 2
      - 0
    .max_flat_workgroup_size: 16
    .name:           _Z34exclusive_scan_reduce_array_kernelILj16ELj5ELN6hipcub18BlockScanAlgorithmE0E12hip_bfloat16EvPT2_S4_S3_
    .private_segment_fixed_size: 0
    .sgpr_count:     12
    .sgpr_spill_count: 0
    .symbol:         _Z34exclusive_scan_reduce_array_kernelILj16ELj5ELN6hipcub18BlockScanAlgorithmE0E12hip_bfloat16EvPT2_S4_S3_.kd
    .uniform_work_group_size: 1
    .uses_dynamic_stack: false
    .vgpr_count:     22
    .vgpr_spill_count: 0
    .wavefront_size: 64
  - .agpr_count:     0
    .args:
      - .address_space:  global
        .offset:         0
        .size:           8
        .value_kind:     global_buffer
      - .address_space:  global
        .offset:         8
        .size:           8
        .value_kind:     global_buffer
      - .offset:         16
        .size:           2
        .value_kind:     by_value
    .group_segment_fixed_size: 4
    .kernarg_segment_align: 8
    .kernarg_segment_size: 20
    .language:       OpenCL C
    .language_version:
      - 2
      - 0
    .max_flat_workgroup_size: 65
    .name:           _Z34exclusive_scan_reduce_array_kernelILj65ELj5ELN6hipcub18BlockScanAlgorithmE0E6__halfEvPT2_S4_S3_
    .private_segment_fixed_size: 0
    .sgpr_count:     13
    .sgpr_spill_count: 0
    .symbol:         _Z34exclusive_scan_reduce_array_kernelILj65ELj5ELN6hipcub18BlockScanAlgorithmE0E6__halfEvPT2_S4_S3_.kd
    .uniform_work_group_size: 1
    .uses_dynamic_stack: false
    .vgpr_count:     22
    .vgpr_spill_count: 0
    .wavefront_size: 64
  - .agpr_count:     0
    .args:
      - .address_space:  global
        .offset:         0
        .size:           8
        .value_kind:     global_buffer
      - .address_space:  global
        .offset:         8
        .size:           8
        .value_kind:     global_buffer
      - .offset:         16
        .size:           4
        .value_kind:     by_value
    .group_segment_fixed_size: 16
    .kernarg_segment_align: 8
    .kernarg_segment_size: 20
    .language:       OpenCL C
    .language_version:
      - 2
      - 0
    .max_flat_workgroup_size: 255
    .name:           _Z34exclusive_scan_reduce_array_kernelILj255ELj15ELN6hipcub18BlockScanAlgorithmE0EfEvPT2_S3_S2_
    .private_segment_fixed_size: 0
    .sgpr_count:     12
    .sgpr_spill_count: 0
    .symbol:         _Z34exclusive_scan_reduce_array_kernelILj255ELj15ELN6hipcub18BlockScanAlgorithmE0EfEvPT2_S3_S2_.kd
    .uniform_work_group_size: 1
    .uses_dynamic_stack: false
    .vgpr_count:     52
    .vgpr_spill_count: 0
    .wavefront_size: 64
  - .agpr_count:     0
    .args:
      - .address_space:  global
        .offset:         0
        .size:           8
        .value_kind:     global_buffer
      - .address_space:  global
        .offset:         8
        .size:           8
        .value_kind:     global_buffer
      - .offset:         16
        .size:           4
        .value_kind:     by_value
    .group_segment_fixed_size: 12
    .kernarg_segment_align: 8
    .kernarg_segment_size: 20
    .language:       OpenCL C
    .language_version:
      - 2
      - 0
    .max_flat_workgroup_size: 162
    .name:           _Z34exclusive_scan_reduce_array_kernelILj162ELj7ELN6hipcub18BlockScanAlgorithmE0EfEvPT2_S3_S2_
    .private_segment_fixed_size: 0
    .sgpr_count:     12
    .sgpr_spill_count: 0
    .symbol:         _Z34exclusive_scan_reduce_array_kernelILj162ELj7ELN6hipcub18BlockScanAlgorithmE0EfEvPT2_S3_S2_.kd
    .uniform_work_group_size: 1
    .uses_dynamic_stack: false
    .vgpr_count:     28
    .vgpr_spill_count: 0
    .wavefront_size: 64
  - .agpr_count:     0
    .args:
      - .address_space:  global
        .offset:         0
        .size:           8
        .value_kind:     global_buffer
      - .address_space:  global
        .offset:         8
        .size:           8
        .value_kind:     global_buffer
      - .offset:         16
        .size:           4
        .value_kind:     by_value
    .group_segment_fixed_size: 8
    .kernarg_segment_align: 8
    .kernarg_segment_size: 20
    .language:       OpenCL C
    .language_version:
      - 2
      - 0
    .max_flat_workgroup_size: 65
    .name:           _Z34exclusive_scan_reduce_array_kernelILj65ELj5ELN6hipcub18BlockScanAlgorithmE0EfEvPT2_S3_S2_
    .private_segment_fixed_size: 0
    .sgpr_count:     14
    .sgpr_spill_count: 0
    .symbol:         _Z34exclusive_scan_reduce_array_kernelILj65ELj5ELN6hipcub18BlockScanAlgorithmE0EfEvPT2_S3_S2_.kd
    .uniform_work_group_size: 1
    .uses_dynamic_stack: false
    .vgpr_count:     22
    .vgpr_spill_count: 0
    .wavefront_size: 64
  - .agpr_count:     0
    .args:
      - .address_space:  global
        .offset:         0
        .size:           8
        .value_kind:     global_buffer
      - .address_space:  global
        .offset:         8
        .size:           8
        .value_kind:     global_buffer
      - .offset:         16
        .size:           4
        .value_kind:     by_value
    .group_segment_fixed_size: 4
    .kernarg_segment_align: 8
    .kernarg_segment_size: 20
    .language:       OpenCL C
    .language_version:
      - 2
      - 0
    .max_flat_workgroup_size: 37
    .name:           _Z34exclusive_scan_reduce_array_kernelILj37ELj2ELN6hipcub18BlockScanAlgorithmE0EfEvPT2_S3_S2_
    .private_segment_fixed_size: 0
    .sgpr_count:     12
    .sgpr_spill_count: 0
    .symbol:         _Z34exclusive_scan_reduce_array_kernelILj37ELj2ELN6hipcub18BlockScanAlgorithmE0EfEvPT2_S3_S2_.kd
    .uniform_work_group_size: 1
    .uses_dynamic_stack: false
    .vgpr_count:     10
    .vgpr_spill_count: 0
    .wavefront_size: 64
  - .agpr_count:     0
    .args:
      - .address_space:  global
        .offset:         0
        .size:           8
        .value_kind:     global_buffer
      - .address_space:  global
        .offset:         8
        .size:           8
        .value_kind:     global_buffer
      - .offset:         16
        .size:           4
        .value_kind:     by_value
    .group_segment_fixed_size: 32
    .kernarg_segment_align: 8
    .kernarg_segment_size: 20
    .language:       OpenCL C
    .language_version:
      - 2
      - 0
    .max_flat_workgroup_size: 512
    .name:           _Z34exclusive_scan_reduce_array_kernelILj512ELj4ELN6hipcub18BlockScanAlgorithmE0EiEvPT2_S3_S2_
    .private_segment_fixed_size: 0
    .sgpr_count:     12
    .sgpr_spill_count: 0
    .symbol:         _Z34exclusive_scan_reduce_array_kernelILj512ELj4ELN6hipcub18BlockScanAlgorithmE0EiEvPT2_S3_S2_.kd
    .uniform_work_group_size: 1
    .uses_dynamic_stack: false
    .vgpr_count:     14
    .vgpr_spill_count: 0
    .wavefront_size: 64
  - .agpr_count:     0
    .args:
      - .address_space:  global
        .offset:         0
        .size:           8
        .value_kind:     global_buffer
      - .address_space:  global
        .offset:         8
        .size:           8
        .value_kind:     global_buffer
      - .offset:         16
        .size:           4
        .value_kind:     by_value
    .group_segment_fixed_size: 16
    .kernarg_segment_align: 8
    .kernarg_segment_size: 20
    .language:       OpenCL C
    .language_version:
      - 2
      - 0
    .max_flat_workgroup_size: 256
    .name:           _Z34exclusive_scan_reduce_array_kernelILj256ELj3ELN6hipcub18BlockScanAlgorithmE0EjEvPT2_S3_S2_
    .private_segment_fixed_size: 0
    .sgpr_count:     12
    .sgpr_spill_count: 0
    .symbol:         _Z34exclusive_scan_reduce_array_kernelILj256ELj3ELN6hipcub18BlockScanAlgorithmE0EjEvPT2_S3_S2_.kd
    .uniform_work_group_size: 1
    .uses_dynamic_stack: false
    .vgpr_count:     16
    .vgpr_spill_count: 0
    .wavefront_size: 64
  - .agpr_count:     0
    .args:
      - .address_space:  global
        .offset:         0
        .size:           8
        .value_kind:     global_buffer
      - .address_space:  global
        .offset:         8
        .size:           8
        .value_kind:     global_buffer
      - .offset:         16
        .size:           4
        .value_kind:     by_value
    .group_segment_fixed_size: 4
    .kernarg_segment_align: 8
    .kernarg_segment_size: 20
    .language:       OpenCL C
    .language_version:
      - 2
      - 0
    .max_flat_workgroup_size: 32
    .name:           _Z34exclusive_scan_reduce_array_kernelILj32ELj2ELN6hipcub18BlockScanAlgorithmE0EfEvPT2_S3_S2_
    .private_segment_fixed_size: 0
    .sgpr_count:     12
    .sgpr_spill_count: 0
    .symbol:         _Z34exclusive_scan_reduce_array_kernelILj32ELj2ELN6hipcub18BlockScanAlgorithmE0EfEvPT2_S3_S2_.kd
    .uniform_work_group_size: 1
    .uses_dynamic_stack: false
    .vgpr_count:     10
    .vgpr_spill_count: 0
    .wavefront_size: 64
  - .agpr_count:     0
    .args:
      - .address_space:  global
        .offset:         0
        .size:           8
        .value_kind:     global_buffer
      - .address_space:  global
        .offset:         8
        .size:           8
        .value_kind:     global_buffer
      - .offset:         16
        .size:           4
        .value_kind:     by_value
    .group_segment_fixed_size: 4
    .kernarg_segment_align: 8
    .kernarg_segment_size: 20
    .language:       OpenCL C
    .language_version:
      - 2
      - 0
    .max_flat_workgroup_size: 6
    .name:           _Z34exclusive_scan_reduce_array_kernelILj6ELj32ELN6hipcub18BlockScanAlgorithmE0EfEvPT2_S3_S2_
    .private_segment_fixed_size: 0
    .sgpr_count:     12
    .sgpr_spill_count: 0
    .symbol:         _Z34exclusive_scan_reduce_array_kernelILj6ELj32ELN6hipcub18BlockScanAlgorithmE0EfEvPT2_S3_S2_.kd
    .uniform_work_group_size: 1
    .uses_dynamic_stack: false
    .vgpr_count:     40
    .vgpr_spill_count: 0
    .wavefront_size: 64
  - .agpr_count:     0
    .args:
      - .address_space:  global
        .offset:         0
        .size:           8
        .value_kind:     global_buffer
      - .address_space:  global
        .offset:         8
        .size:           8
        .value_kind:     global_buffer
      - .offset:         16
        .size:           2
        .value_kind:     by_value
    .group_segment_fixed_size: 2
    .kernarg_segment_align: 8
    .kernarg_segment_size: 20
    .language:       OpenCL C
    .language_version:
      - 2
      - 0
    .max_flat_workgroup_size: 16
    .name:           _Z43exclusive_scan_prefix_callback_array_kernelILj16ELj5ELN6hipcub18BlockScanAlgorithmE1E12hip_bfloat16EvPT2_S4_S3_
    .private_segment_fixed_size: 0
    .sgpr_count:     14
    .sgpr_spill_count: 0
    .symbol:         _Z43exclusive_scan_prefix_callback_array_kernelILj16ELj5ELN6hipcub18BlockScanAlgorithmE1E12hip_bfloat16EvPT2_S4_S3_.kd
    .uniform_work_group_size: 1
    .uses_dynamic_stack: false
    .vgpr_count:     22
    .vgpr_spill_count: 0
    .wavefront_size: 64
  - .agpr_count:     0
    .args:
      - .address_space:  global
        .offset:         0
        .size:           8
        .value_kind:     global_buffer
      - .address_space:  global
        .offset:         8
        .size:           8
        .value_kind:     global_buffer
      - .offset:         16
        .size:           2
        .value_kind:     by_value
    .group_segment_fixed_size: 264
    .kernarg_segment_align: 8
    .kernarg_segment_size: 20
    .language:       OpenCL C
    .language_version:
      - 2
      - 0
    .max_flat_workgroup_size: 65
    .name:           _Z43exclusive_scan_prefix_callback_array_kernelILj65ELj5ELN6hipcub18BlockScanAlgorithmE1E6__halfEvPT2_S4_S3_
    .private_segment_fixed_size: 0
    .sgpr_count:     16
    .sgpr_spill_count: 0
    .symbol:         _Z43exclusive_scan_prefix_callback_array_kernelILj65ELj5ELN6hipcub18BlockScanAlgorithmE1E6__halfEvPT2_S4_S3_.kd
    .uniform_work_group_size: 1
    .uses_dynamic_stack: false
    .vgpr_count:     23
    .vgpr_spill_count: 0
    .wavefront_size: 64
  - .agpr_count:     0
    .args:
      - .address_space:  global
        .offset:         0
        .size:           8
        .value_kind:     global_buffer
      - .address_space:  global
        .offset:         8
        .size:           8
        .value_kind:     global_buffer
      - .offset:         16
        .size:           4
        .value_kind:     by_value
    .group_segment_fixed_size: 1056
    .kernarg_segment_align: 8
    .kernarg_segment_size: 20
    .language:       OpenCL C
    .language_version:
      - 2
      - 0
    .max_flat_workgroup_size: 255
    .name:           _Z43exclusive_scan_prefix_callback_array_kernelILj255ELj15ELN6hipcub18BlockScanAlgorithmE1EfEvPT2_S3_S2_
    .private_segment_fixed_size: 0
    .sgpr_count:     16
    .sgpr_spill_count: 0
    .symbol:         _Z43exclusive_scan_prefix_callback_array_kernelILj255ELj15ELN6hipcub18BlockScanAlgorithmE1EfEvPT2_S3_S2_.kd
    .uniform_work_group_size: 1
    .uses_dynamic_stack: false
    .vgpr_count:     55
    .vgpr_spill_count: 0
    .wavefront_size: 64
  - .agpr_count:     0
    .args:
      - .address_space:  global
        .offset:         0
        .size:           8
        .value_kind:     global_buffer
      - .address_space:  global
        .offset:         8
        .size:           8
        .value_kind:     global_buffer
      - .offset:         16
        .size:           4
        .value_kind:     by_value
    .group_segment_fixed_size: 768
    .kernarg_segment_align: 8
    .kernarg_segment_size: 20
    .language:       OpenCL C
    .language_version:
      - 2
      - 0
    .max_flat_workgroup_size: 162
    .name:           _Z43exclusive_scan_prefix_callback_array_kernelILj162ELj7ELN6hipcub18BlockScanAlgorithmE1EfEvPT2_S3_S2_
    .private_segment_fixed_size: 0
    .sgpr_count:     16
    .sgpr_spill_count: 0
    .symbol:         _Z43exclusive_scan_prefix_callback_array_kernelILj162ELj7ELN6hipcub18BlockScanAlgorithmE1EfEvPT2_S3_S2_.kd
    .uniform_work_group_size: 1
    .uses_dynamic_stack: false
    .vgpr_count:     31
    .vgpr_spill_count: 0
    .wavefront_size: 64
  - .agpr_count:     0
    .args:
      - .address_space:  global
        .offset:         0
        .size:           8
        .value_kind:     global_buffer
      - .address_space:  global
        .offset:         8
        .size:           8
        .value_kind:     global_buffer
      - .offset:         16
        .size:           4
        .value_kind:     by_value
    .group_segment_fixed_size: 528
    .kernarg_segment_align: 8
    .kernarg_segment_size: 20
    .language:       OpenCL C
    .language_version:
      - 2
      - 0
    .max_flat_workgroup_size: 65
    .name:           _Z43exclusive_scan_prefix_callback_array_kernelILj65ELj5ELN6hipcub18BlockScanAlgorithmE1EfEvPT2_S3_S2_
    .private_segment_fixed_size: 0
    .sgpr_count:     16
    .sgpr_spill_count: 0
    .symbol:         _Z43exclusive_scan_prefix_callback_array_kernelILj65ELj5ELN6hipcub18BlockScanAlgorithmE1EfEvPT2_S3_S2_.kd
    .uniform_work_group_size: 1
    .uses_dynamic_stack: false
    .vgpr_count:     23
    .vgpr_spill_count: 0
    .wavefront_size: 64
  - .agpr_count:     0
    .args:
      - .address_space:  global
        .offset:         0
        .size:           8
        .value_kind:     global_buffer
      - .address_space:  global
        .offset:         8
        .size:           8
        .value_kind:     global_buffer
      - .offset:         16
        .size:           4
        .value_kind:     by_value
    .group_segment_fixed_size: 4
    .kernarg_segment_align: 8
    .kernarg_segment_size: 20
    .language:       OpenCL C
    .language_version:
      - 2
      - 0
    .max_flat_workgroup_size: 37
    .name:           _Z43exclusive_scan_prefix_callback_array_kernelILj37ELj2ELN6hipcub18BlockScanAlgorithmE1EfEvPT2_S3_S2_
    .private_segment_fixed_size: 0
    .sgpr_count:     12
    .sgpr_spill_count: 0
    .symbol:         _Z43exclusive_scan_prefix_callback_array_kernelILj37ELj2ELN6hipcub18BlockScanAlgorithmE1EfEvPT2_S3_S2_.kd
    .uniform_work_group_size: 1
    .uses_dynamic_stack: false
    .vgpr_count:     10
    .vgpr_spill_count: 0
    .wavefront_size: 64
  - .agpr_count:     0
    .args:
      - .address_space:  global
        .offset:         0
        .size:           8
        .value_kind:     global_buffer
      - .address_space:  global
        .offset:         8
        .size:           8
        .value_kind:     global_buffer
      - .offset:         16
        .size:           4
        .value_kind:     by_value
    .group_segment_fixed_size: 2112
    .kernarg_segment_align: 8
    .kernarg_segment_size: 20
    .language:       OpenCL C
    .language_version:
      - 2
      - 0
    .max_flat_workgroup_size: 512
    .name:           _Z43exclusive_scan_prefix_callback_array_kernelILj512ELj4ELN6hipcub18BlockScanAlgorithmE1EjEvPT2_S3_S2_
    .private_segment_fixed_size: 0
    .sgpr_count:     16
    .sgpr_spill_count: 0
    .symbol:         _Z43exclusive_scan_prefix_callback_array_kernelILj512ELj4ELN6hipcub18BlockScanAlgorithmE1EjEvPT2_S3_S2_.kd
    .uniform_work_group_size: 1
    .uses_dynamic_stack: false
    .vgpr_count:     21
    .vgpr_spill_count: 0
    .wavefront_size: 64
  - .agpr_count:     0
    .args:
      - .address_space:  global
        .offset:         0
        .size:           8
        .value_kind:     global_buffer
      - .address_space:  global
        .offset:         8
        .size:           8
        .value_kind:     global_buffer
      - .offset:         16
        .size:           4
        .value_kind:     by_value
    .group_segment_fixed_size: 1056
    .kernarg_segment_align: 8
    .kernarg_segment_size: 20
    .language:       OpenCL C
    .language_version:
      - 2
      - 0
    .max_flat_workgroup_size: 256
    .name:           _Z43exclusive_scan_prefix_callback_array_kernelILj256ELj3ELN6hipcub18BlockScanAlgorithmE1EiEvPT2_S3_S2_
    .private_segment_fixed_size: 0
    .sgpr_count:     16
    .sgpr_spill_count: 0
    .symbol:         _Z43exclusive_scan_prefix_callback_array_kernelILj256ELj3ELN6hipcub18BlockScanAlgorithmE1EiEvPT2_S3_S2_.kd
    .uniform_work_group_size: 1
    .uses_dynamic_stack: false
    .vgpr_count:     20
    .vgpr_spill_count: 0
    .wavefront_size: 64
  - .agpr_count:     0
    .args:
      - .address_space:  global
        .offset:         0
        .size:           8
        .value_kind:     global_buffer
      - .address_space:  global
        .offset:         8
        .size:           8
        .value_kind:     global_buffer
      - .offset:         16
        .size:           4
        .value_kind:     by_value
    .group_segment_fixed_size: 4
    .kernarg_segment_align: 8
    .kernarg_segment_size: 20
    .language:       OpenCL C
    .language_version:
      - 2
      - 0
    .max_flat_workgroup_size: 32
    .name:           _Z43exclusive_scan_prefix_callback_array_kernelILj32ELj2ELN6hipcub18BlockScanAlgorithmE1EfEvPT2_S3_S2_
    .private_segment_fixed_size: 0
    .sgpr_count:     12
    .sgpr_spill_count: 0
    .symbol:         _Z43exclusive_scan_prefix_callback_array_kernelILj32ELj2ELN6hipcub18BlockScanAlgorithmE1EfEvPT2_S3_S2_.kd
    .uniform_work_group_size: 1
    .uses_dynamic_stack: false
    .vgpr_count:     10
    .vgpr_spill_count: 0
    .wavefront_size: 64
  - .agpr_count:     0
    .args:
      - .address_space:  global
        .offset:         0
        .size:           8
        .value_kind:     global_buffer
      - .address_space:  global
        .offset:         8
        .size:           8
        .value_kind:     global_buffer
      - .offset:         16
        .size:           4
        .value_kind:     by_value
    .group_segment_fixed_size: 4
    .kernarg_segment_align: 8
    .kernarg_segment_size: 20
    .language:       OpenCL C
    .language_version:
      - 2
      - 0
    .max_flat_workgroup_size: 6
    .name:           _Z43exclusive_scan_prefix_callback_array_kernelILj6ELj32ELN6hipcub18BlockScanAlgorithmE1EfEvPT2_S3_S2_
    .private_segment_fixed_size: 0
    .sgpr_count:     12
    .sgpr_spill_count: 0
    .symbol:         _Z43exclusive_scan_prefix_callback_array_kernelILj6ELj32ELN6hipcub18BlockScanAlgorithmE1EfEvPT2_S3_S2_.kd
    .uniform_work_group_size: 1
    .uses_dynamic_stack: false
    .vgpr_count:     40
    .vgpr_spill_count: 0
    .wavefront_size: 64
  - .agpr_count:     0
    .args:
      - .address_space:  global
        .offset:         0
        .size:           8
        .value_kind:     global_buffer
      - .address_space:  global
        .offset:         8
        .size:           8
        .value_kind:     global_buffer
      - .offset:         16
        .size:           2
        .value_kind:     by_value
    .group_segment_fixed_size: 2
    .kernarg_segment_align: 8
    .kernarg_segment_size: 20
    .language:       OpenCL C
    .language_version:
      - 2
      - 0
    .max_flat_workgroup_size: 16
    .name:           _Z43exclusive_scan_prefix_callback_array_kernelILj16ELj5ELN6hipcub18BlockScanAlgorithmE0E12hip_bfloat16EvPT2_S4_S3_
    .private_segment_fixed_size: 0
    .sgpr_count:     14
    .sgpr_spill_count: 0
    .symbol:         _Z43exclusive_scan_prefix_callback_array_kernelILj16ELj5ELN6hipcub18BlockScanAlgorithmE0E12hip_bfloat16EvPT2_S4_S3_.kd
    .uniform_work_group_size: 1
    .uses_dynamic_stack: false
    .vgpr_count:     22
    .vgpr_spill_count: 0
    .wavefront_size: 64
  - .agpr_count:     0
    .args:
      - .address_space:  global
        .offset:         0
        .size:           8
        .value_kind:     global_buffer
      - .address_space:  global
        .offset:         8
        .size:           8
        .value_kind:     global_buffer
      - .offset:         16
        .size:           2
        .value_kind:     by_value
    .group_segment_fixed_size: 4
    .kernarg_segment_align: 8
    .kernarg_segment_size: 20
    .language:       OpenCL C
    .language_version:
      - 2
      - 0
    .max_flat_workgroup_size: 65
    .name:           _Z43exclusive_scan_prefix_callback_array_kernelILj65ELj5ELN6hipcub18BlockScanAlgorithmE0E6__halfEvPT2_S4_S3_
    .private_segment_fixed_size: 0
    .sgpr_count:     16
    .sgpr_spill_count: 0
    .symbol:         _Z43exclusive_scan_prefix_callback_array_kernelILj65ELj5ELN6hipcub18BlockScanAlgorithmE0E6__halfEvPT2_S4_S3_.kd
    .uniform_work_group_size: 1
    .uses_dynamic_stack: false
    .vgpr_count:     22
    .vgpr_spill_count: 0
    .wavefront_size: 64
  - .agpr_count:     0
    .args:
      - .address_space:  global
        .offset:         0
        .size:           8
        .value_kind:     global_buffer
      - .address_space:  global
        .offset:         8
        .size:           8
        .value_kind:     global_buffer
      - .offset:         16
        .size:           4
        .value_kind:     by_value
    .group_segment_fixed_size: 16
    .kernarg_segment_align: 8
    .kernarg_segment_size: 20
    .language:       OpenCL C
    .language_version:
      - 2
      - 0
    .max_flat_workgroup_size: 255
    .name:           _Z43exclusive_scan_prefix_callback_array_kernelILj255ELj15ELN6hipcub18BlockScanAlgorithmE0EfEvPT2_S3_S2_
    .private_segment_fixed_size: 0
    .sgpr_count:     14
    .sgpr_spill_count: 0
    .symbol:         _Z43exclusive_scan_prefix_callback_array_kernelILj255ELj15ELN6hipcub18BlockScanAlgorithmE0EfEvPT2_S3_S2_.kd
    .uniform_work_group_size: 1
    .uses_dynamic_stack: false
    .vgpr_count:     52
    .vgpr_spill_count: 0
    .wavefront_size: 64
  - .agpr_count:     0
    .args:
      - .address_space:  global
        .offset:         0
        .size:           8
        .value_kind:     global_buffer
      - .address_space:  global
        .offset:         8
        .size:           8
        .value_kind:     global_buffer
      - .offset:         16
        .size:           4
        .value_kind:     by_value
    .group_segment_fixed_size: 12
    .kernarg_segment_align: 8
    .kernarg_segment_size: 20
    .language:       OpenCL C
    .language_version:
      - 2
      - 0
    .max_flat_workgroup_size: 162
    .name:           _Z43exclusive_scan_prefix_callback_array_kernelILj162ELj7ELN6hipcub18BlockScanAlgorithmE0EfEvPT2_S3_S2_
    .private_segment_fixed_size: 0
    .sgpr_count:     14
    .sgpr_spill_count: 0
    .symbol:         _Z43exclusive_scan_prefix_callback_array_kernelILj162ELj7ELN6hipcub18BlockScanAlgorithmE0EfEvPT2_S3_S2_.kd
    .uniform_work_group_size: 1
    .uses_dynamic_stack: false
    .vgpr_count:     28
    .vgpr_spill_count: 0
    .wavefront_size: 64
  - .agpr_count:     0
    .args:
      - .address_space:  global
        .offset:         0
        .size:           8
        .value_kind:     global_buffer
      - .address_space:  global
        .offset:         8
        .size:           8
        .value_kind:     global_buffer
      - .offset:         16
        .size:           4
        .value_kind:     by_value
    .group_segment_fixed_size: 8
    .kernarg_segment_align: 8
    .kernarg_segment_size: 20
    .language:       OpenCL C
    .language_version:
      - 2
      - 0
    .max_flat_workgroup_size: 65
    .name:           _Z43exclusive_scan_prefix_callback_array_kernelILj65ELj5ELN6hipcub18BlockScanAlgorithmE0EfEvPT2_S3_S2_
    .private_segment_fixed_size: 0
    .sgpr_count:     16
    .sgpr_spill_count: 0
    .symbol:         _Z43exclusive_scan_prefix_callback_array_kernelILj65ELj5ELN6hipcub18BlockScanAlgorithmE0EfEvPT2_S3_S2_.kd
    .uniform_work_group_size: 1
    .uses_dynamic_stack: false
    .vgpr_count:     22
    .vgpr_spill_count: 0
    .wavefront_size: 64
  - .agpr_count:     0
    .args:
      - .address_space:  global
        .offset:         0
        .size:           8
        .value_kind:     global_buffer
      - .address_space:  global
        .offset:         8
        .size:           8
        .value_kind:     global_buffer
      - .offset:         16
        .size:           4
        .value_kind:     by_value
    .group_segment_fixed_size: 4
    .kernarg_segment_align: 8
    .kernarg_segment_size: 20
    .language:       OpenCL C
    .language_version:
      - 2
      - 0
    .max_flat_workgroup_size: 37
    .name:           _Z43exclusive_scan_prefix_callback_array_kernelILj37ELj2ELN6hipcub18BlockScanAlgorithmE0EfEvPT2_S3_S2_
    .private_segment_fixed_size: 0
    .sgpr_count:     12
    .sgpr_spill_count: 0
    .symbol:         _Z43exclusive_scan_prefix_callback_array_kernelILj37ELj2ELN6hipcub18BlockScanAlgorithmE0EfEvPT2_S3_S2_.kd
    .uniform_work_group_size: 1
    .uses_dynamic_stack: false
    .vgpr_count:     10
    .vgpr_spill_count: 0
    .wavefront_size: 64
  - .agpr_count:     0
    .args:
      - .address_space:  global
        .offset:         0
        .size:           8
        .value_kind:     global_buffer
      - .address_space:  global
        .offset:         8
        .size:           8
        .value_kind:     global_buffer
      - .offset:         16
        .size:           4
        .value_kind:     by_value
    .group_segment_fixed_size: 32
    .kernarg_segment_align: 8
    .kernarg_segment_size: 20
    .language:       OpenCL C
    .language_version:
      - 2
      - 0
    .max_flat_workgroup_size: 512
    .name:           _Z43exclusive_scan_prefix_callback_array_kernelILj512ELj4ELN6hipcub18BlockScanAlgorithmE0EiEvPT2_S3_S2_
    .private_segment_fixed_size: 0
    .sgpr_count:     14
    .sgpr_spill_count: 0
    .symbol:         _Z43exclusive_scan_prefix_callback_array_kernelILj512ELj4ELN6hipcub18BlockScanAlgorithmE0EiEvPT2_S3_S2_.kd
    .uniform_work_group_size: 1
    .uses_dynamic_stack: false
    .vgpr_count:     14
    .vgpr_spill_count: 0
    .wavefront_size: 64
  - .agpr_count:     0
    .args:
      - .address_space:  global
        .offset:         0
        .size:           8
        .value_kind:     global_buffer
      - .address_space:  global
        .offset:         8
        .size:           8
        .value_kind:     global_buffer
      - .offset:         16
        .size:           4
        .value_kind:     by_value
    .group_segment_fixed_size: 16
    .kernarg_segment_align: 8
    .kernarg_segment_size: 20
    .language:       OpenCL C
    .language_version:
      - 2
      - 0
    .max_flat_workgroup_size: 256
    .name:           _Z43exclusive_scan_prefix_callback_array_kernelILj256ELj3ELN6hipcub18BlockScanAlgorithmE0EjEvPT2_S3_S2_
    .private_segment_fixed_size: 0
    .sgpr_count:     14
    .sgpr_spill_count: 0
    .symbol:         _Z43exclusive_scan_prefix_callback_array_kernelILj256ELj3ELN6hipcub18BlockScanAlgorithmE0EjEvPT2_S3_S2_.kd
    .uniform_work_group_size: 1
    .uses_dynamic_stack: false
    .vgpr_count:     16
    .vgpr_spill_count: 0
    .wavefront_size: 64
  - .agpr_count:     0
    .args:
      - .address_space:  global
        .offset:         0
        .size:           8
        .value_kind:     global_buffer
      - .address_space:  global
        .offset:         8
        .size:           8
        .value_kind:     global_buffer
      - .offset:         16
        .size:           4
        .value_kind:     by_value
    .group_segment_fixed_size: 4
    .kernarg_segment_align: 8
    .kernarg_segment_size: 20
    .language:       OpenCL C
    .language_version:
      - 2
      - 0
    .max_flat_workgroup_size: 32
    .name:           _Z43exclusive_scan_prefix_callback_array_kernelILj32ELj2ELN6hipcub18BlockScanAlgorithmE0EfEvPT2_S3_S2_
    .private_segment_fixed_size: 0
    .sgpr_count:     12
    .sgpr_spill_count: 0
    .symbol:         _Z43exclusive_scan_prefix_callback_array_kernelILj32ELj2ELN6hipcub18BlockScanAlgorithmE0EfEvPT2_S3_S2_.kd
    .uniform_work_group_size: 1
    .uses_dynamic_stack: false
    .vgpr_count:     10
    .vgpr_spill_count: 0
    .wavefront_size: 64
  - .agpr_count:     0
    .args:
      - .address_space:  global
        .offset:         0
        .size:           8
        .value_kind:     global_buffer
      - .address_space:  global
        .offset:         8
        .size:           8
        .value_kind:     global_buffer
      - .offset:         16
        .size:           4
        .value_kind:     by_value
    .group_segment_fixed_size: 4
    .kernarg_segment_align: 8
    .kernarg_segment_size: 20
    .language:       OpenCL C
    .language_version:
      - 2
      - 0
    .max_flat_workgroup_size: 6
    .name:           _Z43exclusive_scan_prefix_callback_array_kernelILj6ELj32ELN6hipcub18BlockScanAlgorithmE0EfEvPT2_S3_S2_
    .private_segment_fixed_size: 0
    .sgpr_count:     12
    .sgpr_spill_count: 0
    .symbol:         _Z43exclusive_scan_prefix_callback_array_kernelILj6ELj32ELN6hipcub18BlockScanAlgorithmE0EfEvPT2_S3_S2_.kd
    .uniform_work_group_size: 1
    .uses_dynamic_stack: false
    .vgpr_count:     40
    .vgpr_spill_count: 0
    .wavefront_size: 64
amdhsa.target:   amdgcn-amd-amdhsa--gfx90a
amdhsa.version:
  - 1
  - 2
...

	.end_amdgpu_metadata
